;; amdgpu-corpus repo=ggml-org/llama.cpp kind=compiled arch=gfx950 opt=O3
	.amdgcn_target "amdgcn-amd-amdhsa--gfx950"
	.amdhsa_code_object_version 6
	.section	.text._ZL18flash_attn_ext_f16ILi64ELi64ELi4ELi8ELb0ELb0EEvPKcS1_S1_S1_S1_PKiPfP15HIP_vector_typeIfLj2EEffffjfiS5_IjLj3EEiiiiiiiiiiiliiliiiiil,"axG",@progbits,_ZL18flash_attn_ext_f16ILi64ELi64ELi4ELi8ELb0ELb0EEvPKcS1_S1_S1_S1_PKiPfP15HIP_vector_typeIfLj2EEffffjfiS5_IjLj3EEiiiiiiiiiiiliiliiiiil,comdat
	.globl	_ZL18flash_attn_ext_f16ILi64ELi64ELi4ELi8ELb0ELb0EEvPKcS1_S1_S1_S1_PKiPfP15HIP_vector_typeIfLj2EEffffjfiS5_IjLj3EEiiiiiiiiiiiliiliiiiil ; -- Begin function _ZL18flash_attn_ext_f16ILi64ELi64ELi4ELi8ELb0ELb0EEvPKcS1_S1_S1_S1_PKiPfP15HIP_vector_typeIfLj2EEffffjfiS5_IjLj3EEiiiiiiiiiiiliiliiiiil
	.p2align	8
	.type	_ZL18flash_attn_ext_f16ILi64ELi64ELi4ELi8ELb0ELb0EEvPKcS1_S1_S1_S1_PKiPfP15HIP_vector_typeIfLj2EEffffjfiS5_IjLj3EEiiiiiiiiiiiliiliiiiil,@function
_ZL18flash_attn_ext_f16ILi64ELi64ELi4ELi8ELb0ELb0EEvPKcS1_S1_S1_S1_PKiPfP15HIP_vector_typeIfLj2EEffffjfiS5_IjLj3EEiiiiiiiiiiiliiliiiiil: ; @_ZL18flash_attn_ext_f16ILi64ELi64ELi4ELi8ELb0ELb0EEvPKcS1_S1_S1_S1_PKiPfP15HIP_vector_typeIfLj2EEffffjfiS5_IjLj3EEiiiiiiiiiiiliiliiiiil
; %bb.0:
	s_load_dwordx2 s[4:5], s[0:1], 0x80
	s_load_dwordx4 s[36:39], s[0:1], 0x64
	s_mov_b32 s33, s2
	s_load_dword s35, s[0:1], 0xd0
                                        ; implicit-def: $vgpr161 : SGPR spill to VGPR lane
	s_mov_b32 s6, 0
	s_waitcnt lgkmcnt(0)
	s_abs_i32 s2, s5
	v_cvt_f32_u32_e32 v1, s2
	s_sub_i32 s8, 0, s2
	s_abs_i32 s7, s37
	s_xor_b32 s3, s37, s5
	v_rcp_iflag_f32_e32 v1, v1
	s_ashr_i32 s3, s3, 31
	v_mul_f32_e32 v1, 0x4f7ffffe, v1
	v_cvt_u32_f32_e32 v1, v1
	s_nop 0
	v_readfirstlane_b32 s9, v1
	s_mul_i32 s8, s8, s9
	s_mul_hi_u32 s8, s9, s8
	s_add_i32 s9, s9, s8
	s_mul_hi_u32 s8, s7, s9
	s_mul_i32 s9, s8, s2
	s_sub_i32 s7, s7, s9
	s_add_i32 s10, s8, 1
	s_sub_i32 s9, s7, s2
	s_cmp_ge_u32 s7, s2
	s_cselect_b32 s8, s10, s8
	s_cselect_b32 s7, s9, s7
	s_add_i32 s9, s8, 1
	s_cmp_ge_u32 s7, s2
	s_cselect_b32 s2, s9, s8
	s_add_i32 s4, s4, 63
	s_xor_b32 s2, s2, s3
	s_ashr_i32 s7, s4, 31
	s_sub_i32 s3, s2, s3
	s_lshr_b32 s2, s7, 26
	s_add_i32 s4, s4, s2
	s_add_i32 s2, s36, 3
	s_lshr_b32 s7, s2, 2
	s_add_i32 s2, s3, 7
	s_ashr_i32 s92, s4, 6
	s_ashr_i32 s4, s2, 31
	s_lshr_b32 s4, s4, 29
	s_add_i32 s2, s2, s4
	s_ashr_i32 s2, s2, 3
	s_mul_i32 s89, s7, s92
	s_mul_i32 s90, s89, s2
	;; [unrolled: 1-line block ×4, first 2 shown]
	s_ashr_i32 s10, s2, 31
	s_mul_i32 s4, s10, s33
	s_mul_hi_u32 s5, s2, s33
	v_writelane_b32 v161, s7, 0
	s_add_i32 s7, s5, s4
	s_cmp_lg_u64 s[6:7], 0
	s_mul_i32 s6, s2, s33
	s_cbranch_scc0 .LBB0_187
; %bb.1:
	s_add_u32 s4, s35, 0
	s_addc_u32 s5, 0, 0
	s_xor_b64 s[8:9], s[4:5], 0
	v_cvt_f32_u32_e32 v1, s8
	v_cvt_f32_u32_e32 v2, s9
	s_sub_u32 s11, 0, s8
	s_subb_u32 s14, 0, s9
	v_fmamk_f32 v1, v2, 0x4f800000, v1
	v_rcp_f32_e32 v1, v1
	s_nop 0
	v_mul_f32_e32 v1, 0x5f7ffffc, v1
	v_mul_f32_e32 v2, 0x2f800000, v1
	v_trunc_f32_e32 v2, v2
	v_fmamk_f32 v1, v2, 0xcf800000, v1
	v_cvt_u32_f32_e32 v2, v2
	v_cvt_u32_f32_e32 v1, v1
	v_readfirstlane_b32 s15, v2
	v_readfirstlane_b32 s12, v1
	s_mul_i32 s13, s11, s15
	s_mul_hi_u32 s17, s11, s12
	s_mul_i32 s16, s14, s12
	s_add_i32 s13, s17, s13
	s_add_i32 s13, s13, s16
	s_mul_i32 s18, s11, s12
	s_mul_i32 s17, s12, s13
	s_mul_hi_u32 s19, s12, s18
	s_mul_hi_u32 s16, s12, s13
	s_add_u32 s17, s19, s17
	s_addc_u32 s16, 0, s16
	s_mul_hi_u32 s20, s15, s18
	s_mul_i32 s18, s15, s18
	s_add_u32 s17, s17, s18
	s_mul_hi_u32 s19, s15, s13
	s_addc_u32 s16, s16, s20
	s_addc_u32 s17, s19, 0
	s_mul_i32 s13, s15, s13
	s_add_u32 s13, s16, s13
	s_addc_u32 s16, 0, s17
	s_add_u32 s17, s12, s13
	s_cselect_b64 s[12:13], -1, 0
	s_cmp_lg_u64 s[12:13], 0
	s_addc_u32 s15, s15, s16
	s_mul_i32 s12, s11, s15
	s_mul_hi_u32 s13, s11, s17
	s_add_i32 s12, s13, s12
	s_mul_i32 s14, s14, s17
	s_add_i32 s12, s12, s14
	s_mul_i32 s11, s11, s17
	s_mul_hi_u32 s14, s15, s11
	s_mul_i32 s16, s15, s11
	s_mul_i32 s19, s17, s12
	s_mul_hi_u32 s11, s17, s11
	s_mul_hi_u32 s18, s17, s12
	s_add_u32 s11, s11, s19
	s_addc_u32 s18, 0, s18
	s_add_u32 s11, s11, s16
	s_mul_hi_u32 s13, s15, s12
	s_addc_u32 s11, s18, s14
	s_addc_u32 s13, s13, 0
	s_mul_i32 s12, s15, s12
	s_add_u32 s11, s11, s12
	s_addc_u32 s14, 0, s13
	s_add_u32 s11, s17, s11
	s_cselect_b64 s[12:13], -1, 0
	s_cmp_lg_u64 s[12:13], 0
	s_addc_u32 s16, s15, s14
	s_ashr_i32 s12, s7, 31
	s_add_u32 s14, s6, s12
	s_mov_b32 s13, s12
	s_addc_u32 s15, s7, s12
	s_xor_b64 s[14:15], s[14:15], s[12:13]
	s_mul_i32 s17, s14, s16
	s_mul_hi_u32 s18, s14, s11
	s_mul_hi_u32 s7, s14, s16
	s_add_u32 s17, s18, s17
	s_addc_u32 s7, 0, s7
	s_mul_hi_u32 s19, s15, s11
	s_mul_i32 s11, s15, s11
	s_add_u32 s11, s17, s11
	s_mul_hi_u32 s18, s15, s16
	s_addc_u32 s7, s7, s19
	s_addc_u32 s11, s18, 0
	s_mul_i32 s16, s15, s16
	s_add_u32 s7, s7, s16
	s_addc_u32 s11, 0, s11
	s_mul_i32 s16, s8, s11
	s_mul_hi_u32 s17, s8, s7
	s_add_i32 s16, s17, s16
	s_mul_i32 s17, s9, s7
	s_add_i32 s20, s16, s17
	s_sub_i32 s18, s15, s20
	s_mul_i32 s16, s8, s7
	s_sub_u32 s14, s14, s16
	s_cselect_b64 s[16:17], -1, 0
	s_cmp_lg_u64 s[16:17], 0
	s_subb_u32 s21, s18, s9
	s_sub_u32 s22, s14, s8
	s_cselect_b64 s[18:19], -1, 0
	s_cmp_lg_u64 s[18:19], 0
	s_subb_u32 s18, s21, 0
	s_cmp_ge_u32 s18, s9
	s_cselect_b32 s19, -1, 0
	s_cmp_ge_u32 s22, s8
	s_cselect_b32 s21, -1, 0
	s_cmp_eq_u32 s18, s9
	s_cselect_b32 s18, s21, s19
	s_add_u32 s19, s7, 1
	s_addc_u32 s21, s11, 0
	s_add_u32 s22, s7, 2
	s_addc_u32 s23, s11, 0
	s_cmp_lg_u32 s18, 0
	s_cselect_b32 s18, s22, s19
	s_cselect_b32 s19, s23, s21
	s_cmp_lg_u64 s[16:17], 0
	s_subb_u32 s15, s15, s20
	s_cmp_ge_u32 s15, s9
	s_cselect_b32 s16, -1, 0
	s_cmp_ge_u32 s14, s8
	s_cselect_b32 s8, -1, 0
	s_cmp_eq_u32 s15, s9
	s_cselect_b32 s8, s8, s16
	s_cmp_lg_u32 s8, 0
	s_cselect_b32 s9, s19, s11
	s_cselect_b32 s8, s18, s7
	s_xor_b64 s[12:13], s[12:13], 0
	s_xor_b64 s[8:9], s[8:9], s[12:13]
	s_sub_u32 s56, s8, s12
	s_load_dwordx2 s[48:49], s[0:1], 0x74
	v_cvt_f32_u32_e32 v1, s35
	s_cbranch_execnz .LBB0_3
.LBB0_2:
	v_rcp_iflag_f32_e32 v2, v1
	s_sub_i32 s4, 0, s35
	v_mul_f32_e32 v2, 0x4f7ffffe, v2
	v_cvt_u32_f32_e32 v2, v2
	s_nop 0
	v_readfirstlane_b32 s5, v2
	s_mul_i32 s4, s4, s5
	s_mul_hi_u32 s4, s5, s4
	s_add_i32 s5, s5, s4
	s_mul_hi_u32 s4, s6, s5
	s_mul_i32 s7, s4, s35
	s_sub_i32 s6, s6, s7
	s_add_i32 s5, s4, 1
	s_sub_i32 s7, s6, s35
	s_cmp_ge_u32 s6, s35
	s_cselect_b32 s4, s5, s4
	s_cselect_b32 s6, s7, s6
	s_add_i32 s5, s4, 1
	s_cmp_ge_u32 s6, s35
	s_cselect_b32 s56, s5, s4
.LBB0_3:
	s_add_i32 s4, s33, 1
	s_mul_i32 s5, s10, s4
	s_mul_hi_u32 s6, s2, s4
	s_add_i32 s9, s6, s5
	s_mov_b32 s8, 0
	s_cmp_lg_u64 s[8:9], 0
	s_mul_i32 s2, s2, s4
	s_cbranch_scc0 .LBB0_188
; %bb.4:
	s_add_u32 s4, s35, 0
	s_addc_u32 s5, 0, 0
	s_xor_b64 s[6:7], s[4:5], 0
	v_cvt_f32_u32_e32 v2, s6
	v_cvt_f32_u32_e32 v3, s7
	s_sub_u32 s8, 0, s6
	s_subb_u32 s12, 0, s7
	v_fmamk_f32 v2, v3, 0x4f800000, v2
	v_rcp_f32_e32 v2, v2
	s_nop 0
	v_mul_f32_e32 v2, 0x5f7ffffc, v2
	v_mul_f32_e32 v3, 0x2f800000, v2
	v_trunc_f32_e32 v3, v3
	v_fmamk_f32 v2, v3, 0xcf800000, v2
	v_cvt_u32_f32_e32 v3, v3
	v_cvt_u32_f32_e32 v2, v2
	v_readfirstlane_b32 s13, v3
	v_readfirstlane_b32 s10, v2
	s_mul_i32 s11, s8, s13
	s_mul_hi_u32 s15, s8, s10
	s_mul_i32 s14, s12, s10
	s_add_i32 s11, s15, s11
	s_add_i32 s11, s11, s14
	s_mul_i32 s16, s8, s10
	s_mul_i32 s15, s10, s11
	s_mul_hi_u32 s17, s10, s16
	s_mul_hi_u32 s14, s10, s11
	s_add_u32 s15, s17, s15
	s_addc_u32 s14, 0, s14
	s_mul_hi_u32 s18, s13, s16
	s_mul_i32 s16, s13, s16
	s_add_u32 s15, s15, s16
	s_mul_hi_u32 s17, s13, s11
	s_addc_u32 s14, s14, s18
	s_addc_u32 s15, s17, 0
	s_mul_i32 s11, s13, s11
	s_add_u32 s11, s14, s11
	s_addc_u32 s14, 0, s15
	s_add_u32 s15, s10, s11
	s_cselect_b64 s[10:11], -1, 0
	s_cmp_lg_u64 s[10:11], 0
	s_addc_u32 s13, s13, s14
	s_mul_i32 s10, s8, s13
	s_mul_hi_u32 s11, s8, s15
	s_add_i32 s10, s11, s10
	s_mul_i32 s12, s12, s15
	s_add_i32 s10, s10, s12
	s_mul_i32 s8, s8, s15
	s_mul_hi_u32 s12, s13, s8
	s_mul_i32 s14, s13, s8
	s_mul_i32 s17, s15, s10
	s_mul_hi_u32 s8, s15, s8
	s_mul_hi_u32 s16, s15, s10
	s_add_u32 s8, s8, s17
	s_addc_u32 s16, 0, s16
	s_add_u32 s8, s8, s14
	s_mul_hi_u32 s11, s13, s10
	s_addc_u32 s8, s16, s12
	s_addc_u32 s11, s11, 0
	s_mul_i32 s10, s13, s10
	s_add_u32 s8, s8, s10
	s_addc_u32 s12, 0, s11
	s_add_u32 s14, s15, s8
	s_cselect_b64 s[10:11], -1, 0
	s_cmp_lg_u64 s[10:11], 0
	s_addc_u32 s12, s13, s12
	s_ashr_i32 s10, s9, 31
	s_add_u32 s8, s2, s10
	s_mov_b32 s11, s10
	s_addc_u32 s9, s9, s10
	s_xor_b64 s[8:9], s[8:9], s[10:11]
	s_mul_i32 s15, s8, s12
	s_mul_hi_u32 s16, s8, s14
	s_mul_hi_u32 s13, s8, s12
	s_add_u32 s15, s16, s15
	s_addc_u32 s13, 0, s13
	s_mul_hi_u32 s17, s9, s14
	s_mul_i32 s14, s9, s14
	s_add_u32 s14, s15, s14
	s_mul_hi_u32 s16, s9, s12
	s_addc_u32 s13, s13, s17
	s_addc_u32 s14, s16, 0
	s_mul_i32 s12, s9, s12
	s_add_u32 s16, s13, s12
	s_addc_u32 s17, 0, s14
	s_mul_i32 s12, s6, s17
	s_mul_hi_u32 s13, s6, s16
	s_add_i32 s12, s13, s12
	s_mul_i32 s13, s7, s16
	s_add_i32 s18, s12, s13
	s_sub_i32 s14, s9, s18
	s_mul_i32 s12, s6, s16
	s_sub_u32 s8, s8, s12
	s_cselect_b64 s[12:13], -1, 0
	s_cmp_lg_u64 s[12:13], 0
	s_subb_u32 s19, s14, s7
	s_sub_u32 s20, s8, s6
	s_cselect_b64 s[14:15], -1, 0
	s_cmp_lg_u64 s[14:15], 0
	s_subb_u32 s14, s19, 0
	s_cmp_ge_u32 s14, s7
	s_cselect_b32 s15, -1, 0
	s_cmp_ge_u32 s20, s6
	s_cselect_b32 s19, -1, 0
	s_cmp_eq_u32 s14, s7
	s_cselect_b32 s14, s19, s15
	s_add_u32 s15, s16, 1
	s_addc_u32 s19, s17, 0
	s_add_u32 s20, s16, 2
	s_addc_u32 s21, s17, 0
	s_cmp_lg_u32 s14, 0
	s_cselect_b32 s14, s20, s15
	s_cselect_b32 s15, s21, s19
	s_cmp_lg_u64 s[12:13], 0
	s_subb_u32 s9, s9, s18
	s_cmp_ge_u32 s9, s7
	s_cselect_b32 s12, -1, 0
	s_cmp_ge_u32 s8, s6
	s_cselect_b32 s6, -1, 0
	s_cmp_eq_u32 s9, s7
	s_cselect_b32 s6, s6, s12
	s_cmp_lg_u32 s6, 0
	s_cselect_b32 s7, s15, s17
	s_cselect_b32 s6, s14, s16
	s_xor_b64 s[8:9], s[10:11], 0
	s_xor_b64 s[6:7], s[6:7], s[8:9]
	s_sub_u32 s60, s6, s8
	s_load_dwordx2 s[44:45], s[0:1], 0x5c
	s_cbranch_execnz .LBB0_6
.LBB0_5:
	v_rcp_iflag_f32_e32 v1, v1
	s_sub_i32 s4, 0, s35
	v_mul_f32_e32 v1, 0x4f7ffffe, v1
	v_cvt_u32_f32_e32 v1, v1
	s_nop 0
	v_readfirstlane_b32 s5, v1
	s_mul_i32 s4, s4, s5
	s_mul_hi_u32 s4, s5, s4
	s_add_i32 s5, s5, s4
	s_mul_hi_u32 s4, s2, s5
	s_mul_i32 s6, s4, s35
	s_sub_i32 s2, s2, s6
	s_add_i32 s5, s4, 1
	s_sub_i32 s6, s2, s35
	s_cmp_ge_u32 s2, s35
	s_cselect_b32 s4, s5, s4
	s_cselect_b32 s2, s6, s2
	s_add_i32 s5, s4, 1
	s_cmp_ge_u32 s2, s35
	s_cselect_b32 s60, s5, s4
.LBB0_6:
	s_abs_i32 s93, s92
	v_cvt_f32_u32_e32 v1, s93
	s_load_dwordx16 s[16:31], s[0:1], 0x0
	s_load_dword s2, s[0:1], 0x40
	s_load_dwordx2 s[4:5], s[0:1], 0x8c
	s_load_dwordx4 s[40:43], s[0:1], 0x98
	s_load_dwordx2 s[50:51], s[0:1], 0xa8
	s_load_dwordx2 s[14:15], s[0:1], 0xb8
	;; [unrolled: 1-line block ×3, first 2 shown]
	s_waitcnt lgkmcnt(0)
	s_mov_b32 s1, s5
	s_ashr_i32 s38, s4, 2
	v_rcp_iflag_f32_e32 v1, v1
	s_sub_i32 s4, 0, s93
	v_writelane_b32 v161, s0, 1
	s_ashr_i32 s57, s39, 3
	v_mul_f32_e32 v1, 0x4f7ffffe, v1
	v_cvt_u32_f32_e32 v1, v1
	v_writelane_b32 v161, s1, 2
	s_ashr_i32 s1, s92, 31
	v_writelane_b32 v161, s1, 3
	v_readfirstlane_b32 s54, v1
	s_mul_i32 s4, s4, s54
	s_mul_hi_u32 s4, s54, s4
	s_abs_i32 s1, s56
	s_add_i32 s54, s54, s4
	s_mul_hi_u32 s4, s1, s54
	s_mul_i32 s4, s4, s93
	s_sub_i32 s1, s1, s4
	s_ashr_i32 s55, s48, 3
	s_ashr_i32 s46, s15, 1
	;; [unrolled: 1-line block ×4, first 2 shown]
	s_sub_i32 s4, s1, s93
	s_cmp_ge_u32 s1, s93
	s_cselect_b32 s1, s4, s1
	s_sub_i32 s4, s1, s93
	s_cmp_ge_u32 s1, s93
	s_cselect_b32 s1, s4, s1
	s_xor_b32 s1, s1, s0
	s_sub_i32 s84, s1, s0
	s_sub_i32 s0, s60, s56
	s_add_i32 s4, s0, s84
	s_min_i32 s67, s92, s4
	s_cmp_gt_i32 s60, s56
	s_cselect_b64 s[10:11], -1, 0
	s_cmp_le_i32 s60, s56
	s_cselect_b64 s[0:1], -1, 0
	s_cmp_gt_i32 s92, s4
	v_cvt_f16_f32_e32 v1, s2
	s_cselect_b64 s[4:5], -1, 0
	s_or_b64 s[0:1], s[4:5], s[0:1]
	v_bfe_u32 v17, v0, 5, 5
	v_bfe_u32 v33, v0, 10, 10
	s_mov_b32 s63, 0
	s_and_b64 vcc, exec, s[0:1]
	v_lshl_add_u32 v43, v33, 1, v17
	v_and_b32_e32 v16, 31, v0
	v_lshlrev_b32_e32 v39, 3, v33
	v_lshlrev_b32_e32 v37, 4, v33
	v_mbcnt_lo_u32_b32 v41, -1, 0
	s_cbranch_vccz .LBB0_9
; %bb.7:
	s_andn2_b64 vcc, exec, s[10:11]
	s_cbranch_vccz .LBB0_164
.LBB0_8:
	s_endpgm
.LBB0_9:
	v_and_b32_e32 v2, 0x7f0, v39
	s_movk_i32 s4, 0x90
	v_and_b32_e32 v4, 15, v0
	v_lshrrev_b32_e32 v7, 1, v0
	v_mad_u32_u24 v3, v2, s4, 0
	v_mul_u32_u24_e32 v5, 0x90, v4
	v_and_b32_e32 v7, 0x78, v7
	v_add3_u32 v15, v3, v5, v7
	v_and_b32_e32 v3, 0x3ff, v0
	v_lshlrev_b32_e32 v5, 1, v3
	v_and_b32_e32 v14, 62, v5
	v_bfe_u32 v6, v0, 3, 7
	v_mul_u32_u24_e32 v21, 0x90, v43
	v_lshlrev_b32_e32 v5, 1, v14
	v_lshlrev_b32_e32 v9, 2, v3
	v_add3_u32 v45, 0, v21, v5
	v_add_u32_e32 v5, v39, v6
	v_and_b32_e32 v20, 28, v9
	v_mul_u32_u24_e32 v8, 0x90, v5
	v_lshlrev_b32_e32 v9, 2, v20
	v_add_u32_e32 v65, 0, v7
	v_lshrrev_b32_e32 v7, 2, v0
	v_add3_u32 v64, 0, v8, v9
	v_and_b32_e32 v8, 16, v37
	v_and_b32_e32 v7, 60, v7
	v_and_or_b32 v2, v0, 8, v2
	v_add_u32_e32 v9, v7, v8
	v_lshrrev_b32_e32 v2, 3, v2
	v_add_u16_e32 v7, v7, v8
	v_mad_u32_u24 v2, v2, s4, 0
	v_lshrrev_b16_e32 v7, 1, v7
	v_mul_lo_u32 v22, s38, v5
	v_lshl_add_u32 v68, v7, 2, v2
	v_lshl_add_u32 v2, v9, 1, v2
	v_mul_lo_u32 v26, s34, v5
	v_lshlrev_b32_e32 v5, 1, v6
	s_cmp_eq_u64 s[24:25], 0
	v_mad_u32_u24 v66, v4, s4, v65
	v_add_u32_e32 v69, 64, v2
	v_add_u32_e32 v70, 0x44, v2
	v_and_b32_e32 v2, 8, v39
	v_and_b32_e32 v6, 60, v5
	v_or_b32_e32 v7, 2, v5
	v_or_b32_e32 v5, 3, v5
	s_movk_i32 s4, 0x120
	v_writelane_b32 v161, s35, 4
	s_cselect_b64 s[0:1], -1, 0
	v_mul_u32_u24_e32 v67, 0x90, v8
	v_mul_u32_u24_e32 v6, 0x90, v6
	;; [unrolled: 1-line block ×4, first 2 shown]
	v_mad_u32_u24 v2, v2, s4, 0
	v_lshlrev_b32_e32 v8, 1, v4
	v_writelane_b32 v161, s0, 5
	s_cmp_lg_u64 s[26:27], 0
	v_add3_u32 v71, v2, v6, v8
	v_add3_u32 v72, v2, v7, v8
	;; [unrolled: 1-line block ×3, first 2 shown]
	v_bfe_u32 v2, v0, 10, 1
	v_writelane_b32 v161, s1, 6
	s_cselect_b64 s[0:1], -1, 0
	v_cmp_eq_u32_e64 s[12:13], 0, v2
	v_and_b32_e32 v2, 0x400, v0
	v_writelane_b32 v161, s0, 7
	v_cmp_ne_u32_e64 s[4:5], 0, v2
	v_add_u32_e32 v2, v37, v3
	v_writelane_b32 v161, s1, 8
	v_mul_u32_u24_e32 v74, 0x90, v2
	v_add_u32_e32 v2, v37, v16
	v_cmp_gt_u32_e64 s[8:9], 32, v3
	v_mul_u32_u24_e32 v75, 0x90, v2
	s_lshl_b32 s62, s33, 5
	v_writelane_b32 v161, s8, 9
	v_or_b32_e32 v2, v39, v3
	s_ashr_i32 s47, s46, 31
	s_ashr_i32 s39, s38, 31
	;; [unrolled: 1-line block ×3, first 2 shown]
	v_writelane_b32 v161, s9, 10
	s_lshl_b64 s[8:9], s[62:63], 3
	v_lshlrev_b32_e32 v18, 3, v2
	v_or_b32_e32 v2, v37, v4
	v_add_u32_e32 v4, v17, v33
	v_cmp_gt_u32_e64 s[6:7], 16, v3
	s_add_u32 s10, s30, s8
	v_lshlrev_b32_e32 v3, 1, v4
	v_and_b32_e32 v5, 15, v4
	s_movk_i32 s8, 0x3e0
	v_add_u32_e32 v6, 4, v4
	v_and_or_b32 v3, v3, s8, v5
	v_lshlrev_b32_e32 v7, 1, v6
	v_and_b32_e32 v8, 15, v6
	s_movk_i32 s8, 0x7e0
	v_and_or_b32 v7, v7, s8, v8
	v_add_u32_e32 v8, 8, v4
	v_lshlrev_b32_e32 v9, 1, v8
	v_and_b32_e32 v10, 15, v8
	v_and_or_b32 v9, v9, s8, v10
	v_add_u32_e32 v10, 12, v4
	v_lshlrev_b32_e32 v11, 1, v10
	v_and_b32_e32 v12, 15, v10
	s_addc_u32 s11, s31, s9
	v_and_or_b32 v11, v11, s8, v12
	v_add_u32_e32 v12, 16, v4
	s_abs_i32 s59, s91
	v_lshlrev_b32_e32 v13, 1, v12
	v_cvt_f32_u32_e32 v34, s59
	v_and_or_b32 v5, v13, s8, v5
	v_add_u32_e32 v13, 20, v4
	v_lshlrev_b32_e32 v30, 1, v13
	v_and_b32_e32 v31, 15, v13
	v_and_or_b32 v30, v30, s8, v31
	v_add_u32_e32 v31, 24, v4
	v_lshlrev_b32_e32 v32, 1, v31
	v_and_b32_e32 v35, 15, v31
	v_rcp_iflag_f32_e32 v34, v34
	s_abs_i32 s94, s90
	v_and_or_b32 v32, v32, s8, v35
	v_cvt_f32_u32_e32 v35, s94
	v_mul_f32_e32 v34, 0x4f7ffffe, v34
	v_cvt_u32_f32_e32 v34, v34
	v_add_u32_e32 v44, 28, v4
	v_rcp_iflag_f32_e32 v35, v35
	v_lshlrev_b32_e32 v36, 1, v44
	v_and_b32_e32 v38, 15, v44
	s_abs_i32 s95, s89
	v_writelane_b32 v161, s33, 11
	v_and_or_b32 v36, v36, s8, v38
	v_readfirstlane_b32 s8, v34
	v_mul_f32_e32 v34, 0x4f7ffffe, v35
	v_cvt_f32_u32_e32 v35, s95
	s_mov_b32 s42, s14
	v_writelane_b32 v161, s42, 12
	s_ashr_i32 s33, s91, 31
	s_abs_i32 s96, s14
	v_writelane_b32 v161, s43, 13
	v_writelane_b32 v161, s33, 14
	s_sub_i32 s33, 0, s59
	v_cvt_u32_f32_e32 v34, v34
	v_cvt_f32_u32_e32 v38, s96
	v_rcp_iflag_f32_e32 v35, v35
	s_mul_i32 s33, s33, s8
	s_mul_hi_u32 s33, s8, s33
	s_add_i32 s8, s8, s33
	v_writelane_b32 v161, s8, 15
	s_ashr_i32 s8, s90, 31
	v_readfirstlane_b32 s9, v34
	v_rcp_iflag_f32_e32 v34, v38
	v_mul_f32_e32 v35, 0x4f7ffffe, v35
	v_writelane_b32 v161, s8, 16
	s_sub_i32 s8, 0, s94
	v_cvt_u32_f32_e32 v35, v35
	s_mul_i32 s8, s8, s9
	s_mul_hi_u32 s8, s9, s8
	v_mul_u32_u24_e32 v76, 0x90, v2
	v_add_u32_e32 v2, 8, v43
	s_add_i32 s8, s9, s8
	v_lshrrev_b32_e32 v77, 3, v2
	v_mul_u32_u24_e32 v78, 0x90, v2
	v_mul_f32_e32 v2, 0x4f7ffffe, v34
	v_writelane_b32 v161, s8, 17
	s_ashr_i32 s8, s89, 31
	v_cvt_u32_f32_e32 v2, v2
	v_readfirstlane_b32 s14, v35
	v_writelane_b32 v161, s8, 18
	s_sub_i32 s8, 0, s95
	s_mul_i32 s8, s8, s14
	s_mul_hi_u32 s8, s14, s8
	s_add_i32 s8, s14, s8
	v_readfirstlane_b32 s15, v2
	v_writelane_b32 v161, s8, 19
	s_sub_i32 s8, 0, s96
	s_mul_i32 s8, s8, s15
	s_mul_hi_u32 s8, s15, s8
	s_add_i32 s8, s15, s8
	v_writelane_b32 v161, s8, 20
	s_mov_b32 s8, s46
	v_writelane_b32 v161, s8, 21
	v_mov_b32_e32 v19, 0
	v_lshl_add_u32 v24, s38, 5, v22
	v_lshl_add_u32 v28, s34, 5, v26
	v_add_u32_e32 v2, 24, v43
	v_writelane_b32 v161, s9, 22
	s_lshl_b64 s[8:9], s[46:47], 1
	s_mov_b32 s2, 0x10001
	v_ashrrev_i32_e32 v23, 31, v22
	v_ashrrev_i32_e32 v25, 31, v24
	;; [unrolled: 1-line block ×4, first 2 shown]
	v_add_u32_e32 v34, 16, v43
	v_lshrrev_b32_e32 v80, 3, v2
	v_mul_u32_u24_e32 v81, 0x90, v3
	v_mul_u32_u24_e32 v90, 0x90, v32
	v_lshlrev_b32_e32 v2, 2, v16
	v_mov_b32_e32 v3, v19
	v_writelane_b32 v161, s8, 23
	v_and_b32_e32 v32, 7, v0
	v_and_b32_e32 v96, 7, v43
	v_cmp_gt_u32_e64 s[0:1], 4, v43
	v_lshrrev_b32_e32 v79, 3, v34
	v_mul_u32_u24_e32 v82, 0x90, v7
	v_lshrrev_b32_e32 v83, 3, v8
	v_mul_u32_u24_e32 v84, 0x90, v9
	v_mul_u32_u24_e32 v85, 0x90, v11
	v_lshrrev_b32_e32 v86, 3, v12
	v_mul_u32_u24_e32 v87, 0x90, v5
	;; [unrolled: 3-line block ×3, first 2 shown]
	v_add_u32_e32 v92, 0, v2
	v_lshl_add_u64 v[30:31], s[22:23], 0, v[2:3]
	v_writelane_b32 v161, s9, 24
	v_lshlrev_b32_e32 v34, 4, v32
	v_mov_b32_e32 v35, v19
	s_lshl_b64 s[70:71], s[34:35], 8
	s_lshl_b64 s[72:73], s[38:39], 8
	s_mov_b32 s47, 0x3fb8aa3b
	s_mov_b32 s33, 0xc2ce8ed0
	;; [unrolled: 1-line block ×5, first 2 shown]
	v_mul_lo_u32 v93, v1, s2
	v_add_u32_e32 v94, 0x1200, v64
	v_lshrrev_b32_e32 v95, 3, v43
	v_lshrrev_b32_e32 v97, 3, v4
	v_and_b32_e32 v36, 7, v4
	v_lshrrev_b32_e32 v98, 3, v6
	v_and_b32_e32 v38, 7, v6
	v_lshrrev_b32_e32 v99, 3, v10
	v_and_b32_e32 v40, 7, v10
	v_lshrrev_b32_e32 v100, 3, v13
	v_and_b32_e32 v42, 7, v13
	v_lshrrev_b32_e32 v101, 3, v44
	v_and_b32_e32 v44, 7, v44
	v_mbcnt_hi_u32_b32 v102, -1, v41
	v_mov_b32_e32 v103, 0x7f800000
	v_lshl_add_u64 v[46:47], s[10:11], 0, v[18:19]
	v_mad_u64_u32 v[48:49], s[10:11], v96, s55, v[16:17]
	v_lshl_add_u64 v[50:51], v[26:27], 2, s[20:21]
	v_lshl_add_u64 v[52:53], v[28:29], 2, s[20:21]
	;; [unrolled: 1-line block ×4, first 2 shown]
	v_writelane_b32 v161, s55, 25
	s_branch .LBB0_12
.LBB0_10:                               ;   in Loop: Header=BB0_12 Depth=1
	s_or_b64 exec, exec, s[76:77]
	s_barrier
.LBB0_11:                               ;   in Loop: Header=BB0_12 Depth=1
	s_add_i32 s2, s56, s92
	s_abs_i32 s11, s2
	s_mul_hi_u32 s14, s11, s54
	s_mul_i32 s14, s14, s93
	s_sub_i32 s11, s11, s14
	s_ashr_i32 s10, s2, 31
	s_sub_i32 s14, s11, s93
	s_cmp_ge_u32 s11, s93
	s_cselect_b32 s11, s14, s11
	s_sub_i32 s14, s11, s93
	s_cmp_ge_u32 s11, s93
	s_cselect_b32 s11, s14, s11
	s_xor_b32 s11, s11, s10
	s_sub_i32 s10, s10, s11
	s_add_i32 s56, s2, s10
	s_sub_i32 s2, s60, s56
	s_min_i32 s67, s92, s2
	s_cmp_gt_i32 s60, s56
	s_cselect_b64 s[10:11], -1, 0
	s_cmp_le_i32 s92, s2
	s_cselect_b64 s[14:15], -1, 0
	s_and_b64 s[14:15], s[14:15], s[10:11]
	s_mov_b32 s84, 0
	s_and_b64 vcc, exec, s[14:15]
	s_cbranch_vccz .LBB0_163
.LBB0_12:                               ; =>This Loop Header: Depth=1
                                        ;     Child Loop BB0_110 Depth 2
                                        ;     Child Loop BB0_34 Depth 2
	s_ashr_i32 s2, s56, 31
	v_readlane_b32 s10, v161, 14
	s_xor_b32 s2, s2, s10
	s_abs_i32 s10, s56
	v_readlane_b32 s11, v161, 15
	s_mul_hi_u32 s11, s10, s11
	s_mul_i32 s14, s11, s59
	s_sub_i32 s10, s10, s14
	s_add_i32 s14, s11, 1
	s_sub_i32 s15, s10, s59
	s_cmp_ge_u32 s10, s59
	s_cselect_b32 s11, s14, s11
	s_cselect_b32 s10, s15, s10
	s_add_i32 s14, s11, 1
	s_cmp_ge_u32 s10, s59
	s_cselect_b32 s10, s14, s11
	s_xor_b32 s10, s10, s2
	s_sub_i32 s10, s10, s2
	s_mul_i32 s2, s10, s91
	s_sub_i32 s2, s56, s2
	s_ashr_i32 s11, s2, 31
	v_readlane_b32 s14, v161, 16
	s_xor_b32 s11, s11, s14
	s_abs_i32 s14, s2
	v_readlane_b32 s15, v161, 17
	s_mul_hi_u32 s15, s14, s15
	s_mul_i32 s42, s15, s94
	s_sub_i32 s14, s14, s42
	s_add_i32 s42, s15, 1
	s_sub_i32 s46, s14, s94
	s_cmp_ge_u32 s14, s94
	s_cselect_b32 s15, s42, s15
	s_cselect_b32 s14, s46, s14
	s_add_i32 s42, s15, 1
	s_cmp_ge_u32 s14, s94
	s_cselect_b32 s14, s42, s15
	s_xor_b32 s14, s14, s11
	s_sub_i32 s11, s14, s11
	s_mul_i32 s14, s11, s90
	s_sub_i32 s14, s2, s14
	;; [unrolled: 20-line block ×3, first 2 shown]
	s_ashr_i32 s15, s14, 31
	v_readlane_b32 s42, v161, 3
	s_abs_i32 s14, s14
	s_xor_b32 s15, s15, s42
	s_mul_hi_u32 s42, s14, s54
	s_mul_i32 s46, s42, s93
	s_sub_i32 s14, s14, s46
	s_add_i32 s46, s42, 1
	s_sub_i32 s55, s14, s93
	s_cmp_ge_u32 s14, s93
	s_cselect_b32 s42, s46, s42
	s_cselect_b32 s14, s55, s14
	s_add_i32 s46, s42, 1
	s_cmp_ge_u32 s14, s93
	s_cselect_b32 s14, s46, s42
	v_readlane_b32 s64, v161, 7
	s_xor_b32 s14, s14, s15
	v_readlane_b32 s65, v161, 8
	s_andn2_b64 vcc, exec, s[64:65]
	s_sub_i32 s68, s14, s15
	s_cbranch_vccnz .LBB0_14
; %bb.13:                               ;   in Loop: Header=BB0_12 Depth=1
	v_readlane_b32 s14, v161, 0
	s_mul_i32 s14, s10, s14
	s_add_i32 s14, s68, s14
	s_ashr_i32 s15, s14, 31
	s_lshl_b64 s[14:15], s[14:15], 2
	s_add_u32 s14, s26, s14
	s_addc_u32 s15, s27, s15
	global_load_dword v2, v19, s[14:15]
	s_waitcnt vmcnt(0)
	v_readfirstlane_b32 s14, v2
	s_ashr_i32 s15, s14, 31
	s_lshr_b32 s15, s15, 26
	s_add_i32 s14, s14, s15
	s_ashr_i32 s14, s14, 6
	s_min_i32 s67, s67, s14
.LBB0_14:                               ;   in Loop: Header=BB0_12 Depth=1
	s_mul_i32 s14, s11, s3
	s_lshl_b32 s2, s2, 3
	s_mul_i32 s15, s10, s49
	s_add_i32 s14, s2, s14
	s_ashr_i32 s42, s15, 31
	s_add_u32 s15, s16, s15
	s_mul_i32 s46, s14, s48
	s_addc_u32 s42, s17, s42
	s_ashr_i32 s55, s46, 31
	s_add_u32 s80, s15, s46
	s_addc_u32 s81, s42, s55
	s_ashr_i32 s15, s10, 31
	s_mul_hi_u32 s42, s40, s10
	s_mul_i32 s46, s40, s15
	s_add_i32 s42, s42, s46
	s_mul_i32 s46, s41, s10
	v_readlane_b32 s64, v161, 1
	s_add_i32 s42, s42, s46
	s_mul_i32 s55, s40, s10
	v_readlane_b32 s65, v161, 2
	s_add_u32 s46, s18, s55
	s_mul_i32 s97, s11, s65
	s_addc_u32 s58, s19, s42
	s_ashr_i32 s98, s97, 31
	s_add_u32 s65, s46, s97
	s_addc_u32 s66, s58, s98
	s_abs_i32 s46, s10
	v_readlane_b32 s58, v161, 20
	s_mul_hi_u32 s58, s46, s58
	s_mul_i32 s58, s58, s96
	s_sub_i32 s46, s46, s58
	s_sub_i32 s58, s46, s96
	s_cmp_ge_u32 s46, s96
	s_cselect_b32 s46, s58, s46
	s_sub_i32 s58, s46, s96
	s_cmp_ge_u32 s46, s96
	s_cselect_b32 s46, s58, s46
	s_xor_b32 s46, s46, s15
	s_sub_i32 s46, s46, s15
	s_ashr_i32 s58, s46, 31
	s_mul_i32 s58, s52, s58
	s_mul_hi_u32 s61, s52, s46
	s_add_i32 s58, s61, s58
	s_mul_i32 s61, s53, s46
	s_add_i32 s83, s58, s61
	s_mul_i32 s82, s52, s46
	s_mul_i32 s46, s36, s37
	s_add_u32 s78, s22, s82
	s_mul_i32 s46, s46, s10
	s_addc_u32 s79, s23, s83
	s_add_i32 s46, s14, s46
	s_lshl_b32 s62, s46, 5
	s_lshl_b64 s[74:75], s[62:63], 3
	s_add_u32 s74, s28, s74
	s_mul_hi_u32 s46, s50, s10
	s_mul_i32 s15, s50, s15
	s_addc_u32 s75, s29, s75
	s_add_i32 s15, s46, s15
	s_mul_i32 s46, s51, s10
	s_add_i32 s62, s15, s46
	s_mul_i32 s99, s50, s10
	s_add_u32 s10, s20, s99
	s_mul_i32 s61, s11, s43
	s_addc_u32 s15, s21, s62
	s_ashr_i32 s58, s61, 31
	s_add_u32 s46, s10, s61
	s_addc_u32 s64, s15, s58
	s_ashr_i32 s15, s14, 31
	s_lshl_b64 s[10:11], s[14:15], 2
	s_add_u32 s14, s24, s10
	s_addc_u32 s15, s25, s11
	v_readlane_b32 s10, v161, 5
	v_readlane_b32 s11, v161, 6
	s_and_b64 s[10:11], s[10:11], exec
	s_cselect_b32 s77, 0, s15
	s_cselect_b32 s76, 0, s14
	s_cmp_lg_u32 s84, 0
	v_or_b32_e32 v49, s2, v96
	s_cbranch_scc0 .LBB0_36
; %bb.15:                               ;   in Loop: Header=BB0_12 Depth=1
	s_lshl_b32 s69, s68, 2
	v_add_u32_e32 v2, s69, v95
	v_cmp_le_i32_e64 s[10:11], s36, v2
	v_cmp_le_i32_e64 s[14:15], s3, v49
	v_cmp_gt_i32_e32 vcc, s3, v49
	s_or_b64 s[10:11], s[10:11], s[14:15]
	s_and_saveexec_b64 s[14:15], s[10:11]
	s_xor_b64 s[10:11], exec, s[14:15]
; %bb.16:                               ;   in Loop: Header=BB0_12 Depth=1
	v_add_u32_e32 v2, v92, v21
	ds_write_b32 v2, v19
                                        ; implicit-def: $vgpr2
; %bb.17:                               ;   in Loop: Header=BB0_12 Depth=1
	s_andn2_saveexec_b64 s[10:11], s[10:11]
	s_cbranch_execz .LBB0_19
; %bb.18:                               ;   in Loop: Header=BB0_12 Depth=1
	v_mad_u64_u32 v[2:3], s[14:15], v2, s57, v[48:49]
	v_ashrrev_i32_e32 v3, 31, v2
	v_lshl_add_u64 v[2:3], v[2:3], 3, s[80:81]
	global_load_dwordx2 v[2:3], v[2:3], off
	s_waitcnt vmcnt(0)
	v_cvt_pk_f16_f32 v2, v2, v3
	v_pk_mul_f16 v2, v2, v93
	v_add_u32_e32 v3, v92, v21
	ds_write_b32 v3, v2
.LBB0_19:                               ;   in Loop: Header=BB0_12 Depth=1
	s_or_b64 exec, exec, s[10:11]
	v_add_u32_e32 v2, s69, v77
	v_cmp_le_i32_e64 s[10:11], s36, v2
	s_xor_b64 s[14:15], vcc, -1
	s_or_b64 s[10:11], s[10:11], s[14:15]
	s_and_saveexec_b64 s[86:87], s[10:11]
	s_xor_b64 s[10:11], exec, s[86:87]
; %bb.20:                               ;   in Loop: Header=BB0_12 Depth=1
	v_add_u32_e32 v2, v92, v78
	ds_write_b32 v2, v19
                                        ; implicit-def: $vgpr2
; %bb.21:                               ;   in Loop: Header=BB0_12 Depth=1
	s_andn2_saveexec_b64 s[10:11], s[10:11]
	s_cbranch_execz .LBB0_23
; %bb.22:                               ;   in Loop: Header=BB0_12 Depth=1
	v_mad_u64_u32 v[2:3], s[86:87], v2, s57, v[48:49]
	v_ashrrev_i32_e32 v3, 31, v2
	v_lshl_add_u64 v[2:3], v[2:3], 3, s[80:81]
	global_load_dwordx2 v[2:3], v[2:3], off
	s_waitcnt vmcnt(0)
	v_cvt_pk_f16_f32 v2, v2, v3
	v_pk_mul_f16 v2, v2, v93
	v_add_u32_e32 v3, v92, v78
	ds_write_b32 v3, v2
.LBB0_23:                               ;   in Loop: Header=BB0_12 Depth=1
	s_or_b64 exec, exec, s[10:11]
	v_add_u32_e32 v2, s69, v79
	v_cmp_le_i32_e32 vcc, s36, v2
	s_or_b64 s[10:11], vcc, s[14:15]
	s_and_saveexec_b64 s[86:87], s[10:11]
	s_xor_b64 s[10:11], exec, s[86:87]
; %bb.24:                               ;   in Loop: Header=BB0_12 Depth=1
	v_add_u32_e32 v2, v92, v78
	ds_write_b32 v2, v19 offset:1152
                                        ; implicit-def: $vgpr2
; %bb.25:                               ;   in Loop: Header=BB0_12 Depth=1
	s_andn2_saveexec_b64 s[10:11], s[10:11]
	s_cbranch_execz .LBB0_27
; %bb.26:                               ;   in Loop: Header=BB0_12 Depth=1
	v_mad_u64_u32 v[2:3], s[86:87], v2, s57, v[48:49]
	v_ashrrev_i32_e32 v3, 31, v2
	v_lshl_add_u64 v[2:3], v[2:3], 3, s[80:81]
	global_load_dwordx2 v[2:3], v[2:3], off
	s_waitcnt vmcnt(0)
	v_cvt_pk_f16_f32 v2, v2, v3
	v_pk_mul_f16 v2, v2, v93
	v_add_u32_e32 v3, v92, v78
	ds_write_b32 v3, v2 offset:1152
.LBB0_27:                               ;   in Loop: Header=BB0_12 Depth=1
	s_or_b64 exec, exec, s[10:11]
	v_add_u32_e32 v2, s69, v80
	v_cmp_le_i32_e32 vcc, s36, v2
	s_or_b64 s[10:11], vcc, s[14:15]
	s_and_saveexec_b64 s[14:15], s[10:11]
	s_xor_b64 s[10:11], exec, s[14:15]
; %bb.28:                               ;   in Loop: Header=BB0_12 Depth=1
	v_add_u32_e32 v2, v92, v78
	ds_write_b32 v2, v19 offset:2304
                                        ; implicit-def: $vgpr2
; %bb.29:                               ;   in Loop: Header=BB0_12 Depth=1
	s_andn2_saveexec_b64 s[10:11], s[10:11]
	s_cbranch_execz .LBB0_31
; %bb.30:                               ;   in Loop: Header=BB0_12 Depth=1
	v_mad_u64_u32 v[2:3], s[14:15], v2, s57, v[48:49]
	v_ashrrev_i32_e32 v3, 31, v2
	v_lshl_add_u64 v[2:3], v[2:3], 3, s[80:81]
	global_load_dwordx2 v[2:3], v[2:3], off
	s_waitcnt vmcnt(0)
	v_cvt_pk_f16_f32 v2, v2, v3
	v_pk_mul_f16 v2, v2, v93
	v_add_u32_e32 v3, v92, v78
	ds_write_b32 v3, v2 offset:2304
.LBB0_31:                               ;   in Loop: Header=BB0_12 Depth=1
	s_or_b64 exec, exec, s[10:11]
	s_waitcnt lgkmcnt(0)
	s_barrier
	ds_read2_b64 v[6:9], v15 offset1:4
	ds_read2_b64 v[2:5], v15 offset0:8 offset1:12
	s_add_i32 s85, s67, -1
	s_cmp_ge_i32 s84, s85
	s_waitcnt lgkmcnt(0)
	s_barrier
	s_cbranch_scc1 .LBB0_37
; %bb.32:                               ;   in Loop: Header=BB0_12 Depth=1
	v_add_u32_e32 v10, s69, v43
	v_mul_hi_u32 v11, s44, v10
	v_and_b32_e32 v12, 64, v102
	v_add_u32_e32 v11, v10, v11
	v_add_u32_e32 v12, 64, v12
	v_xor_b32_e32 v13, 32, v102
	v_lshrrev_b32_e32 v11, s45, v11
	v_cmp_lt_i32_e32 vcc, v13, v12
	v_mul_lo_u32 v11, v11, s36
	v_readlane_b32 s10, v161, 21
	v_cndmask_b32_e32 v13, v102, v13, vcc
	v_sub_u32_e32 v10, v10, v11
	v_readlane_b32 s11, v161, 22
	v_lshlrev_b32_e32 v58, 2, v13
	v_xor_b32_e32 v13, 16, v102
	v_mad_i64_i32 v[10:11], s[10:11], v10, s10, 0
	v_cmp_lt_i32_e32 vcc, v13, v12
	v_lshl_add_u64 v[10:11], v[10:11], 1, s[78:79]
	v_lshlrev_b32_e32 v18, 1, v14
	v_cndmask_b32_e32 v12, v102, v13, vcc
	v_lshl_add_u64 v[10:11], v[10:11], 0, v[18:19]
	v_lshlrev_b32_e32 v106, 2, v12
	s_lshl_b32 s10, s84, 6
	v_mov_b32_e32 v63, 0
	v_mov_b32_e32 v108, 0xfeffffff
	;; [unrolled: 1-line block ×10, first 2 shown]
	s_ashr_i32 s11, s10, 31
	s_and_saveexec_b64 s[14:15], s[0:1]
	s_cbranch_execz .LBB0_34
.LBB0_33:                               ;   in Loop: Header=BB0_12 Depth=1
	v_lshl_add_u64 v[110:111], s[10:11], 1, v[10:11]
	global_load_dword v18, v[110:111], off
	s_waitcnt vmcnt(0)
	ds_write_b32 v45, v18 offset:9216
.LBB0_34:                               ;   Parent Loop BB0_12 Depth=1
                                        ; =>  This Inner Loop Header: Depth=2
	s_or_b64 exec, exec, s[14:15]
	s_mul_hi_i32 s15, s10, s38
	s_mul_i32 s14, s10, s38
	s_lshl_b64 s[14:15], s[14:15], 2
	s_add_u32 s14, s65, s14
	s_addc_u32 s15, s66, s15
	v_lshl_add_u64 v[110:111], v[22:23], 2, s[14:15]
	v_lshlrev_b32_e32 v18, 2, v20
	v_lshl_add_u64 v[112:113], v[24:25], 2, s[14:15]
	v_lshl_add_u64 v[110:111], v[110:111], 0, v[18:19]
	;; [unrolled: 1-line block ×3, first 2 shown]
	global_load_dwordx4 v[110:113], v[110:111], off
	s_nop 0
	global_load_dwordx4 v[114:117], v[114:115], off
	v_add_u32_e32 v105, v66, v67
	v_add_u32_e32 v109, 0x1000, v105
	;; [unrolled: 1-line block ×3, first 2 shown]
	s_mul_hi_i32 s15, s10, s34
	s_mul_i32 s14, s10, s34
	s_lshl_b64 s[14:15], s[14:15], 2
	s_add_u32 s14, s46, s14
	s_addc_u32 s15, s64, s15
	s_add_i32 s84, s84, 1
	s_add_i32 s10, s10, 64
	s_cmp_lt_i32 s84, s85
	s_waitcnt vmcnt(1)
	ds_write_b128 v64, v[110:113]
	s_waitcnt vmcnt(0)
	ds_write_b128 v94, v[114:117]
	s_waitcnt lgkmcnt(0)
	s_barrier
	ds_read2_b64 v[110:113], v105 offset1:4
	ds_read2_b64 v[118:121], v109 offset0:64 offset1:68
	s_waitcnt lgkmcnt(1)
	v_mfma_f32_16x16x16_f16 v[114:117], v[110:111], v[6:7], 0
	ds_read2_b64 v[126:129], v105 offset0:8 offset1:12
	v_mfma_f32_16x16x16_f16 v[110:113], v[112:113], v[8:9], v[114:117]
	s_nop 5
	ds_read2_b64 v[114:117], v109 offset0:72 offset1:76
	s_waitcnt lgkmcnt(2)
	v_mfma_f32_16x16x16_f16 v[122:125], v[118:119], v[6:7], 0
	s_waitcnt lgkmcnt(0)
	s_barrier
	v_mfma_f32_16x16x16_f16 v[118:121], v[120:121], v[8:9], v[122:125]
	v_mfma_f32_16x16x16_f16 v[110:113], v[126:127], v[2:3], v[110:113]
	s_nop 3
	ds_read2_b32 v[122:123], v130 offset1:1
	ds_read_b32 v105, v69 offset:9216
	ds_read_b32 v109, v70 offset:9216
	s_waitcnt lgkmcnt(2)
	v_cvt_f32_f16_e32 v124, v122
	v_mfma_f32_16x16x16_f16 v[118:121], v[114:115], v[2:3], v[118:121]
	v_cvt_f32_f16_sdwa v122, v122 dst_sel:DWORD dst_unused:UNUSED_PAD src0_sel:WORD_1
	v_cvt_f32_f16_e32 v125, v123
	v_cvt_f32_f16_sdwa v123, v123 dst_sel:DWORD dst_unused:UNUSED_PAD src0_sel:WORD_1
	v_mfma_f32_16x16x16_f16 v[110:113], v[128:129], v[4:5], v[110:113]
	s_waitcnt lgkmcnt(1)
	v_cvt_f32_f16_e32 v126, v105
	v_cvt_f32_f16_sdwa v105, v105 dst_sel:DWORD dst_unused:UNUSED_PAD src0_sel:WORD_1
	s_waitcnt lgkmcnt(0)
	v_cvt_f32_f16_e32 v127, v109
	v_mfma_f32_16x16x16_f16 v[114:117], v[116:117], v[4:5], v[118:121]
	v_cvt_f32_f16_sdwa v109, v109 dst_sel:DWORD dst_unused:UNUSED_PAD src0_sel:WORD_1
	s_nop 1
	v_add_f32_e32 v118, v110, v124
	v_add_f32_e32 v119, v111, v122
	;; [unrolled: 1-line block ×4, first 2 shown]
	s_nop 0
	v_add_f32_e32 v123, v115, v105
	v_add_f32_e32 v105, 0x40051340, v118
	;; [unrolled: 1-line block ×6, first 2 shown]
	v_max3_f32 v105, v108, v105, v110
	v_add_f32_e32 v124, v116, v127
	v_add_f32_e32 v109, v117, v109
	;; [unrolled: 1-line block ×4, first 2 shown]
	v_max3_f32 v105, v105, v111, v112
	v_add_f32_e32 v115, 0x40051340, v124
	v_add_f32_e32 v116, 0x40051340, v109
	v_max3_f32 v105, v105, v113, v114
	v_max3_f32 v105, v105, v115, v116
	ds_bpermute_b32 v114, v58, v105
	v_lshl_add_u64 v[110:111], v[26:27], 2, s[14:15]
	v_lshl_add_u64 v[112:113], v[28:29], 2, s[14:15]
	;; [unrolled: 1-line block ×3, first 2 shown]
	s_waitcnt lgkmcnt(0)
	v_max_f32_e32 v114, v114, v114
	v_max_f32_e32 v105, v105, v114
	v_lshl_add_u64 v[114:115], v[112:113], 0, v[18:19]
	global_load_dwordx4 v[110:113], v[110:111], off
	s_nop 0
	global_load_dwordx4 v[114:117], v[114:115], off
	ds_bpermute_b32 v125, v106, v105
	s_waitcnt vmcnt(1)
	ds_write_b128 v64, v[110:113]
	s_waitcnt vmcnt(0)
	ds_write_b128 v94, v[114:117]
	s_waitcnt lgkmcnt(2)
	v_max_f32_e32 v18, v125, v125
	v_max_f32_e32 v105, v105, v18
	v_sub_f32_e32 v18, v118, v105
	v_sub_f32_e32 v118, v119, v105
	;; [unrolled: 1-line block ×5, first 2 shown]
	v_mul_f32_e32 v122, 0x3fb8aa3b, v18
	v_mul_f32_e32 v125, 0x3fb8aa3b, v118
	v_fma_f32 v129, v18, s47, -v122
	v_rndne_f32_e32 v130, v122
	v_mul_f32_e32 v126, 0x3fb8aa3b, v119
	v_fma_f32 v131, v118, s47, -v125
	v_rndne_f32_e32 v132, v125
	v_fmac_f32_e32 v129, 0x32a5705f, v18
	v_sub_f32_e32 v122, v122, v130
	v_fma_f32 v133, v119, s47, -v126
	v_rndne_f32_e32 v134, v126
	v_fmac_f32_e32 v131, 0x32a5705f, v118
	v_sub_f32_e32 v125, v125, v132
	v_add_f32_e32 v122, v122, v129
	v_cvt_i32_f32_e32 v130, v130
	v_fmac_f32_e32 v133, 0x32a5705f, v119
	v_sub_f32_e32 v126, v126, v134
	v_add_f32_e32 v125, v125, v131
	v_exp_f32_e32 v122, v122
	v_cvt_i32_f32_e32 v132, v132
	v_add_f32_e32 v126, v126, v133
	v_exp_f32_e32 v125, v125
	v_cvt_i32_f32_e32 v134, v134
	v_exp_f32_e32 v126, v126
	v_mul_f32_e32 v127, 0x3fb8aa3b, v120
	v_mul_f32_e32 v128, 0x3fb8aa3b, v121
	v_fma_f32 v135, v120, s47, -v127
	v_rndne_f32_e32 v136, v127
	v_ldexp_f32 v122, v122, v130
	v_cmp_ngt_f32_e32 vcc, s33, v18
	v_fma_f32 v137, v121, s47, -v128
	v_rndne_f32_e32 v138, v128
	v_fmac_f32_e32 v135, 0x32a5705f, v120
	v_sub_f32_e32 v127, v127, v136
	v_ldexp_f32 v125, v125, v132
	v_cndmask_b32_e32 v122, 0, v122, vcc
	v_cmp_ngt_f32_e32 vcc, s33, v118
	v_fmac_f32_e32 v137, 0x32a5705f, v121
	v_sub_f32_e32 v128, v128, v138
	v_add_f32_e32 v127, v127, v135
	v_ldexp_f32 v126, v126, v134
	v_cndmask_b32_e32 v125, 0, v125, vcc
	v_cmp_ngt_f32_e32 vcc, s33, v119
	v_cvt_i32_f32_e32 v136, v136
	v_add_f32_e32 v128, v128, v137
	v_exp_f32_e32 v127, v127
	v_cndmask_b32_e32 v126, 0, v126, vcc
	v_cmp_nlt_f32_e32 vcc, s8, v18
	v_exp_f32_e32 v128, v128
	v_ldexp_f32 v127, v127, v136
	v_cndmask_b32_e32 v18, v103, v122, vcc
	v_cvt_i32_f32_e32 v122, v138
	v_cmp_nlt_f32_e32 vcc, s8, v118
	v_sub_f32_e32 v109, v109, v105
	v_sub_f32_e32 v108, v108, v105
	v_cndmask_b32_e32 v118, v103, v125, vcc
	v_cmp_nlt_f32_e32 vcc, s8, v119
	s_waitcnt lgkmcnt(0)
	s_barrier
	v_cndmask_b32_e32 v119, v103, v126, vcc
	v_cmp_ngt_f32_e32 vcc, s33, v120
	s_nop 1
	v_cndmask_b32_e32 v125, 0, v127, vcc
	v_cmp_nlt_f32_e32 vcc, s8, v120
	v_ldexp_f32 v120, v128, v122
	v_sub_f32_e32 v122, v123, v105
	v_mul_f32_e32 v123, 0x3fb8aa3b, v122
	v_cndmask_b32_e32 v126, v103, v125, vcc
	v_fma_f32 v125, v122, s47, -v123
	v_rndne_f32_e32 v127, v123
	v_fmac_f32_e32 v125, 0x32a5705f, v122
	v_sub_f32_e32 v123, v123, v127
	v_add_f32_e32 v123, v123, v125
	v_exp_f32_e32 v123, v123
	v_cvt_i32_f32_e32 v125, v127
	v_cmp_ngt_f32_e32 vcc, s33, v121
	s_nop 1
	v_cndmask_b32_e32 v120, 0, v120, vcc
	v_cmp_nlt_f32_e32 vcc, s8, v121
	v_sub_f32_e32 v121, v124, v105
	s_nop 0
	v_cndmask_b32_e32 v127, v103, v120, vcc
	v_ldexp_f32 v120, v123, v125
	v_mul_f32_e32 v123, 0x3fb8aa3b, v121
	v_fma_f32 v124, v121, s47, -v123
	v_rndne_f32_e32 v125, v123
	v_fmac_f32_e32 v124, 0x32a5705f, v121
	v_sub_f32_e32 v123, v123, v125
	v_add_f32_e32 v123, v123, v124
	v_exp_f32_e32 v123, v123
	v_cvt_i32_f32_e32 v124, v125
	v_cmp_ngt_f32_e32 vcc, s33, v122
	s_nop 1
	v_cndmask_b32_e32 v120, 0, v120, vcc
	v_cmp_nlt_f32_e32 vcc, s8, v122
	v_mul_f32_e32 v122, 0x3fb8aa3b, v109
	s_nop 0
	v_cndmask_b32_e32 v128, v103, v120, vcc
	v_ldexp_f32 v120, v123, v124
	v_fma_f32 v123, v109, s47, -v122
	v_rndne_f32_e32 v124, v122
	v_fmac_f32_e32 v123, 0x32a5705f, v109
	v_sub_f32_e32 v122, v122, v124
	v_add_f32_e32 v122, v122, v123
	v_cvt_i32_f32_e32 v123, v124
	v_mul_f32_e32 v124, 0x3fb8aa3b, v108
	v_fma_f32 v125, v108, s47, -v124
	v_rndne_f32_e32 v129, v124
	v_fmac_f32_e32 v125, 0x32a5705f, v108
	v_sub_f32_e32 v124, v124, v129
	v_add_f32_e32 v124, v124, v125
	v_exp_f32_e32 v124, v124
	v_cvt_i32_f32_e32 v125, v129
	v_cmp_ngt_f32_e32 vcc, s33, v121
	v_exp_f32_e32 v122, v122
	s_nop 0
	v_cndmask_b32_e32 v120, 0, v120, vcc
	v_cmp_nlt_f32_e32 vcc, s8, v121
	v_ldexp_f32 v121, v124, v125
	v_cvt_pk_f16_f32 v124, v127, v128
	v_cndmask_b32_e32 v129, v103, v120, vcc
	v_cmp_ngt_f32_e32 vcc, s33, v108
	v_ldexp_f32 v120, v122, v123
	v_cvt_pk_f16_f32 v123, v119, v126
	v_cndmask_b32_e32 v121, 0, v121, vcc
	v_cmp_nlt_f32_e32 vcc, s8, v108
	v_cvt_pk_f16_f32 v122, v18, v118
	v_add_f32_e32 v18, v18, v118
	v_cndmask_b32_e32 v121, v103, v121, vcc
	v_cmp_le_f32_e32 vcc, s9, v108
	v_add_f32_e32 v18, v119, v18
	v_add_f32_e32 v18, v126, v18
	v_cndmask_b32_e32 v130, 0, v121, vcc
	v_cvt_f16_f32_e32 v108, v130
	v_cmp_ngt_f32_e32 vcc, s33, v109
	v_add_f32_e32 v18, v127, v18
	v_add_f32_e32 v18, v128, v18
	v_cndmask_b32_e32 v120, 0, v120, vcc
	v_cmp_nlt_f32_e32 vcc, s8, v109
	v_add_f32_e32 v18, v129, v18
	s_nop 0
	v_cndmask_b32_e32 v131, v103, v120, vcc
	v_mul_u32_u24_e32 v120, 0x10001, v108
	v_pk_mul_f16 v63, v63, v120
	v_pk_mul_f16 v104, v104, v120
	v_cvt_f32_f16_e32 v108, v63
	v_cvt_f32_f16_sdwa v109, v63 dst_sel:DWORD dst_unused:UNUSED_PAD src0_sel:WORD_1
	ds_read_u16 v63, v72
	ds_read_u16 v117, v72 offset:32
	ds_read_u16 v114, v72 offset:4608
	;; [unrolled: 1-line block ×7, first 2 shown]
	ds_read_u16 v111, v73
	ds_read_u16 v136, v73 offset:32
	ds_read_u16 v115, v73 offset:4608
	;; [unrolled: 1-line block ×7, first 2 shown]
	s_waitcnt lgkmcnt(7)
	v_perm_b32 v113, v111, v63, s88
	ds_read_u16 v63, v71 offset:144
	ds_read_u16 v111, v71
	ds_read_u16 v142, v71 offset:32
	ds_read_u16 v143, v71 offset:176
	;; [unrolled: 1-line block ×6, first 2 shown]
	s_waitcnt lgkmcnt(6)
	v_perm_b32 v112, v63, v111, s88
	v_cvt_f32_f16_e32 v110, v104
	v_cvt_f32_f16_sdwa v111, v104 dst_sel:DWORD dst_unused:UNUSED_PAD src0_sel:WORD_1
	v_pk_mul_f16 v104, v62, v120
	v_cvt_pk_f16_f32 v125, v129, v131
	v_mfma_f32_16x16x16_f16 v[108:111], v[112:113], v[122:123], v[108:111]
	v_pk_mul_f16 v61, v61, v120
	v_pk_mul_f16 v59, v59, v120
	v_cvt_f32_f16_e32 v116, v61
	v_pk_mul_f16 v12, v12, v120
	s_nop 3
	v_cvt_f16_f32_e32 v62, v108
	v_cvt_f16_f32_e32 v63, v109
	;; [unrolled: 1-line block ×4, first 2 shown]
	v_cvt_f32_f16_e32 v108, v62
	ds_read_u16 v62, v71 offset:4608
	ds_read_u16 v112, v71 offset:4752
	;; [unrolled: 1-line block ×8, first 2 shown]
	v_cvt_f32_f16_e32 v109, v63
	v_perm_b32 v63, v115, v114, s88
	s_waitcnt lgkmcnt(6)
	v_perm_b32 v62, v112, v62, s88
	v_cvt_f32_f16_e32 v110, v110
	v_cvt_f32_f16_e32 v111, v111
	;; [unrolled: 1-line block ×3, first 2 shown]
	v_cvt_f32_f16_sdwa v115, v104 dst_sel:DWORD dst_unused:UNUSED_PAD src0_sel:WORD_1
	v_mfma_f32_16x16x16_f16 v[110:113], v[62:63], v[124:125], v[108:111]
	v_perm_b32 v63, v136, v117, s88
	v_perm_b32 v62, v143, v142, s88
	v_cvt_f32_f16_sdwa v117, v61 dst_sel:DWORD dst_unused:UNUSED_PAD src0_sel:WORD_1
	v_perm_b32 v109, v138, v132, s88
	v_perm_b32 v108, v145, v144, s88
	v_mfma_f32_16x16x16_f16 v[114:117], v[62:63], v[122:123], v[114:117]
	s_waitcnt lgkmcnt(0)
	s_barrier
	s_nop 5
	v_cvt_f16_f32_e32 v62, v115
	v_cvt_f16_f32_e32 v63, v116
	;; [unrolled: 1-line block ×4, first 2 shown]
	v_cvt_f32_f16_e32 v115, v62
	v_cvt_f32_f16_e32 v116, v63
	v_perm_b32 v63, v137, v121, s88
	v_perm_b32 v62, v149, v148, s88
	v_cvt_f32_f16_e32 v114, v61
	v_cvt_f32_f16_e32 v117, v104
	v_pk_mul_f16 v61, v60, v120
	v_cvt_pk_f16_f32 v104, v112, v113
	v_mfma_f32_16x16x16_f16 v[114:117], v[62:63], v[124:125], v[114:117]
	v_cvt_f32_f16_e32 v60, v61
	v_cvt_f32_f16_sdwa v61, v61 dst_sel:DWORD dst_unused:UNUSED_PAD src0_sel:WORD_1
	v_cvt_f32_f16_e32 v62, v59
	v_cvt_f32_f16_sdwa v63, v59 dst_sel:DWORD dst_unused:UNUSED_PAD src0_sel:WORD_1
	s_nop 1
	v_mfma_f32_16x16x16_f16 v[60:63], v[108:109], v[122:123], v[60:63]
	v_perm_b32 v109, v139, v133, s88
	v_perm_b32 v108, v151, v150, s88
	s_nop 5
	v_cvt_f16_f32_e32 v59, v60
	v_cvt_f16_f32_e32 v61, v61
	;; [unrolled: 1-line block ×4, first 2 shown]
	v_cvt_f32_f16_e32 v60, v59
	v_cvt_f32_f16_e32 v61, v61
	;; [unrolled: 1-line block ×4, first 2 shown]
	v_pk_mul_f16 v59, v13, v120
	v_perm_b32 v13, v141, v135, s88
	v_mfma_f32_16x16x16_f16 v[118:121], v[108:109], v[124:125], v[60:63]
	v_add_f32_e32 v108, v131, v18
	v_fmac_f32_e32 v108, v107, v130
	s_nop 0
	v_cvt_f32_f16_e32 v60, v12
	v_cvt_f32_f16_sdwa v61, v12 dst_sel:DWORD dst_unused:UNUSED_PAD src0_sel:WORD_1
	v_perm_b32 v12, v146, v147, s88
	v_cvt_f32_f16_e32 v62, v59
	v_cvt_f32_f16_sdwa v63, v59 dst_sel:DWORD dst_unused:UNUSED_PAD src0_sel:WORD_1
	s_nop 1
	v_mfma_f32_16x16x16_f16 v[60:63], v[12:13], v[122:123], v[60:63]
	s_nop 7
	v_cvt_f16_f32_e32 v12, v60
	v_cvt_f16_f32_e32 v13, v61
	;; [unrolled: 1-line block ×4, first 2 shown]
	v_cvt_f32_f16_e32 v60, v12
	v_cvt_f32_f16_e32 v61, v13
	v_perm_b32 v13, v140, v134, s88
	v_perm_b32 v12, v152, v153, s88
	v_cvt_f32_f16_e32 v62, v59
	v_cvt_f32_f16_e32 v63, v63
	v_cvt_pk_f16_f32 v59, v120, v121
	s_nop 0
	v_mfma_f32_16x16x16_f16 v[122:125], v[12:13], v[124:125], v[60:63]
	s_nop 2
	v_cvt_pk_f16_f32 v63, v110, v111
	v_cvt_pk_f16_f32 v62, v114, v115
	;; [unrolled: 1-line block ×4, first 2 shown]
	s_nop 0
	v_cvt_pk_f16_f32 v12, v122, v123
	v_cvt_pk_f16_f32 v13, v124, v125
	s_cbranch_scc0 .LBB0_38
; %bb.35:                               ;   in Loop: Header=BB0_34 Depth=2
	v_mov_b32_e32 v107, v108
	v_mov_b32_e32 v108, v105
	s_ashr_i32 s11, s10, 31
	s_and_saveexec_b64 s[14:15], s[0:1]
	s_cbranch_execnz .LBB0_33
	s_branch .LBB0_34
.LBB0_36:                               ;   in Loop: Header=BB0_12 Depth=1
	s_cbranch_execz .LBB0_11
	s_branch .LBB0_91
.LBB0_37:                               ;   in Loop: Header=BB0_12 Depth=1
	v_mov_b32_e32 v105, 0xfeffffff
	v_mov_b32_e32 v108, 0
	;; [unrolled: 1-line block ×10, first 2 shown]
.LBB0_38:                               ;   in Loop: Header=BB0_12 Depth=1
	s_lshl_b32 s10, s84, 6
	s_ashr_i32 s11, s10, 31
	s_and_saveexec_b64 s[14:15], s[0:1]
	s_cbranch_execz .LBB0_40
; %bb.39:                               ;   in Loop: Header=BB0_12 Depth=1
	v_or_b32_e32 v10, s69, v43
	v_mul_hi_u32 v11, s44, v10
	v_add_u32_e32 v11, v10, v11
	v_lshrrev_b32_e32 v11, s45, v11
	s_lshl_b64 s[84:85], s[10:11], 1
	v_mul_lo_u32 v11, v11, s36
	v_readlane_b32 s86, v161, 21
	s_add_u32 s84, s78, s84
	v_sub_u32_e32 v10, v10, v11
	v_readlane_b32 s87, v161, 22
	s_addc_u32 s85, s79, s85
	v_mad_i64_i32 v[10:11], s[86:87], v10, s86, 0
	v_lshl_add_u64 v[10:11], v[10:11], 1, s[84:85]
	v_lshlrev_b32_e32 v18, 1, v14
	v_lshl_add_u64 v[10:11], v[10:11], 0, v[18:19]
	global_load_dword v10, v[10:11], off
	s_waitcnt vmcnt(0)
	ds_write_b32 v45, v10 offset:9216
.LBB0_40:                               ;   in Loop: Header=BB0_12 Depth=1
	s_or_b64 exec, exec, s[14:15]
	s_mul_hi_i32 s15, s10, s38
	s_mul_i32 s14, s10, s38
	s_lshl_b64 s[14:15], s[14:15], 2
	s_add_u32 s14, s65, s14
	s_addc_u32 s15, s66, s15
	v_lshl_add_u64 v[10:11], v[22:23], 2, s[14:15]
	v_lshlrev_b32_e32 v18, 2, v20
	v_lshl_add_u64 v[10:11], v[10:11], 0, v[18:19]
	v_lshl_add_u64 v[106:107], v[24:25], 2, s[14:15]
	;; [unrolled: 1-line block ×3, first 2 shown]
	global_load_dwordx4 v[110:113], v[10:11], off
	global_load_dwordx4 v[114:117], v[106:107], off
	v_add_u32_e32 v10, v66, v67
	v_add_u32_e32 v11, 0x1000, v10
	;; [unrolled: 1-line block ×3, first 2 shown]
	v_and_b32_e32 v106, 64, v102
	v_xor_b32_e32 v107, 32, v102
	v_add_u32_e32 v106, 64, v106
	v_cmp_lt_i32_e32 vcc, v107, v106
	s_mul_hi_i32 s11, s10, s34
	s_mul_i32 s10, s10, s34
	v_cndmask_b32_e32 v107, v102, v107, vcc
	v_lshlrev_b32_e32 v107, 2, v107
	s_lshl_b64 s[10:11], s[10:11], 2
	s_add_u32 s10, s46, s10
	s_addc_u32 s11, s64, s11
	s_cmp_lg_u64 s[76:77], 0
	s_waitcnt vmcnt(1)
	ds_write_b128 v64, v[110:113]
	s_waitcnt vmcnt(0)
	ds_write_b128 v94, v[114:117]
	s_waitcnt lgkmcnt(0)
	s_barrier
	ds_read2_b64 v[110:113], v10 offset1:4
	ds_read2_b64 v[114:117], v11 offset0:64 offset1:68
	s_waitcnt lgkmcnt(1)
	v_mfma_f32_16x16x16_f16 v[118:121], v[110:111], v[6:7], 0
	ds_read2_b64 v[126:129], v10 offset0:8 offset1:12
	v_mfma_f32_16x16x16_f16 v[110:113], v[112:113], v[8:9], v[118:121]
	s_nop 5
	ds_read2_b64 v[118:121], v11 offset0:72 offset1:76
	s_waitcnt lgkmcnt(2)
	v_mfma_f32_16x16x16_f16 v[122:125], v[114:115], v[6:7], 0
	s_waitcnt lgkmcnt(0)
	s_barrier
	v_mfma_f32_16x16x16_f16 v[6:9], v[116:117], v[8:9], v[122:125]
	ds_read2_b32 v[10:11], v58 offset1:1
	ds_read_b32 v58, v69 offset:9216
	ds_read_b32 v109, v70 offset:9216
	s_waitcnt lgkmcnt(2)
	v_cvt_f32_f16_e32 v114, v10
	v_mfma_f32_16x16x16_f16 v[110:113], v[126:127], v[2:3], v[110:113]
	v_cvt_f32_f16_sdwa v10, v10 dst_sel:DWORD dst_unused:UNUSED_PAD src0_sel:WORD_1
	v_cvt_f32_f16_e32 v115, v11
	v_cvt_f32_f16_sdwa v11, v11 dst_sel:DWORD dst_unused:UNUSED_PAD src0_sel:WORD_1
	v_mfma_f32_16x16x16_f16 v[6:9], v[118:119], v[2:3], v[6:9]
	s_waitcnt lgkmcnt(1)
	v_cvt_f32_f16_e32 v116, v58
	v_cvt_f32_f16_sdwa v58, v58 dst_sel:DWORD dst_unused:UNUSED_PAD src0_sel:WORD_1
	s_waitcnt lgkmcnt(0)
	v_cvt_f32_f16_e32 v117, v109
	v_mfma_f32_16x16x16_f16 v[110:113], v[128:129], v[4:5], v[110:113]
	v_cvt_f32_f16_sdwa v109, v109 dst_sel:DWORD dst_unused:UNUSED_PAD src0_sel:WORD_1
	v_mfma_f32_16x16x16_f16 v[2:5], v[120:121], v[4:5], v[6:9]
	s_nop 5
	v_add_f32_e32 v6, v110, v114
	v_add_f32_e32 v7, v111, v10
	;; [unrolled: 1-line block ×12, first 2 shown]
	v_max3_f32 v3, v105, v3, v4
	v_add_f32_e32 v110, 0x40051340, v2
	v_add_f32_e32 v111, 0x40051340, v10
	v_max3_f32 v3, v3, v5, v58
	v_add_f32_e32 v112, 0x40051340, v11
	v_add_f32_e32 v113, 0x40051340, v109
	v_max3_f32 v3, v3, v110, v111
	v_max3_f32 v3, v3, v112, v113
	ds_bpermute_b32 v4, v107, v3
	v_xor_b32_e32 v5, 16, v102
	v_cmp_lt_i32_e32 vcc, v5, v106
	s_waitcnt lgkmcnt(0)
	v_max_f32_e32 v4, v4, v4
	v_cndmask_b32_e32 v5, v102, v5, vcc
	v_lshlrev_b32_e32 v106, 2, v5
	v_max_f32_e32 v3, v3, v4
	ds_bpermute_b32 v4, v106, v3
	s_waitcnt lgkmcnt(0)
	v_max_f32_e32 v4, v4, v4
	v_max_f32_e32 v58, v3, v4
	v_sub_f32_e32 v3, v6, v58
	v_sub_f32_e32 v4, v7, v58
	;; [unrolled: 1-line block ×3, first 2 shown]
	v_mul_f32_e32 v2, 0x3fb8aa3b, v3
	v_sub_f32_e32 v5, v8, v58
	v_mul_f32_e32 v6, 0x3fb8aa3b, v4
	v_fma_f32 v112, v3, s47, -v2
	v_rndne_f32_e32 v113, v2
	v_sub_f32_e32 v110, v9, v58
	v_mul_f32_e32 v7, 0x3fb8aa3b, v5
	v_fma_f32 v114, v4, s47, -v6
	v_rndne_f32_e32 v115, v6
	v_fmac_f32_e32 v112, 0x32a5705f, v3
	v_sub_f32_e32 v2, v2, v113
	v_mul_f32_e32 v8, 0x3fb8aa3b, v110
	v_fma_f32 v116, v5, s47, -v7
	v_rndne_f32_e32 v117, v7
	v_fmac_f32_e32 v114, 0x32a5705f, v4
	v_sub_f32_e32 v6, v6, v115
	v_add_f32_e32 v2, v2, v112
	v_fma_f32 v118, v110, s47, -v8
	v_rndne_f32_e32 v119, v8
	v_cvt_i32_f32_e32 v113, v113
	v_fmac_f32_e32 v116, 0x32a5705f, v5
	v_sub_f32_e32 v7, v7, v117
	v_add_f32_e32 v6, v6, v114
	v_exp_f32_e32 v2, v2
	v_cvt_i32_f32_e32 v115, v115
	v_fmac_f32_e32 v118, 0x32a5705f, v110
	v_sub_f32_e32 v8, v8, v119
	v_add_f32_e32 v7, v7, v116
	v_exp_f32_e32 v6, v6
	v_cvt_i32_f32_e32 v117, v117
	v_add_f32_e32 v8, v8, v118
	v_exp_f32_e32 v7, v7
	v_cvt_i32_f32_e32 v119, v119
	v_exp_f32_e32 v8, v8
	v_ldexp_f32 v2, v2, v113
	v_cmp_ngt_f32_e32 vcc, s33, v3
	v_ldexp_f32 v6, v6, v115
	v_ldexp_f32 v7, v7, v117
	v_cndmask_b32_e32 v2, 0, v2, vcc
	v_cmp_ngt_f32_e32 vcc, s33, v4
	v_ldexp_f32 v8, v8, v119
	v_mul_f32_e32 v9, 0x3fb8aa3b, v111
	v_cndmask_b32_e32 v6, 0, v6, vcc
	v_cmp_ngt_f32_e32 vcc, s33, v5
	v_fma_f32 v120, v111, s47, -v9
	v_rndne_f32_e32 v121, v9
	v_cndmask_b32_e32 v7, 0, v7, vcc
	v_cmp_ngt_f32_e32 vcc, s33, v110
	v_fmac_f32_e32 v120, 0x32a5705f, v111
	v_sub_f32_e32 v9, v9, v121
	v_cndmask_b32_e32 v113, 0, v8, vcc
	v_cmp_nlt_f32_e32 vcc, s8, v3
	v_add_f32_e32 v112, v9, v120
	v_sub_f32_e32 v10, v10, v58
	v_cndmask_b32_e32 v114, v103, v2, vcc
	v_cmp_nlt_f32_e32 vcc, s8, v4
	v_sub_f32_e32 v11, v11, v58
	v_sub_f32_e32 v109, v109, v58
	v_cndmask_b32_e32 v115, v103, v6, vcc
	v_cmp_nlt_f32_e32 vcc, s8, v5
	v_add_f32_e32 v2, v114, v115
	v_lshl_add_u64 v[4:5], v[28:29], 2, s[10:11]
	v_cndmask_b32_e32 v116, v103, v7, vcc
	v_add_f32_e32 v117, v116, v2
	v_lshl_add_u64 v[2:3], v[26:27], 2, s[10:11]
	v_lshl_add_u64 v[2:3], v[2:3], 0, v[18:19]
	;; [unrolled: 1-line block ×3, first 2 shown]
	global_load_dwordx4 v[2:5], v[2:3], off
	s_nop 0
	global_load_dwordx4 v[6:9], v[6:7], off
	v_exp_f32_e32 v18, v112
	v_cvt_i32_f32_e32 v112, v121
	v_cmp_nlt_f32_e32 vcc, s8, v110
	v_sub_f32_e32 v105, v105, v58
	s_waitcnt vmcnt(1)
	ds_write_b128 v64, v[2:5]
	s_waitcnt vmcnt(0)
	ds_write_b128 v94, v[6:9]
	v_cndmask_b32_e32 v110, v103, v113, vcc
	v_ldexp_f32 v18, v18, v112
	v_mul_f32_e32 v112, 0x3fb8aa3b, v10
	v_add_f32_e32 v113, v110, v117
	v_fma_f32 v117, v10, s47, -v112
	v_rndne_f32_e32 v118, v112
	v_fmac_f32_e32 v117, 0x32a5705f, v10
	v_sub_f32_e32 v112, v112, v118
	v_add_f32_e32 v112, v112, v117
	v_cmp_ngt_f32_e32 vcc, s33, v111
	v_exp_f32_e32 v112, v112
	v_cvt_i32_f32_e32 v117, v118
	v_cndmask_b32_e32 v18, 0, v18, vcc
	v_cmp_nlt_f32_e32 vcc, s8, v111
	s_waitcnt lgkmcnt(0)
	v_ldexp_f32 v112, v112, v117
	v_cndmask_b32_e32 v18, v103, v18, vcc
	v_add_f32_e32 v111, v18, v113
	v_mul_f32_e32 v113, 0x3fb8aa3b, v11
	v_fma_f32 v117, v11, s47, -v113
	v_rndne_f32_e32 v118, v113
	v_fmac_f32_e32 v117, 0x32a5705f, v11
	v_sub_f32_e32 v113, v113, v118
	v_add_f32_e32 v113, v113, v117
	v_exp_f32_e32 v113, v113
	v_cvt_i32_f32_e32 v117, v118
	v_cmp_ngt_f32_e32 vcc, s33, v10
	s_barrier
	s_nop 0
	v_cndmask_b32_e32 v112, 0, v112, vcc
	v_cmp_nlt_f32_e32 vcc, s8, v10
	s_cselect_b64 s[10:11], -1, 0
	s_and_b64 s[14:15], s[12:13], s[10:11]
	v_cndmask_b32_e32 v10, v103, v112, vcc
	v_ldexp_f32 v112, v113, v117
	v_cmp_ngt_f32_e32 vcc, s33, v11
	v_add_f32_e32 v111, v10, v111
	s_nop 0
	v_cndmask_b32_e32 v112, 0, v112, vcc
	v_cmp_nlt_f32_e32 vcc, s8, v11
	s_nop 1
	v_cndmask_b32_e32 v11, v103, v112, vcc
	v_mul_f32_e32 v112, 0x3fb8aa3b, v109
	v_fma_f32 v113, v109, s47, -v112
	v_rndne_f32_e32 v117, v112
	v_fmac_f32_e32 v113, 0x32a5705f, v109
	v_sub_f32_e32 v112, v112, v117
	v_add_f32_e32 v112, v112, v113
	v_cvt_i32_f32_e32 v113, v117
	v_mul_f32_e32 v117, 0x3fb8aa3b, v105
	v_fma_f32 v118, v105, s47, -v117
	v_rndne_f32_e32 v119, v117
	v_fmac_f32_e32 v118, 0x32a5705f, v105
	v_sub_f32_e32 v117, v117, v119
	v_exp_f32_e32 v112, v112
	v_add_f32_e32 v117, v117, v118
	v_exp_f32_e32 v117, v117
	v_cvt_i32_f32_e32 v118, v119
	v_ldexp_f32 v112, v112, v113
	v_cmp_ngt_f32_e32 vcc, s33, v109
	v_add_f32_e32 v111, v11, v111
	v_ldexp_f32 v113, v117, v118
	v_cndmask_b32_e32 v112, 0, v112, vcc
	v_cmp_ngt_f32_e32 vcc, s33, v105
	s_nop 1
	v_cndmask_b32_e32 v113, 0, v113, vcc
	v_cmp_nlt_f32_e32 vcc, s8, v105
	s_nop 1
	v_cndmask_b32_e32 v113, v103, v113, vcc
	v_cmp_le_f32_e32 vcc, s9, v105
	s_nop 1
	v_cndmask_b32_e32 v105, 0, v113, vcc
	v_cvt_f16_f32_e32 v113, v105
	v_cmp_nlt_f32_e32 vcc, s8, v109
	s_nop 1
	v_cndmask_b32_e32 v109, v103, v112, vcc
	v_mul_u32_u24_e32 v112, 0x10001, v113
	v_pk_mul_f16 v63, v63, v112
	v_pk_mul_f16 v104, v104, v112
	v_cvt_f32_f16_e32 v2, v63
	v_cvt_f32_f16_sdwa v3, v63 dst_sel:DWORD dst_unused:UNUSED_PAD src0_sel:WORD_1
	ds_read_u16 v5, v72
	ds_read_u16 v63, v72 offset:32
	ds_read_u16 v8, v72 offset:4608
	;; [unrolled: 1-line block ×7, first 2 shown]
	ds_read_u16 v6, v73
	ds_read_u16 v121, v73 offset:32
	ds_read_u16 v9, v73 offset:4608
	;; [unrolled: 1-line block ×7, first 2 shown]
	s_waitcnt lgkmcnt(7)
	v_perm_b32 v7, v6, v5, s88
	ds_read_u16 v5, v71 offset:144
	ds_read_u16 v6, v71
	ds_read_u16 v127, v71 offset:32
	ds_read_u16 v128, v71 offset:176
	;; [unrolled: 1-line block ×6, first 2 shown]
	s_waitcnt lgkmcnt(6)
	v_perm_b32 v6, v5, v6, s88
	v_cvt_f32_f16_e32 v4, v104
	v_cvt_f32_f16_sdwa v5, v104 dst_sel:DWORD dst_unused:UNUSED_PAD src0_sel:WORD_1
	v_add_f32_e32 v111, v109, v111
	v_fmac_f32_e32 v111, v108, v105
	v_cvt_pk_f16_f32 v105, v116, v110
	v_cvt_pk_f16_f32 v104, v114, v115
	;; [unrolled: 1-line block ×4, first 2 shown]
	v_mfma_f32_16x16x16_f16 v[2:5], v[6:7], v[104:105], v[2:5]
	v_perm_b32 v7, v9, v8, s88
	ds_read_u16 v6, v71 offset:4608
	ds_read_u16 v8, v71 offset:4752
	;; [unrolled: 1-line block ×8, first 2 shown]
	s_waitcnt lgkmcnt(6)
	v_perm_b32 v6, v8, v6, s88
	v_cvt_f16_f32_e32 v2, v2
	v_cvt_f16_f32_e32 v3, v3
	;; [unrolled: 1-line block ×4, first 2 shown]
	v_cvt_f32_f16_e32 v2, v2
	v_cvt_f32_f16_e32 v3, v3
	;; [unrolled: 1-line block ×4, first 2 shown]
	v_pk_mul_f16 v62, v62, v112
	v_pk_mul_f16 v61, v61, v112
	v_mfma_f32_16x16x16_f16 v[8:11], v[6:7], v[108:109], v[2:5]
	v_perm_b32 v7, v121, v63, s88
	v_perm_b32 v6, v128, v127, s88
	s_nop 0
	v_cvt_f32_f16_e32 v2, v62
	v_cvt_f32_f16_sdwa v3, v62 dst_sel:DWORD dst_unused:UNUSED_PAD src0_sel:WORD_1
	v_cvt_f32_f16_e32 v4, v61
	v_cvt_f32_f16_sdwa v5, v61 dst_sel:DWORD dst_unused:UNUSED_PAD src0_sel:WORD_1
	v_pk_mul_f16 v60, v60, v112
	v_pk_mul_f16 v18, v59, v112
	v_mfma_f32_16x16x16_f16 v[2:5], v[6:7], v[104:105], v[2:5]
	v_perm_b32 v7, v122, v113, s88
	s_waitcnt lgkmcnt(4)
	v_perm_b32 v6, v114, v110, s88
	v_pk_mul_f16 v59, v12, v112
	v_pk_mul_f16 v63, v13, v112
	s_nop 2
	v_cvt_f16_f32_e32 v2, v2
	v_cvt_f16_f32_e32 v3, v3
	;; [unrolled: 1-line block ×4, first 2 shown]
	v_cvt_f32_f16_e32 v2, v2
	v_cvt_f32_f16_e32 v3, v3
	;; [unrolled: 1-line block ×4, first 2 shown]
	v_cvt_f16_f32_e32 v61, v10
	v_cvt_f16_f32_e32 v62, v11
	v_mfma_f32_16x16x16_f16 v[10:13], v[6:7], v[108:109], v[2:5]
	v_perm_b32 v7, v123, v117, s88
	v_perm_b32 v6, v130, v129, s88
	s_nop 0
	v_cvt_f32_f16_e32 v2, v60
	v_cvt_f32_f16_sdwa v3, v60 dst_sel:DWORD dst_unused:UNUSED_PAD src0_sel:WORD_1
	v_cvt_f32_f16_e32 v4, v18
	v_cvt_f32_f16_sdwa v5, v18 dst_sel:DWORD dst_unused:UNUSED_PAD src0_sel:WORD_1
	v_perm_b32 v18, v62, v61, s88
	v_cvt_f16_f32_e32 v12, v12
	v_mfma_f32_16x16x16_f16 v[2:5], v[6:7], v[104:105], v[2:5]
	v_perm_b32 v7, v124, v118, s88
	s_waitcnt lgkmcnt(2)
	v_perm_b32 v6, v116, v115, s88
	v_cvt_f16_f32_e32 v13, v13
	v_cvt_f32_f16_e32 v60, v59
	s_nop 2
	v_cvt_f16_f32_e32 v2, v2
	v_cvt_f16_f32_e32 v3, v3
	;; [unrolled: 1-line block ×4, first 2 shown]
	v_cvt_f32_f16_e32 v2, v2
	v_cvt_f32_f16_e32 v3, v3
	;; [unrolled: 1-line block ×4, first 2 shown]
	v_cvt_f32_f16_sdwa v61, v59 dst_sel:DWORD dst_unused:UNUSED_PAD src0_sel:WORD_1
	v_cvt_f32_f16_e32 v62, v63
	v_mfma_f32_16x16x16_f16 v[2:5], v[6:7], v[108:109], v[2:5]
	v_perm_b32 v7, v126, v120, s88
	v_perm_b32 v6, v131, v132, s88
	v_cvt_f32_f16_sdwa v63, v63 dst_sel:DWORD dst_unused:UNUSED_PAD src0_sel:WORD_1
	v_perm_b32 v12, v13, v12, s88
	s_nop 3
	v_cvt_f16_f32_e32 v13, v4
	v_cvt_f16_f32_e32 v59, v5
	v_mfma_f32_16x16x16_f16 v[4:7], v[6:7], v[104:105], v[60:63]
	v_cvt_f16_f32_e32 v110, v8
	v_cvt_f16_f32_e32 v112, v9
	v_perm_b32 v13, v59, v13, s88
	v_perm_b32 v61, v125, v119, s88
	s_waitcnt lgkmcnt(0)
	v_perm_b32 v60, v133, v134, s88
	s_nop 1
	v_cvt_f16_f32_e32 v4, v4
	v_cvt_f16_f32_e32 v5, v5
	;; [unrolled: 1-line block ×4, first 2 shown]
	v_cvt_f32_f16_e32 v4, v4
	v_cvt_f32_f16_e32 v5, v5
	;; [unrolled: 1-line block ×4, first 2 shown]
	ds_bpermute_b32 v59, v107, v111
	v_cvt_f16_f32_e32 v113, v10
	v_mfma_f32_16x16x16_f16 v[4:7], v[60:61], v[108:109], v[4:7]
	v_cvt_f16_f32_e32 v114, v11
	s_waitcnt lgkmcnt(0)
	v_add_f32_e32 v59, v111, v59
	ds_bpermute_b32 v60, v106, v59
	v_cvt_f16_f32_e32 v62, v2
	v_cvt_f16_f32_e32 v63, v3
	s_nop 1
	v_cvt_f16_f32_e32 v104, v4
	v_cvt_f16_f32_e32 v6, v6
	;; [unrolled: 1-line block ×4, first 2 shown]
	s_waitcnt lgkmcnt(0)
	v_add_f32_e32 v59, v59, v60
	v_perm_b32 v60, v114, v113, s88
	v_perm_b32 v6, v7, v6, s88
	;; [unrolled: 1-line block ×5, first 2 shown]
	s_barrier
	s_and_saveexec_b64 s[10:11], s[14:15]
	s_cbranch_execz .LBB0_42
; %bb.41:                               ;   in Loop: Header=BB0_12 Depth=1
	v_lshlrev_b32_e32 v7, 2, v32
	global_load_dword v7, v7, s[76:77]
	v_cvt_pk_f16_f32 v60, v8, v9
	v_max_f32_e32 v8, v58, v58
	v_cvt_pk_f16_f32 v10, v10, v11
	v_cvt_pk_f16_f32 v2, v2, v3
	;; [unrolled: 1-line block ×3, first 2 shown]
	s_waitcnt vmcnt(0)
	v_max_f32_e32 v9, v7, v7
	v_max_f32_e32 v8, v8, v9
	v_sub_f32_e32 v9, v58, v8
	v_sub_f32_e32 v7, v7, v8
	v_mul_f32_e32 v11, 0x3fb8aa3b, v9
	v_mul_f32_e32 v58, 0x3fb8aa3b, v7
	v_fma_f32 v61, v9, s47, -v11
	v_rndne_f32_e32 v62, v11
	v_fma_f32 v63, v7, s47, -v58
	v_rndne_f32_e32 v104, v58
	v_fmac_f32_e32 v61, 0x32a5705f, v9
	v_sub_f32_e32 v11, v11, v62
	v_fmac_f32_e32 v63, 0x32a5705f, v7
	v_sub_f32_e32 v58, v58, v104
	v_add_f32_e32 v11, v11, v61
	v_cvt_i32_f32_e32 v62, v62
	v_add_f32_e32 v58, v58, v63
	v_exp_f32_e32 v11, v11
	v_cvt_i32_f32_e32 v104, v104
	v_exp_f32_e32 v58, v58
	v_cmp_ngt_f32_e32 vcc, s33, v9
	v_ldexp_f32 v4, v11, v62
	v_ldexp_f32 v5, v58, v104
	v_cndmask_b32_e32 v4, 0, v4, vcc
	v_cmp_ngt_f32_e32 vcc, s33, v7
	s_nop 1
	v_cndmask_b32_e32 v5, 0, v5, vcc
	v_cmp_nlt_f32_e32 vcc, s8, v9
	s_nop 1
	v_cndmask_b32_e32 v4, v103, v4, vcc
	v_cmp_le_f32_e32 vcc, s9, v9
	s_nop 1
	v_cndmask_b32_e32 v4, 0, v4, vcc
	v_cvt_f16_f32_e32 v11, v4
	v_cmp_nlt_f32_e32 vcc, s8, v7
	s_nop 1
	v_cndmask_b32_e32 v9, v103, v5, vcc
	v_fmac_f32_e32 v9, v59, v4
	v_mul_u32_u24_e32 v4, 0x10001, v11
	v_pk_mul_f16 v7, v60, v4
	v_pk_mul_f16 v18, v18, v4
	;; [unrolled: 1-line block ×8, first 2 shown]
	v_mov_b64_e32 v[58:59], v[8:9]
.LBB0_42:                               ;   in Loop: Header=BB0_12 Depth=1
	s_or_b64 exec, exec, s[10:11]
	s_and_saveexec_b64 s[10:11], s[6:7]
; %bb.43:                               ;   in Loop: Header=BB0_12 Depth=1
	v_add_u32_e32 v2, 0, v74
	ds_write2_b32 v2, v58, v59 offset0:32 offset1:33
; %bb.44:                               ;   in Loop: Header=BB0_12 Depth=1
	s_or_b64 exec, exec, s[10:11]
	s_waitcnt lgkmcnt(0)
	s_barrier
	s_and_saveexec_b64 s[10:11], s[4:5]
	s_xor_b64 s[10:11], exec, s[10:11]
	s_cbranch_execz .LBB0_46
; %bb.45:                               ;   in Loop: Header=BB0_12 Depth=1
	s_barrier
                                        ; implicit-def: $vgpr106
.LBB0_46:                               ;   in Loop: Header=BB0_12 Depth=1
	s_andn2_saveexec_b64 s[10:11], s[10:11]
	s_cbranch_execz .LBB0_52
; %bb.47:                               ;   in Loop: Header=BB0_12 Depth=1
	v_add_u32_e32 v3, 0, v75
	ds_read_b64 v[8:9], v3 offset:128
	s_waitcnt lgkmcnt(0)
	s_barrier
	ds_bpermute_b32 v2, v106, v8
	v_max_f32_e32 v4, v8, v8
	s_waitcnt lgkmcnt(0)
	v_max_f32_e32 v2, v2, v2
	v_max_f32_e32 v2, v4, v2
	v_sub_f32_e32 v4, v8, v2
	v_mul_f32_e32 v5, 0x3fb8aa3b, v4
	v_fma_f32 v8, v4, s47, -v5
	v_rndne_f32_e32 v10, v5
	v_fmac_f32_e32 v8, 0x32a5705f, v4
	v_sub_f32_e32 v5, v5, v10
	v_add_f32_e32 v5, v5, v8
	v_cvt_i32_f32_e32 v10, v10
	v_exp_f32_e32 v5, v5
	v_cmp_ngt_f32_e32 vcc, s33, v4
	v_ldexp_f32 v5, v5, v10
	s_nop 0
	v_cndmask_b32_e32 v5, 0, v5, vcc
	v_cmp_nlt_f32_e32 vcc, s8, v4
	s_nop 1
	v_cndmask_b32_e32 v4, v103, v5, vcc
	v_mul_f32_e32 v5, v9, v4
	ds_bpermute_b32 v5, v106, v5
	s_waitcnt lgkmcnt(0)
	v_fmac_f32_e32 v5, v9, v4
	s_mov_b64 s[14:15], exec
	v_readlane_b32 s84, v161, 9
	v_readlane_b32 s85, v161, 10
	s_and_b64 s[84:85], s[14:15], s[84:85]
	s_mov_b64 exec, s[84:85]
; %bb.48:                               ;   in Loop: Header=BB0_12 Depth=1
	ds_write_b64 v3, v[4:5] offset:128
; %bb.49:                               ;   in Loop: Header=BB0_12 Depth=1
	s_or_b64 exec, exec, s[14:15]
	s_and_saveexec_b64 s[14:15], s[6:7]
	s_cbranch_execz .LBB0_51
; %bb.50:                               ;   in Loop: Header=BB0_12 Depth=1
	v_mov_b32_e32 v3, v5
	global_store_dwordx2 v[46:47], v[2:3], off
.LBB0_51:                               ;   in Loop: Header=BB0_12 Depth=1
	s_or_b64 exec, exec, s[14:15]
.LBB0_52:                               ;   in Loop: Header=BB0_12 Depth=1
	s_or_b64 exec, exec, s[10:11]
	v_add_u32_e32 v2, v65, v76
	ds_write2_b32 v2, v7, v18 offset1:1
	ds_write2_b32 v2, v60, v12 offset0:8 offset1:9
	ds_write2_b32 v2, v61, v13 offset0:16 offset1:17
	;; [unrolled: 1-line block ×3, first 2 shown]
	s_waitcnt lgkmcnt(0)
	s_barrier
	s_and_saveexec_b64 s[84:85], s[12:13]
	s_cbranch_execz .LBB0_90
; %bb.53:                               ;   in Loop: Header=BB0_12 Depth=1
	v_add_u32_e32 v3, s69, v97
	v_or_b32_e32 v2, s2, v36
	v_cmp_gt_i32_e64 s[10:11], s36, v3
	v_cmp_gt_i32_e32 vcc, s3, v2
	s_and_b64 s[14:15], s[10:11], vcc
	v_mov_b32_e32 v2, 0x47
	s_and_saveexec_b64 s[10:11], s[14:15]
	s_cbranch_execz .LBB0_55
; %bb.54:                               ;   in Loop: Header=BB0_12 Depth=1
	v_add_u32_e32 v4, v92, v81
	ds_read2st64_b32 v[4:5], v4 offset1:9
	v_mad_u64_u32 v[2:3], s[14:15], v3, s37, v[36:37]
	v_add_u32_e32 v3, 0, v81
	v_add_u32_e32 v3, 0x80, v3
	ds_read2st64_b32 v[6:7], v3 offset1:9
	s_waitcnt lgkmcnt(1)
	v_cvt_f32_f16_e32 v8, v4
	v_cvt_f32_f16_sdwa v9, v4 dst_sel:DWORD dst_unused:UNUSED_PAD src0_sel:WORD_1
	v_cvt_f32_f16_e32 v4, v5
	v_cvt_f32_f16_sdwa v5, v5 dst_sel:DWORD dst_unused:UNUSED_PAD src0_sel:WORD_1
	v_lshl_or_b32 v2, v2, 5, v16
	v_ashrrev_i32_e32 v3, 31, v2
	s_waitcnt lgkmcnt(0)
	v_pk_fma_f32 v[8:9], v[6:7], v[8:9], 0 op_sel_hi:[0,1,0]
	v_mov_b32_e32 v6, v7
	v_lshl_add_u64 v[2:3], v[2:3], 3, s[74:75]
	v_pk_fma_f32 v[4:5], v[6:7], v[4:5], v[8:9] op_sel_hi:[0,1,1]
	global_store_dwordx2 v[2:3], v[4:5], off
	v_mov_b32_e32 v2, 0
.LBB0_55:                               ;   in Loop: Header=BB0_12 Depth=1
	s_or_b64 exec, exec, s[10:11]
	s_movk_i32 s10, 0x47
	v_cmp_gt_i32_e64 s[10:11], s10, v2
	s_mov_b64 s[14:15], -1
	s_and_saveexec_b64 s[86:87], s[10:11]
; %bb.56:                               ;   in Loop: Header=BB0_12 Depth=1
	v_cmp_eq_u32_e64 s[10:11], 0, v2
	s_orn2_b64 s[14:15], s[10:11], exec
; %bb.57:                               ;   in Loop: Header=BB0_12 Depth=1
	s_or_b64 exec, exec, s[86:87]
	s_and_b64 exec, exec, s[14:15]
	s_cbranch_execz .LBB0_90
; %bb.58:                               ;   in Loop: Header=BB0_12 Depth=1
	v_add_u32_e32 v3, s69, v98
	v_or_b32_e32 v2, s2, v38
	v_cmp_gt_i32_e64 s[10:11], s36, v3
	v_cmp_gt_i32_e64 s[14:15], s3, v2
	s_and_b64 s[14:15], s[10:11], s[14:15]
	v_mov_b32_e32 v2, 0x47
	s_and_saveexec_b64 s[10:11], s[14:15]
	s_cbranch_execz .LBB0_60
; %bb.59:                               ;   in Loop: Header=BB0_12 Depth=1
	v_add_u32_e32 v4, v92, v82
	ds_read2st64_b32 v[4:5], v4 offset1:9
	v_mad_u64_u32 v[2:3], s[14:15], v3, s37, v[38:39]
	v_add_u32_e32 v3, 0, v82
	v_add_u32_e32 v3, 0x80, v3
	ds_read2st64_b32 v[6:7], v3 offset1:9
	s_waitcnt lgkmcnt(1)
	v_cvt_f32_f16_e32 v8, v4
	v_cvt_f32_f16_sdwa v9, v4 dst_sel:DWORD dst_unused:UNUSED_PAD src0_sel:WORD_1
	v_cvt_f32_f16_e32 v4, v5
	v_cvt_f32_f16_sdwa v5, v5 dst_sel:DWORD dst_unused:UNUSED_PAD src0_sel:WORD_1
	v_lshl_or_b32 v2, v2, 5, v16
	v_ashrrev_i32_e32 v3, 31, v2
	s_waitcnt lgkmcnt(0)
	v_pk_fma_f32 v[8:9], v[6:7], v[8:9], 0 op_sel_hi:[0,1,0]
	v_mov_b32_e32 v6, v7
	v_lshl_add_u64 v[2:3], v[2:3], 3, s[74:75]
	v_pk_fma_f32 v[4:5], v[6:7], v[4:5], v[8:9] op_sel_hi:[0,1,1]
	global_store_dwordx2 v[2:3], v[4:5], off
	v_mov_b32_e32 v2, 0
.LBB0_60:                               ;   in Loop: Header=BB0_12 Depth=1
	s_or_b64 exec, exec, s[10:11]
	s_movk_i32 s10, 0x47
	v_cmp_gt_i32_e64 s[10:11], s10, v2
	s_mov_b64 s[14:15], -1
	s_and_saveexec_b64 s[86:87], s[10:11]
; %bb.61:                               ;   in Loop: Header=BB0_12 Depth=1
	v_cmp_eq_u32_e64 s[10:11], 0, v2
	s_orn2_b64 s[14:15], s[10:11], exec
; %bb.62:                               ;   in Loop: Header=BB0_12 Depth=1
	s_or_b64 exec, exec, s[86:87]
	s_and_b64 exec, exec, s[14:15]
	s_cbranch_execz .LBB0_90
; %bb.63:                               ;   in Loop: Header=BB0_12 Depth=1
	v_add_u32_e32 v3, s69, v83
	v_cmp_gt_i32_e64 s[10:11], s36, v3
	s_and_b64 s[14:15], s[10:11], vcc
	v_mov_b32_e32 v2, 0x47
	s_and_saveexec_b64 s[10:11], s[14:15]
	s_cbranch_execz .LBB0_65
; %bb.64:                               ;   in Loop: Header=BB0_12 Depth=1
	v_add_u32_e32 v4, v92, v84
	ds_read2st64_b32 v[4:5], v4 offset1:9
	v_mad_u64_u32 v[2:3], s[14:15], v3, s37, v[36:37]
	v_add_u32_e32 v3, 0, v84
	v_add_u32_e32 v3, 0x80, v3
	ds_read2st64_b32 v[6:7], v3 offset1:9
	s_waitcnt lgkmcnt(1)
	v_cvt_f32_f16_e32 v8, v4
	v_cvt_f32_f16_sdwa v9, v4 dst_sel:DWORD dst_unused:UNUSED_PAD src0_sel:WORD_1
	v_cvt_f32_f16_e32 v4, v5
	v_cvt_f32_f16_sdwa v5, v5 dst_sel:DWORD dst_unused:UNUSED_PAD src0_sel:WORD_1
	v_lshl_or_b32 v2, v2, 5, v16
	v_ashrrev_i32_e32 v3, 31, v2
	s_waitcnt lgkmcnt(0)
	v_pk_fma_f32 v[8:9], v[6:7], v[8:9], 0 op_sel_hi:[0,1,0]
	v_mov_b32_e32 v6, v7
	v_lshl_add_u64 v[2:3], v[2:3], 3, s[74:75]
	v_pk_fma_f32 v[4:5], v[6:7], v[4:5], v[8:9] op_sel_hi:[0,1,1]
	global_store_dwordx2 v[2:3], v[4:5], off
	v_mov_b32_e32 v2, 0
.LBB0_65:                               ;   in Loop: Header=BB0_12 Depth=1
	s_or_b64 exec, exec, s[10:11]
	s_movk_i32 s10, 0x47
	v_cmp_gt_i32_e64 s[10:11], s10, v2
	s_mov_b64 s[14:15], -1
	s_and_saveexec_b64 s[86:87], s[10:11]
; %bb.66:                               ;   in Loop: Header=BB0_12 Depth=1
	v_cmp_eq_u32_e64 s[10:11], 0, v2
	s_orn2_b64 s[14:15], s[10:11], exec
; %bb.67:                               ;   in Loop: Header=BB0_12 Depth=1
	s_or_b64 exec, exec, s[86:87]
	s_and_b64 exec, exec, s[14:15]
	s_cbranch_execz .LBB0_90
; %bb.68:                               ;   in Loop: Header=BB0_12 Depth=1
	v_add_u32_e32 v3, s69, v99
	v_or_b32_e32 v2, s2, v40
	v_cmp_gt_i32_e64 s[10:11], s36, v3
	v_cmp_gt_i32_e64 s[14:15], s3, v2
	s_and_b64 s[14:15], s[10:11], s[14:15]
	v_mov_b32_e32 v2, 0x47
	s_and_saveexec_b64 s[10:11], s[14:15]
	s_cbranch_execz .LBB0_70
; %bb.69:                               ;   in Loop: Header=BB0_12 Depth=1
	v_add_u32_e32 v4, v92, v85
	ds_read2st64_b32 v[4:5], v4 offset1:9
	v_mad_u64_u32 v[2:3], s[14:15], v3, s37, v[40:41]
	v_add_u32_e32 v3, 0, v85
	v_add_u32_e32 v3, 0x80, v3
	ds_read2st64_b32 v[6:7], v3 offset1:9
	s_waitcnt lgkmcnt(1)
	v_cvt_f32_f16_e32 v8, v4
	v_cvt_f32_f16_sdwa v9, v4 dst_sel:DWORD dst_unused:UNUSED_PAD src0_sel:WORD_1
	v_cvt_f32_f16_e32 v4, v5
	v_cvt_f32_f16_sdwa v5, v5 dst_sel:DWORD dst_unused:UNUSED_PAD src0_sel:WORD_1
	v_lshl_or_b32 v2, v2, 5, v16
	v_ashrrev_i32_e32 v3, 31, v2
	s_waitcnt lgkmcnt(0)
	v_pk_fma_f32 v[8:9], v[6:7], v[8:9], 0 op_sel_hi:[0,1,0]
	v_mov_b32_e32 v6, v7
	v_lshl_add_u64 v[2:3], v[2:3], 3, s[74:75]
	v_pk_fma_f32 v[4:5], v[6:7], v[4:5], v[8:9] op_sel_hi:[0,1,1]
	global_store_dwordx2 v[2:3], v[4:5], off
	v_mov_b32_e32 v2, 0
.LBB0_70:                               ;   in Loop: Header=BB0_12 Depth=1
	s_or_b64 exec, exec, s[10:11]
	s_movk_i32 s10, 0x47
	v_cmp_gt_i32_e64 s[10:11], s10, v2
	s_mov_b64 s[14:15], -1
	s_and_saveexec_b64 s[86:87], s[10:11]
; %bb.71:                               ;   in Loop: Header=BB0_12 Depth=1
	v_cmp_eq_u32_e64 s[10:11], 0, v2
	s_orn2_b64 s[14:15], s[10:11], exec
; %bb.72:                               ;   in Loop: Header=BB0_12 Depth=1
	s_or_b64 exec, exec, s[86:87]
	s_and_b64 exec, exec, s[14:15]
	s_cbranch_execz .LBB0_90
; %bb.73:                               ;   in Loop: Header=BB0_12 Depth=1
	v_add_u32_e32 v3, s69, v86
	v_cmp_gt_i32_e64 s[10:11], s36, v3
	s_and_b64 s[14:15], s[10:11], vcc
	v_mov_b32_e32 v2, 0x47
	s_and_saveexec_b64 s[10:11], s[14:15]
	s_cbranch_execz .LBB0_75
; %bb.74:                               ;   in Loop: Header=BB0_12 Depth=1
	v_add_u32_e32 v4, v92, v87
	ds_read2st64_b32 v[4:5], v4 offset1:9
	v_mad_u64_u32 v[2:3], s[14:15], v3, s37, v[36:37]
	v_add_u32_e32 v3, 0, v87
	v_add_u32_e32 v3, 0x80, v3
	ds_read2st64_b32 v[6:7], v3 offset1:9
	s_waitcnt lgkmcnt(1)
	v_cvt_f32_f16_e32 v8, v4
	v_cvt_f32_f16_sdwa v9, v4 dst_sel:DWORD dst_unused:UNUSED_PAD src0_sel:WORD_1
	v_cvt_f32_f16_e32 v4, v5
	v_cvt_f32_f16_sdwa v5, v5 dst_sel:DWORD dst_unused:UNUSED_PAD src0_sel:WORD_1
	v_lshl_or_b32 v2, v2, 5, v16
	v_ashrrev_i32_e32 v3, 31, v2
	s_waitcnt lgkmcnt(0)
	v_pk_fma_f32 v[8:9], v[6:7], v[8:9], 0 op_sel_hi:[0,1,0]
	v_mov_b32_e32 v6, v7
	v_lshl_add_u64 v[2:3], v[2:3], 3, s[74:75]
	v_pk_fma_f32 v[4:5], v[6:7], v[4:5], v[8:9] op_sel_hi:[0,1,1]
	global_store_dwordx2 v[2:3], v[4:5], off
	v_mov_b32_e32 v2, 0
.LBB0_75:                               ;   in Loop: Header=BB0_12 Depth=1
	s_or_b64 exec, exec, s[10:11]
	s_movk_i32 s10, 0x47
	v_cmp_gt_i32_e64 s[10:11], s10, v2
	s_mov_b64 s[14:15], -1
	s_and_saveexec_b64 s[86:87], s[10:11]
; %bb.76:                               ;   in Loop: Header=BB0_12 Depth=1
	v_cmp_eq_u32_e64 s[10:11], 0, v2
	s_orn2_b64 s[14:15], s[10:11], exec
; %bb.77:                               ;   in Loop: Header=BB0_12 Depth=1
	s_or_b64 exec, exec, s[86:87]
	s_and_b64 exec, exec, s[14:15]
	s_cbranch_execz .LBB0_90
; %bb.78:                               ;   in Loop: Header=BB0_12 Depth=1
	v_add_u32_e32 v3, s69, v100
	v_or_b32_e32 v2, s2, v42
	v_cmp_gt_i32_e64 s[10:11], s36, v3
	v_cmp_gt_i32_e64 s[14:15], s3, v2
	s_and_b64 s[14:15], s[10:11], s[14:15]
	v_mov_b32_e32 v2, 0x47
	s_and_saveexec_b64 s[10:11], s[14:15]
	s_cbranch_execz .LBB0_80
; %bb.79:                               ;   in Loop: Header=BB0_12 Depth=1
	v_add_u32_e32 v4, v92, v88
	ds_read2st64_b32 v[4:5], v4 offset1:9
	v_mad_u64_u32 v[2:3], s[14:15], v3, s37, v[42:43]
	v_add_u32_e32 v3, 0, v88
	v_add_u32_e32 v3, 0x80, v3
	ds_read2st64_b32 v[6:7], v3 offset1:9
	s_waitcnt lgkmcnt(1)
	v_cvt_f32_f16_e32 v8, v4
	v_cvt_f32_f16_sdwa v9, v4 dst_sel:DWORD dst_unused:UNUSED_PAD src0_sel:WORD_1
	v_cvt_f32_f16_e32 v4, v5
	v_cvt_f32_f16_sdwa v5, v5 dst_sel:DWORD dst_unused:UNUSED_PAD src0_sel:WORD_1
	v_lshl_or_b32 v2, v2, 5, v16
	v_ashrrev_i32_e32 v3, 31, v2
	s_waitcnt lgkmcnt(0)
	v_pk_fma_f32 v[8:9], v[6:7], v[8:9], 0 op_sel_hi:[0,1,0]
	v_mov_b32_e32 v6, v7
	v_lshl_add_u64 v[2:3], v[2:3], 3, s[74:75]
	v_pk_fma_f32 v[4:5], v[6:7], v[4:5], v[8:9] op_sel_hi:[0,1,1]
	global_store_dwordx2 v[2:3], v[4:5], off
	v_mov_b32_e32 v2, 0
.LBB0_80:                               ;   in Loop: Header=BB0_12 Depth=1
	s_or_b64 exec, exec, s[10:11]
	s_movk_i32 s10, 0x47
	v_cmp_gt_i32_e64 s[10:11], s10, v2
	s_mov_b64 s[14:15], -1
	s_and_saveexec_b64 s[86:87], s[10:11]
; %bb.81:                               ;   in Loop: Header=BB0_12 Depth=1
	v_cmp_eq_u32_e64 s[10:11], 0, v2
	s_orn2_b64 s[14:15], s[10:11], exec
; %bb.82:                               ;   in Loop: Header=BB0_12 Depth=1
	s_or_b64 exec, exec, s[86:87]
	s_and_b64 exec, exec, s[14:15]
	s_cbranch_execz .LBB0_90
; %bb.83:                               ;   in Loop: Header=BB0_12 Depth=1
	v_add_u32_e32 v3, s69, v89
	v_cmp_gt_i32_e64 s[10:11], s36, v3
	s_and_b64 s[14:15], s[10:11], vcc
	v_mov_b32_e32 v2, 0x47
	s_and_saveexec_b64 s[10:11], s[14:15]
	s_cbranch_execz .LBB0_85
; %bb.84:                               ;   in Loop: Header=BB0_12 Depth=1
	v_add_u32_e32 v4, v92, v90
	ds_read2st64_b32 v[4:5], v4 offset1:9
	v_mad_u64_u32 v[2:3], s[14:15], v3, s37, v[36:37]
	v_add_u32_e32 v3, 0, v90
	v_add_u32_e32 v3, 0x80, v3
	ds_read2st64_b32 v[6:7], v3 offset1:9
	s_waitcnt lgkmcnt(1)
	v_cvt_f32_f16_e32 v8, v4
	v_cvt_f32_f16_sdwa v9, v4 dst_sel:DWORD dst_unused:UNUSED_PAD src0_sel:WORD_1
	v_cvt_f32_f16_e32 v4, v5
	v_cvt_f32_f16_sdwa v5, v5 dst_sel:DWORD dst_unused:UNUSED_PAD src0_sel:WORD_1
	v_lshl_or_b32 v2, v2, 5, v16
	v_ashrrev_i32_e32 v3, 31, v2
	s_waitcnt lgkmcnt(0)
	v_pk_fma_f32 v[8:9], v[6:7], v[8:9], 0 op_sel_hi:[0,1,0]
	v_mov_b32_e32 v6, v7
	v_lshl_add_u64 v[2:3], v[2:3], 3, s[74:75]
	v_pk_fma_f32 v[4:5], v[6:7], v[4:5], v[8:9] op_sel_hi:[0,1,1]
	global_store_dwordx2 v[2:3], v[4:5], off
	v_mov_b32_e32 v2, 0
.LBB0_85:                               ;   in Loop: Header=BB0_12 Depth=1
	s_or_b64 exec, exec, s[10:11]
	s_movk_i32 s10, 0x47
	v_cmp_gt_i32_e32 vcc, s10, v2
	s_mov_b64 s[10:11], -1
	s_and_saveexec_b64 s[14:15], vcc
; %bb.86:                               ;   in Loop: Header=BB0_12 Depth=1
	v_cmp_eq_u32_e32 vcc, 0, v2
	s_orn2_b64 s[10:11], vcc, exec
; %bb.87:                               ;   in Loop: Header=BB0_12 Depth=1
	s_or_b64 exec, exec, s[14:15]
	s_and_b64 exec, exec, s[10:11]
	s_cbranch_execz .LBB0_90
; %bb.88:                               ;   in Loop: Header=BB0_12 Depth=1
	v_add_u32_e32 v2, s69, v101
	v_or_b32_e32 v3, s2, v44
	v_cmp_gt_i32_e32 vcc, s36, v2
	v_cmp_gt_i32_e64 s[10:11], s3, v3
	s_and_b64 s[10:11], vcc, s[10:11]
	s_and_b64 exec, exec, s[10:11]
	s_cbranch_execz .LBB0_90
; %bb.89:                               ;   in Loop: Header=BB0_12 Depth=1
	v_add_u32_e32 v4, v92, v91
	ds_read2st64_b32 v[4:5], v4 offset1:9
	v_mad_u64_u32 v[2:3], s[10:11], v2, s37, v[44:45]
	v_add_u32_e32 v3, 0, v91
	v_add_u32_e32 v3, 0x80, v3
	ds_read2st64_b32 v[6:7], v3 offset1:9
	s_waitcnt lgkmcnt(1)
	v_cvt_f32_f16_e32 v8, v4
	v_cvt_f32_f16_sdwa v9, v4 dst_sel:DWORD dst_unused:UNUSED_PAD src0_sel:WORD_1
	v_cvt_f32_f16_e32 v4, v5
	v_cvt_f32_f16_sdwa v5, v5 dst_sel:DWORD dst_unused:UNUSED_PAD src0_sel:WORD_1
	v_lshl_or_b32 v2, v2, 5, v16
	v_ashrrev_i32_e32 v3, 31, v2
	s_waitcnt lgkmcnt(0)
	v_pk_fma_f32 v[8:9], v[6:7], v[8:9], 0 op_sel_hi:[0,1,0]
	v_mov_b32_e32 v6, v7
	v_lshl_add_u64 v[2:3], v[2:3], 3, s[74:75]
	v_pk_fma_f32 v[4:5], v[6:7], v[4:5], v[8:9] op_sel_hi:[0,1,1]
	global_store_dwordx2 v[2:3], v[4:5], off
.LBB0_90:                               ;   in Loop: Header=BB0_12 Depth=1
	s_or_b64 exec, exec, s[84:85]
	s_barrier
	s_branch .LBB0_11
.LBB0_91:                               ;   in Loop: Header=BB0_12 Depth=1
	s_lshl_b32 s68, s68, 2
	v_add_u32_e32 v2, s68, v95
	v_cmp_le_i32_e64 s[10:11], s36, v2
	v_cmp_le_i32_e64 s[14:15], s3, v49
	v_cmp_gt_i32_e32 vcc, s3, v49
	s_or_b64 s[10:11], s[10:11], s[14:15]
	s_and_saveexec_b64 s[14:15], s[10:11]
	s_xor_b64 s[10:11], exec, s[14:15]
; %bb.92:                               ;   in Loop: Header=BB0_12 Depth=1
	v_add_u32_e32 v2, v92, v21
	ds_write_b32 v2, v19
                                        ; implicit-def: $vgpr2
; %bb.93:                               ;   in Loop: Header=BB0_12 Depth=1
	s_andn2_saveexec_b64 s[10:11], s[10:11]
	s_cbranch_execz .LBB0_95
; %bb.94:                               ;   in Loop: Header=BB0_12 Depth=1
	v_mad_u64_u32 v[2:3], s[14:15], v2, s57, v[48:49]
	v_ashrrev_i32_e32 v3, 31, v2
	v_lshl_add_u64 v[2:3], v[2:3], 3, s[80:81]
	global_load_dwordx2 v[2:3], v[2:3], off
	s_waitcnt vmcnt(0)
	v_cvt_pk_f16_f32 v2, v2, v3
	v_pk_mul_f16 v2, v2, v93
	v_add_u32_e32 v3, v92, v21
	ds_write_b32 v3, v2
.LBB0_95:                               ;   in Loop: Header=BB0_12 Depth=1
	s_or_b64 exec, exec, s[10:11]
	v_add_u32_e32 v2, s68, v77
	v_cmp_le_i32_e64 s[10:11], s36, v2
	s_xor_b64 s[14:15], vcc, -1
	s_or_b64 s[10:11], s[10:11], s[14:15]
	s_and_saveexec_b64 s[84:85], s[10:11]
	s_xor_b64 s[10:11], exec, s[84:85]
; %bb.96:                               ;   in Loop: Header=BB0_12 Depth=1
	v_add_u32_e32 v2, v92, v78
	ds_write_b32 v2, v19
                                        ; implicit-def: $vgpr2
; %bb.97:                               ;   in Loop: Header=BB0_12 Depth=1
	s_andn2_saveexec_b64 s[10:11], s[10:11]
	s_cbranch_execz .LBB0_99
; %bb.98:                               ;   in Loop: Header=BB0_12 Depth=1
	v_mad_u64_u32 v[2:3], s[84:85], v2, s57, v[48:49]
	v_ashrrev_i32_e32 v3, 31, v2
	v_lshl_add_u64 v[2:3], v[2:3], 3, s[80:81]
	global_load_dwordx2 v[2:3], v[2:3], off
	s_waitcnt vmcnt(0)
	v_cvt_pk_f16_f32 v2, v2, v3
	v_pk_mul_f16 v2, v2, v93
	v_add_u32_e32 v3, v92, v78
	ds_write_b32 v3, v2
.LBB0_99:                               ;   in Loop: Header=BB0_12 Depth=1
	s_or_b64 exec, exec, s[10:11]
	v_add_u32_e32 v2, s68, v79
	v_cmp_le_i32_e32 vcc, s36, v2
	s_or_b64 s[10:11], vcc, s[14:15]
	s_and_saveexec_b64 s[84:85], s[10:11]
	s_xor_b64 s[10:11], exec, s[84:85]
; %bb.100:                              ;   in Loop: Header=BB0_12 Depth=1
	v_add_u32_e32 v2, v92, v78
	ds_write_b32 v2, v19 offset:1152
                                        ; implicit-def: $vgpr2
; %bb.101:                              ;   in Loop: Header=BB0_12 Depth=1
	s_andn2_saveexec_b64 s[10:11], s[10:11]
	s_cbranch_execz .LBB0_103
; %bb.102:                              ;   in Loop: Header=BB0_12 Depth=1
	v_mad_u64_u32 v[2:3], s[84:85], v2, s57, v[48:49]
	v_ashrrev_i32_e32 v3, 31, v2
	v_lshl_add_u64 v[2:3], v[2:3], 3, s[80:81]
	global_load_dwordx2 v[2:3], v[2:3], off
	s_waitcnt vmcnt(0)
	v_cvt_pk_f16_f32 v2, v2, v3
	v_pk_mul_f16 v2, v2, v93
	v_add_u32_e32 v3, v92, v78
	ds_write_b32 v3, v2 offset:1152
.LBB0_103:                              ;   in Loop: Header=BB0_12 Depth=1
	s_or_b64 exec, exec, s[10:11]
	v_add_u32_e32 v2, s68, v80
	v_cmp_le_i32_e32 vcc, s36, v2
	s_or_b64 s[10:11], vcc, s[14:15]
	s_and_saveexec_b64 s[14:15], s[10:11]
	s_xor_b64 s[10:11], exec, s[14:15]
; %bb.104:                              ;   in Loop: Header=BB0_12 Depth=1
	v_add_u32_e32 v2, v92, v78
	ds_write_b32 v2, v19 offset:2304
                                        ; implicit-def: $vgpr2
; %bb.105:                              ;   in Loop: Header=BB0_12 Depth=1
	s_andn2_saveexec_b64 s[10:11], s[10:11]
	s_cbranch_execz .LBB0_107
; %bb.106:                              ;   in Loop: Header=BB0_12 Depth=1
	v_mad_u64_u32 v[2:3], s[14:15], v2, s57, v[48:49]
	v_ashrrev_i32_e32 v3, 31, v2
	v_lshl_add_u64 v[2:3], v[2:3], 3, s[80:81]
	global_load_dwordx2 v[2:3], v[2:3], off
	s_waitcnt vmcnt(0)
	v_cvt_pk_f16_f32 v2, v2, v3
	v_pk_mul_f16 v2, v2, v93
	v_add_u32_e32 v3, v92, v78
	ds_write_b32 v3, v2 offset:2304
.LBB0_107:                              ;   in Loop: Header=BB0_12 Depth=1
	s_or_b64 exec, exec, s[10:11]
	s_waitcnt lgkmcnt(0)
	s_barrier
	ds_read2_b64 v[6:9], v15 offset1:4
	ds_read2_b64 v[2:5], v15 offset0:8 offset1:12
	s_cmp_lt_i32 s67, 2
	s_waitcnt lgkmcnt(0)
	s_barrier
	s_cbranch_scc1 .LBB0_112
; %bb.108:                              ;   in Loop: Header=BB0_12 Depth=1
	v_add_u32_e32 v10, s68, v43
	v_mul_hi_u32 v11, s44, v10
	v_add_u32_e32 v11, v10, v11
	v_lshrrev_b32_e32 v11, s45, v11
	v_mul_lo_u32 v11, v11, s36
	v_sub_u32_e32 v12, v10, v11
	v_and_b32_e32 v10, 64, v102
	v_add_u32_e32 v10, 64, v10
	v_xor_b32_e32 v11, 32, v102
	v_cmp_lt_i32_e32 vcc, v11, v10
	v_readlane_b32 s10, v161, 23
	v_readlane_b32 s11, v161, 24
	v_cndmask_b32_e32 v11, v102, v11, vcc
	v_lshlrev_b32_e32 v18, 2, v11
	v_xor_b32_e32 v11, 16, v102
	v_cmp_lt_i32_e32 vcc, v11, v10
	s_add_i32 s14, s67, -1
	v_mov_b32_e32 v109, 0
	v_cndmask_b32_e32 v10, v102, v11, vcc
	v_lshlrev_b32_e32 v112, 2, v10
	v_mov_b64_e32 v[10:11], s[82:83]
	v_mad_i64_i32 v[10:11], s[10:11], s10, v12, v[10:11]
	s_add_u32 s10, s99, s61
	s_addc_u32 s11, s62, s58
	v_lshl_add_u64 v[12:13], v[50:51], 0, s[10:11]
	v_lshl_add_u64 v[58:59], v[52:53], 0, s[10:11]
	s_add_u32 s10, s55, s97
	s_addc_u32 s11, s42, s98
	v_lshl_add_u64 v[10:11], v[30:31], 0, v[10:11]
	v_lshl_add_u64 v[60:61], v[54:55], 0, s[10:11]
	;; [unrolled: 1-line block ×3, first 2 shown]
	v_mov_b32_e32 v114, 0xfeffffff
	v_mov_b32_e32 v113, 0
	s_mov_b32 s15, s14
	v_mov_b32_e32 v110, 0
	v_mov_b32_e32 v108, 0
	;; [unrolled: 1-line block ×7, first 2 shown]
	s_and_saveexec_b64 s[10:11], s[0:1]
	s_cbranch_execz .LBB0_110
.LBB0_109:                              ;   in Loop: Header=BB0_12 Depth=1
	global_load_dword v111, v[10:11], off
	s_waitcnt vmcnt(0)
	ds_write_b32 v45, v111 offset:9216
.LBB0_110:                              ;   Parent Loop BB0_12 Depth=1
                                        ; =>  This Inner Loop Header: Depth=2
	s_or_b64 exec, exec, s[10:11]
	v_lshl_add_u64 v[116:117], v[60:61], 0, v[34:35]
	v_lshl_add_u64 v[120:121], v[62:63], 0, v[34:35]
	global_load_dwordx4 v[116:119], v[116:117], off
	s_nop 0
	global_load_dwordx4 v[120:123], v[120:121], off
	v_add_u32_e32 v111, v66, v67
	v_add_u32_e32 v115, 0x1000, v111
	;; [unrolled: 1-line block ×3, first 2 shown]
	s_add_i32 s15, s15, -1
	s_mov_b64 s[10:11], 0x80
	v_lshl_add_u64 v[10:11], v[10:11], 0, s[10:11]
	v_lshl_add_u64 v[60:61], v[60:61], 0, s[72:73]
	s_cmp_lg_u32 s15, 0
	v_lshl_add_u64 v[62:63], v[62:63], 0, s[72:73]
	s_waitcnt vmcnt(1)
	ds_write_b128 v64, v[116:119]
	s_waitcnt vmcnt(0)
	ds_write_b128 v94, v[120:123]
	s_waitcnt lgkmcnt(0)
	s_barrier
	ds_read2_b64 v[116:119], v111 offset1:4
	ds_read2_b64 v[124:127], v115 offset0:64 offset1:68
	ds_read2_b64 v[132:135], v111 offset0:8 offset1:12
	s_waitcnt lgkmcnt(2)
	v_mfma_f32_16x16x16_f16 v[120:123], v[116:117], v[6:7], 0
	v_mfma_f32_16x16x16_f16 v[116:119], v[118:119], v[8:9], v[120:123]
	s_nop 6
	ds_read2_b64 v[120:123], v115 offset0:72 offset1:76
	s_waitcnt lgkmcnt(2)
	v_mfma_f32_16x16x16_f16 v[128:131], v[124:125], v[6:7], 0
	s_waitcnt lgkmcnt(0)
	s_barrier
	v_mfma_f32_16x16x16_f16 v[124:127], v[126:127], v[8:9], v[128:131]
	v_mfma_f32_16x16x16_f16 v[116:119], v[132:133], v[2:3], v[116:119]
	s_nop 3
	ds_read2_b32 v[128:129], v136 offset1:1
	ds_read_b32 v111, v69 offset:9216
	ds_read_b32 v115, v70 offset:9216
	s_waitcnt lgkmcnt(2)
	v_cvt_f32_f16_e32 v130, v128
	v_mfma_f32_16x16x16_f16 v[124:127], v[120:121], v[2:3], v[124:127]
	v_cvt_f32_f16_sdwa v128, v128 dst_sel:DWORD dst_unused:UNUSED_PAD src0_sel:WORD_1
	v_cvt_f32_f16_e32 v131, v129
	v_cvt_f32_f16_sdwa v129, v129 dst_sel:DWORD dst_unused:UNUSED_PAD src0_sel:WORD_1
	v_mfma_f32_16x16x16_f16 v[116:119], v[134:135], v[4:5], v[116:119]
	s_waitcnt lgkmcnt(1)
	v_cvt_f32_f16_e32 v132, v111
	v_cvt_f32_f16_sdwa v111, v111 dst_sel:DWORD dst_unused:UNUSED_PAD src0_sel:WORD_1
	s_waitcnt lgkmcnt(0)
	v_cvt_f32_f16_e32 v133, v115
	v_mfma_f32_16x16x16_f16 v[120:123], v[122:123], v[4:5], v[124:127]
	v_cvt_f32_f16_sdwa v115, v115 dst_sel:DWORD dst_unused:UNUSED_PAD src0_sel:WORD_1
	s_nop 1
	v_add_f32_e32 v124, v116, v130
	v_add_f32_e32 v125, v117, v128
	;; [unrolled: 1-line block ×4, first 2 shown]
	s_nop 0
	v_add_f32_e32 v129, v121, v111
	v_add_f32_e32 v111, 0x40051340, v124
	;; [unrolled: 1-line block ×6, first 2 shown]
	v_max3_f32 v111, v114, v111, v116
	v_add_f32_e32 v130, v122, v133
	v_add_f32_e32 v115, v123, v115
	v_add_f32_e32 v119, 0x40051340, v128
	v_add_f32_e32 v120, 0x40051340, v129
	v_max3_f32 v111, v111, v117, v118
	v_add_f32_e32 v121, 0x40051340, v130
	v_add_f32_e32 v122, 0x40051340, v115
	v_max3_f32 v111, v111, v119, v120
	v_max3_f32 v111, v111, v121, v122
	ds_bpermute_b32 v116, v18, v111
	v_lshl_add_u64 v[120:121], v[58:59], 0, v[34:35]
	v_lshl_add_u64 v[58:59], v[58:59], 0, s[70:71]
	s_waitcnt lgkmcnt(0)
	v_max_f32_e32 v116, v116, v116
	v_max_f32_e32 v111, v111, v116
	v_lshl_add_u64 v[116:117], v[12:13], 0, v[34:35]
	global_load_dwordx4 v[116:119], v[116:117], off
	s_nop 0
	global_load_dwordx4 v[120:123], v[120:121], off
	ds_bpermute_b32 v131, v112, v111
	v_lshl_add_u64 v[12:13], v[12:13], 0, s[70:71]
	s_waitcnt vmcnt(1)
	ds_write_b128 v64, v[116:119]
	s_waitcnt vmcnt(0)
	ds_write_b128 v94, v[120:123]
	s_waitcnt lgkmcnt(2)
	v_max_f32_e32 v131, v131, v131
	v_max_f32_e32 v111, v111, v131
	v_sub_f32_e32 v124, v124, v111
	v_sub_f32_e32 v125, v125, v111
	v_mul_f32_e32 v131, 0x3fb8aa3b, v124
	v_sub_f32_e32 v126, v126, v111
	v_mul_f32_e32 v132, 0x3fb8aa3b, v125
	v_fma_f32 v137, v124, s47, -v131
	v_rndne_f32_e32 v138, v131
	v_sub_f32_e32 v127, v127, v111
	v_mul_f32_e32 v133, 0x3fb8aa3b, v126
	v_fma_f32 v139, v125, s47, -v132
	v_rndne_f32_e32 v140, v132
	v_fmac_f32_e32 v137, 0x32a5705f, v124
	v_sub_f32_e32 v131, v131, v138
	v_mul_f32_e32 v134, 0x3fb8aa3b, v127
	v_fma_f32 v141, v126, s47, -v133
	v_rndne_f32_e32 v142, v133
	v_fmac_f32_e32 v139, 0x32a5705f, v125
	v_sub_f32_e32 v132, v132, v140
	v_add_f32_e32 v131, v131, v137
	v_fma_f32 v143, v127, s47, -v134
	v_rndne_f32_e32 v144, v134
	v_cvt_i32_f32_e32 v138, v138
	v_fmac_f32_e32 v141, 0x32a5705f, v126
	v_sub_f32_e32 v133, v133, v142
	v_add_f32_e32 v132, v132, v139
	v_exp_f32_e32 v131, v131
	v_cvt_i32_f32_e32 v140, v140
	v_fmac_f32_e32 v143, 0x32a5705f, v127
	v_sub_f32_e32 v134, v134, v144
	v_add_f32_e32 v133, v133, v141
	v_exp_f32_e32 v132, v132
	v_cvt_i32_f32_e32 v142, v142
	v_add_f32_e32 v134, v134, v143
	v_exp_f32_e32 v133, v133
	v_cvt_i32_f32_e32 v144, v144
	v_exp_f32_e32 v134, v134
	v_ldexp_f32 v131, v131, v138
	v_cmp_ngt_f32_e32 vcc, s33, v124
	v_ldexp_f32 v132, v132, v140
	v_sub_f32_e32 v128, v128, v111
	v_cndmask_b32_e32 v131, 0, v131, vcc
	v_cmp_ngt_f32_e32 vcc, s33, v125
	v_ldexp_f32 v133, v133, v142
	v_mul_f32_e32 v135, 0x3fb8aa3b, v128
	v_cndmask_b32_e32 v132, 0, v132, vcc
	v_cmp_ngt_f32_e32 vcc, s33, v126
	v_ldexp_f32 v134, v134, v144
	v_fma_f32 v145, v128, s47, -v135
	v_cndmask_b32_e32 v133, 0, v133, vcc
	v_cmp_ngt_f32_e32 vcc, s33, v127
	v_rndne_f32_e32 v146, v135
	v_sub_f32_e32 v129, v129, v111
	v_cndmask_b32_e32 v134, 0, v134, vcc
	v_cmp_nlt_f32_e32 vcc, s8, v124
	v_fmac_f32_e32 v145, 0x32a5705f, v128
	v_sub_f32_e32 v135, v135, v146
	v_cndmask_b32_e32 v124, v103, v131, vcc
	v_cmp_nlt_f32_e32 vcc, s8, v125
	v_mul_f32_e32 v136, 0x3fb8aa3b, v129
	v_add_f32_e32 v135, v135, v145
	v_cndmask_b32_e32 v125, v103, v132, vcc
	v_cmp_nlt_f32_e32 vcc, s8, v126
	v_fma_f32 v147, v129, s47, -v136
	v_cvt_i32_f32_e32 v146, v146
	v_exp_f32_e32 v135, v135
	v_cndmask_b32_e32 v126, v103, v133, vcc
	v_cmp_nlt_f32_e32 vcc, s8, v127
	v_rndne_f32_e32 v127, v136
	v_fmac_f32_e32 v147, 0x32a5705f, v129
	v_sub_f32_e32 v131, v136, v127
	v_add_f32_e32 v131, v131, v147
	v_exp_f32_e32 v131, v131
	v_cvt_i32_f32_e32 v127, v127
	v_ldexp_f32 v135, v135, v146
	v_cndmask_b32_e32 v132, v103, v134, vcc
	v_cmp_ngt_f32_e32 vcc, s33, v128
	v_ldexp_f32 v127, v131, v127
	v_sub_f32_e32 v115, v115, v111
	v_cndmask_b32_e32 v133, 0, v135, vcc
	v_cmp_nlt_f32_e32 vcc, s8, v128
	v_sub_f32_e32 v128, v130, v111
	v_mul_f32_e32 v130, 0x3fb8aa3b, v128
	v_fma_f32 v131, v128, s47, -v130
	v_rndne_f32_e32 v134, v130
	v_fmac_f32_e32 v131, 0x32a5705f, v128
	v_sub_f32_e32 v130, v130, v134
	v_add_f32_e32 v130, v130, v131
	v_exp_f32_e32 v130, v130
	v_cvt_i32_f32_e32 v131, v134
	v_cndmask_b32_e32 v133, v103, v133, vcc
	v_cmp_ngt_f32_e32 vcc, s33, v129
	v_sub_f32_e32 v114, v114, v111
	s_waitcnt lgkmcnt(0)
	v_cndmask_b32_e32 v127, 0, v127, vcc
	v_cmp_nlt_f32_e32 vcc, s8, v129
	v_mul_f32_e32 v129, 0x3fb8aa3b, v115
	s_barrier
	v_cndmask_b32_e32 v134, v103, v127, vcc
	v_ldexp_f32 v127, v130, v131
	v_fma_f32 v130, v115, s47, -v129
	v_rndne_f32_e32 v131, v129
	v_fmac_f32_e32 v130, 0x32a5705f, v115
	v_sub_f32_e32 v129, v129, v131
	v_add_f32_e32 v129, v129, v130
	v_cvt_i32_f32_e32 v130, v131
	v_mul_f32_e32 v131, 0x3fb8aa3b, v114
	v_fma_f32 v135, v114, s47, -v131
	v_rndne_f32_e32 v136, v131
	v_fmac_f32_e32 v135, 0x32a5705f, v114
	v_sub_f32_e32 v131, v131, v136
	v_add_f32_e32 v131, v131, v135
	v_exp_f32_e32 v131, v131
	v_cvt_i32_f32_e32 v135, v136
	v_cmp_ngt_f32_e32 vcc, s33, v128
	v_exp_f32_e32 v129, v129
	s_nop 0
	v_cndmask_b32_e32 v127, 0, v127, vcc
	v_cmp_nlt_f32_e32 vcc, s8, v128
	v_ldexp_f32 v128, v131, v135
	s_nop 0
	v_cndmask_b32_e32 v136, v103, v127, vcc
	v_cmp_ngt_f32_e32 vcc, s33, v114
	v_ldexp_f32 v127, v129, v130
	v_cvt_pk_f16_f32 v129, v126, v132
	v_cndmask_b32_e32 v128, 0, v128, vcc
	v_cmp_nlt_f32_e32 vcc, s8, v114
	v_cvt_pk_f16_f32 v130, v133, v134
	s_nop 0
	v_cndmask_b32_e32 v128, v103, v128, vcc
	v_cmp_le_f32_e32 vcc, s9, v114
	s_nop 1
	v_cndmask_b32_e32 v135, 0, v128, vcc
	v_cvt_f16_f32_e32 v114, v135
	v_cmp_ngt_f32_e32 vcc, s33, v115
	v_cvt_pk_f16_f32 v128, v124, v125
	s_nop 0
	v_cndmask_b32_e32 v127, 0, v127, vcc
	v_cmp_nlt_f32_e32 vcc, s8, v115
	s_nop 1
	v_cndmask_b32_e32 v137, v103, v127, vcc
	v_mul_u32_u24_e32 v127, 0x10001, v114
	v_pk_mul_f16 v109, v109, v127
	v_pk_mul_f16 v110, v110, v127
	v_cvt_f32_f16_e32 v114, v109
	v_cvt_f32_f16_sdwa v115, v109 dst_sel:DWORD dst_unused:UNUSED_PAD src0_sel:WORD_1
	ds_read_u16 v109, v72
	ds_read_u16 v123, v72 offset:32
	ds_read_u16 v120, v72 offset:4608
	;; [unrolled: 1-line block ×7, first 2 shown]
	ds_read_u16 v117, v73
	ds_read_u16 v143, v73 offset:32
	ds_read_u16 v121, v73 offset:4608
	;; [unrolled: 1-line block ×7, first 2 shown]
	s_waitcnt lgkmcnt(7)
	v_perm_b32 v119, v117, v109, s88
	ds_read_u16 v109, v71 offset:144
	ds_read_u16 v117, v71
	ds_read_u16 v149, v71 offset:32
	ds_read_u16 v150, v71 offset:176
	ds_read_u16 v151, v71 offset:64
	ds_read_u16 v152, v71 offset:208
	ds_read_u16 v153, v71 offset:240
	ds_read_u16 v154, v71 offset:96
	s_waitcnt lgkmcnt(6)
	v_perm_b32 v118, v109, v117, s88
	v_cvt_f32_f16_e32 v116, v110
	v_cvt_f32_f16_sdwa v117, v110 dst_sel:DWORD dst_unused:UNUSED_PAD src0_sel:WORD_1
	v_pk_mul_f16 v110, v108, v127
	v_cvt_pk_f16_f32 v131, v136, v137
	v_mfma_f32_16x16x16_f16 v[114:117], v[118:119], v[128:129], v[114:117]
	v_pk_mul_f16 v107, v107, v127
	v_pk_mul_f16 v105, v105, v127
	v_cvt_f32_f16_e32 v122, v107
	v_pk_mul_f16 v49, v49, v127
	s_nop 3
	v_cvt_f16_f32_e32 v108, v114
	v_cvt_f16_f32_e32 v109, v115
	;; [unrolled: 1-line block ×4, first 2 shown]
	v_cvt_f32_f16_e32 v114, v108
	ds_read_u16 v108, v71 offset:4608
	ds_read_u16 v118, v71 offset:4752
	;; [unrolled: 1-line block ×8, first 2 shown]
	v_cvt_f32_f16_e32 v115, v109
	v_perm_b32 v109, v121, v120, s88
	s_waitcnt lgkmcnt(6)
	v_perm_b32 v108, v118, v108, s88
	v_cvt_f32_f16_e32 v116, v116
	v_cvt_f32_f16_e32 v117, v117
	;; [unrolled: 1-line block ×3, first 2 shown]
	v_cvt_f32_f16_sdwa v121, v110 dst_sel:DWORD dst_unused:UNUSED_PAD src0_sel:WORD_1
	v_mfma_f32_16x16x16_f16 v[116:119], v[108:109], v[130:131], v[114:117]
	v_perm_b32 v109, v143, v123, s88
	v_perm_b32 v108, v150, v149, s88
	v_cvt_f32_f16_sdwa v123, v107 dst_sel:DWORD dst_unused:UNUSED_PAD src0_sel:WORD_1
	v_perm_b32 v115, v145, v139, s88
	v_perm_b32 v114, v152, v151, s88
	v_mfma_f32_16x16x16_f16 v[120:123], v[108:109], v[128:129], v[120:123]
	s_waitcnt lgkmcnt(0)
	s_barrier
	s_nop 5
	v_cvt_f16_f32_e32 v108, v121
	v_cvt_f16_f32_e32 v109, v122
	;; [unrolled: 1-line block ×4, first 2 shown]
	v_cvt_f32_f16_e32 v121, v108
	v_cvt_f32_f16_e32 v122, v109
	v_perm_b32 v109, v144, v138, s88
	v_perm_b32 v108, v156, v155, s88
	v_cvt_f32_f16_e32 v120, v107
	v_cvt_f32_f16_e32 v123, v110
	v_pk_mul_f16 v107, v106, v127
	s_nop 0
	v_mfma_f32_16x16x16_f16 v[120:123], v[108:109], v[130:131], v[120:123]
	v_cvt_f32_f16_e32 v106, v107
	v_cvt_f32_f16_sdwa v107, v107 dst_sel:DWORD dst_unused:UNUSED_PAD src0_sel:WORD_1
	v_cvt_f32_f16_e32 v108, v105
	v_cvt_f32_f16_sdwa v109, v105 dst_sel:DWORD dst_unused:UNUSED_PAD src0_sel:WORD_1
	v_add_f32_e32 v105, v124, v125
	v_add_f32_e32 v110, v126, v105
	v_mfma_f32_16x16x16_f16 v[106:109], v[114:115], v[128:129], v[106:109]
	v_perm_b32 v115, v146, v140, s88
	v_perm_b32 v114, v158, v157, s88
	v_pk_mul_f16 v105, v104, v127
	s_nop 0
	v_cvt_f32_f16_e32 v104, v105
	s_nop 2
	v_cvt_f16_f32_e32 v106, v106
	v_cvt_f16_f32_e32 v107, v107
	;; [unrolled: 1-line block ×4, first 2 shown]
	v_cvt_f32_f16_e32 v106, v106
	v_cvt_f32_f16_e32 v107, v107
	;; [unrolled: 1-line block ×4, first 2 shown]
	v_cvt_f32_f16_sdwa v105, v105 dst_sel:DWORD dst_unused:UNUSED_PAD src0_sel:WORD_1
	s_nop 0
	v_mfma_f32_16x16x16_f16 v[124:127], v[114:115], v[130:131], v[106:109]
	s_nop 2
	v_perm_b32 v109, v148, v142, s88
	v_perm_b32 v108, v153, v154, s88
	v_cvt_f32_f16_e32 v106, v49
	v_cvt_f32_f16_sdwa v107, v49 dst_sel:DWORD dst_unused:UNUSED_PAD src0_sel:WORD_1
	v_add_f32_e32 v49, v132, v110
	v_add_f32_e32 v49, v133, v49
	v_mfma_f32_16x16x16_f16 v[104:107], v[108:109], v[128:129], v[104:107]
	v_perm_b32 v109, v147, v141, s88
	v_perm_b32 v108, v159, v160, s88
	v_add_f32_e32 v49, v134, v49
	v_add_f32_e32 v49, v136, v49
	s_nop 3
	v_cvt_f16_f32_e32 v104, v104
	v_cvt_f16_f32_e32 v105, v105
	;; [unrolled: 1-line block ×4, first 2 shown]
	v_cvt_f32_f16_e32 v104, v104
	v_cvt_f32_f16_e32 v105, v105
	;; [unrolled: 1-line block ×4, first 2 shown]
	v_add_f32_e32 v114, v137, v49
	v_fmac_f32_e32 v114, v113, v135
	v_mfma_f32_16x16x16_f16 v[128:131], v[108:109], v[130:131], v[104:107]
	v_cvt_pk_f16_f32 v109, v116, v117
	v_cvt_pk_f16_f32 v110, v118, v119
	;; [unrolled: 1-line block ×6, first 2 shown]
	s_nop 1
	v_cvt_pk_f16_f32 v104, v128, v129
	v_cvt_pk_f16_f32 v49, v130, v131
	s_cbranch_scc0 .LBB0_113
; %bb.111:                              ;   in Loop: Header=BB0_110 Depth=2
	v_mov_b32_e32 v113, v114
	v_mov_b32_e32 v114, v111
	s_and_saveexec_b64 s[10:11], s[0:1]
	s_cbranch_execnz .LBB0_109
	s_branch .LBB0_110
.LBB0_112:                              ;   in Loop: Header=BB0_12 Depth=1
	v_mov_b32_e32 v111, 0xfeffffff
	v_mov_b32_e32 v114, 0
	s_mov_b64 s[10:11], 0
	v_mov_b32_e32 v49, 0
	v_mov_b32_e32 v104, 0
	;; [unrolled: 1-line block ×8, first 2 shown]
	s_and_saveexec_b64 s[14:15], s[0:1]
	s_cbranch_execnz .LBB0_114
	s_branch .LBB0_115
.LBB0_113:                              ;   in Loop: Header=BB0_12 Depth=1
	s_lshl_b32 s62, s14, 6
	s_mov_b64 s[10:11], s[62:63]
	s_and_saveexec_b64 s[14:15], s[0:1]
	s_cbranch_execz .LBB0_115
.LBB0_114:                              ;   in Loop: Header=BB0_12 Depth=1
	v_or_b32_e32 v10, s68, v43
	v_mul_hi_u32 v11, s44, v10
	s_lshl_b64 s[80:81], s[10:11], 1
	v_add_u32_e32 v11, v10, v11
	s_add_u32 s78, s78, s80
	v_lshrrev_b32_e32 v11, s45, v11
	s_addc_u32 s79, s79, s81
	v_mul_lo_u32 v11, v11, s36
	v_readlane_b32 s80, v161, 21
	v_sub_u32_e32 v10, v10, v11
	v_readlane_b32 s81, v161, 22
	v_mad_i64_i32 v[10:11], s[80:81], v10, s80, 0
	v_lshl_add_u64 v[10:11], v[10:11], 1, s[78:79]
	v_lshlrev_b32_e32 v18, 1, v14
	v_lshl_add_u64 v[10:11], v[10:11], 0, v[18:19]
	global_load_dword v10, v[10:11], off
	s_waitcnt vmcnt(0)
	ds_write_b32 v45, v10 offset:9216
.LBB0_115:                              ;   in Loop: Header=BB0_12 Depth=1
	s_or_b64 exec, exec, s[14:15]
	s_mul_i32 s11, s10, s39
	s_mul_hi_u32 s14, s10, s38
	s_add_i32 s15, s14, s11
	s_mul_i32 s14, s10, s38
	s_lshl_b64 s[14:15], s[14:15], 2
	s_add_u32 s14, s65, s14
	s_addc_u32 s15, s66, s15
	v_lshl_add_u64 v[10:11], v[22:23], 2, s[14:15]
	v_lshlrev_b32_e32 v18, 2, v20
	v_lshl_add_u64 v[12:13], v[24:25], 2, s[14:15]
	v_lshl_add_u64 v[10:11], v[10:11], 0, v[18:19]
	v_lshl_add_u64 v[58:59], v[12:13], 0, v[18:19]
	global_load_dwordx4 v[10:13], v[10:11], off
	s_nop 0
	global_load_dwordx4 v[58:61], v[58:59], off
	v_add_u32_e32 v62, v66, v67
	v_add_u32_e32 v63, 0x1000, v62
	;; [unrolled: 1-line block ×3, first 2 shown]
	s_mul_i32 s11, s10, s35
	s_mul_hi_u32 s14, s10, s34
	s_add_i32 s11, s14, s11
	s_mul_i32 s10, s10, s34
	s_lshl_b64 s[10:11], s[10:11], 2
	s_add_u32 s10, s46, s10
	s_addc_u32 s11, s64, s11
	s_cmp_lg_u64 s[76:77], 0
	s_waitcnt vmcnt(1)
	ds_write_b128 v64, v[10:13]
	s_waitcnt vmcnt(0)
	ds_write_b128 v94, v[58:61]
	s_waitcnt lgkmcnt(0)
	s_barrier
	ds_read2_b64 v[10:13], v62 offset1:4
	ds_read2_b64 v[58:61], v63 offset0:64 offset1:68
	s_waitcnt lgkmcnt(1)
	v_mfma_f32_16x16x16_f16 v[116:119], v[10:11], v[6:7], 0
	v_and_b32_e32 v10, 64, v102
	v_xor_b32_e32 v11, 32, v102
	v_add_u32_e32 v113, 64, v10
	v_cmp_lt_i32_e32 vcc, v11, v113
	ds_read2_b64 v[124:127], v62 offset0:8 offset1:12
	s_waitcnt lgkmcnt(1)
	v_mfma_f32_16x16x16_f16 v[120:123], v[58:59], v[6:7], 0
	v_cndmask_b32_e32 v58, v102, v11, vcc
	v_lshlrev_b32_e32 v59, 2, v58
	v_mfma_f32_16x16x16_f16 v[10:13], v[12:13], v[8:9], v[116:119]
	s_nop 2
	ds_read2_b64 v[116:119], v63 offset0:72 offset1:76
	v_mfma_f32_16x16x16_f16 v[6:9], v[60:61], v[8:9], v[120:123]
	s_waitcnt lgkmcnt(0)
	s_barrier
	ds_read2_b32 v[60:61], v112 offset1:1
	v_mfma_f32_16x16x16_f16 v[10:13], v[124:125], v[2:3], v[10:13]
	ds_read_b32 v58, v69 offset:9216
	ds_read_b32 v62, v70 offset:9216
	s_waitcnt lgkmcnt(2)
	v_cvt_f32_f16_e32 v63, v60
	v_mfma_f32_16x16x16_f16 v[6:9], v[116:117], v[2:3], v[6:9]
	v_cvt_f32_f16_sdwa v60, v60 dst_sel:DWORD dst_unused:UNUSED_PAD src0_sel:WORD_1
	v_cvt_f32_f16_e32 v112, v61
	v_cvt_f32_f16_sdwa v61, v61 dst_sel:DWORD dst_unused:UNUSED_PAD src0_sel:WORD_1
	v_mfma_f32_16x16x16_f16 v[10:13], v[126:127], v[4:5], v[10:13]
	s_waitcnt lgkmcnt(1)
	v_cvt_f32_f16_e32 v115, v58
	v_cvt_f32_f16_sdwa v58, v58 dst_sel:DWORD dst_unused:UNUSED_PAD src0_sel:WORD_1
	s_waitcnt lgkmcnt(0)
	v_cvt_f32_f16_e32 v116, v62
	v_mfma_f32_16x16x16_f16 v[2:5], v[118:119], v[4:5], v[6:9]
	v_cvt_f32_f16_sdwa v62, v62 dst_sel:DWORD dst_unused:UNUSED_PAD src0_sel:WORD_1
	s_nop 1
	v_add_f32_e32 v6, v10, v63
	v_add_f32_e32 v7, v11, v60
	;; [unrolled: 1-line block ×4, first 2 shown]
	s_nop 0
	v_add_f32_e32 v10, v3, v58
	v_add_f32_e32 v11, v4, v116
	;; [unrolled: 1-line block ×8, first 2 shown]
	v_max3_f32 v3, v111, v3, v4
	v_add_f32_e32 v58, 0x40051340, v2
	v_add_f32_e32 v60, 0x40051340, v10
	v_max3_f32 v3, v3, v5, v13
	v_add_f32_e32 v61, 0x40051340, v11
	v_add_f32_e32 v62, 0x40051340, v12
	v_max3_f32 v3, v3, v58, v60
	v_max3_f32 v3, v3, v61, v62
	ds_bpermute_b32 v4, v59, v3
	v_xor_b32_e32 v5, 16, v102
	v_cmp_lt_i32_e32 vcc, v5, v113
	s_waitcnt lgkmcnt(0)
	v_max_f32_e32 v4, v4, v4
	v_cndmask_b32_e32 v5, v102, v5, vcc
	v_lshlrev_b32_e32 v60, 2, v5
	v_max_f32_e32 v3, v3, v4
	ds_bpermute_b32 v4, v60, v3
	s_waitcnt lgkmcnt(0)
	v_max_f32_e32 v4, v4, v4
	v_max_f32_e32 v58, v3, v4
	v_sub_f32_e32 v3, v6, v58
	v_sub_f32_e32 v4, v7, v58
	;; [unrolled: 1-line block ×3, first 2 shown]
	v_mul_f32_e32 v2, 0x3fb8aa3b, v3
	v_sub_f32_e32 v5, v8, v58
	v_mul_f32_e32 v6, 0x3fb8aa3b, v4
	v_fma_f32 v62, v3, s47, -v2
	v_rndne_f32_e32 v63, v2
	v_sub_f32_e32 v13, v9, v58
	v_mul_f32_e32 v7, 0x3fb8aa3b, v5
	v_fma_f32 v112, v4, s47, -v6
	v_rndne_f32_e32 v113, v6
	v_fmac_f32_e32 v62, 0x32a5705f, v3
	v_sub_f32_e32 v2, v2, v63
	v_mul_f32_e32 v8, 0x3fb8aa3b, v13
	v_fma_f32 v115, v5, s47, -v7
	v_rndne_f32_e32 v116, v7
	v_fmac_f32_e32 v112, 0x32a5705f, v4
	v_sub_f32_e32 v6, v6, v113
	v_add_f32_e32 v2, v2, v62
	v_fma_f32 v117, v13, s47, -v8
	v_rndne_f32_e32 v118, v8
	v_cvt_i32_f32_e32 v63, v63
	v_fmac_f32_e32 v115, 0x32a5705f, v5
	v_sub_f32_e32 v7, v7, v116
	v_add_f32_e32 v6, v6, v112
	v_exp_f32_e32 v2, v2
	v_cvt_i32_f32_e32 v113, v113
	v_fmac_f32_e32 v117, 0x32a5705f, v13
	v_sub_f32_e32 v8, v8, v118
	v_add_f32_e32 v7, v7, v115
	v_exp_f32_e32 v6, v6
	v_cvt_i32_f32_e32 v116, v116
	v_add_f32_e32 v8, v8, v117
	v_exp_f32_e32 v7, v7
	v_cvt_i32_f32_e32 v118, v118
	v_exp_f32_e32 v8, v8
	v_ldexp_f32 v2, v2, v63
	v_cmp_ngt_f32_e32 vcc, s33, v3
	v_ldexp_f32 v6, v6, v113
	v_ldexp_f32 v7, v7, v116
	v_cndmask_b32_e32 v2, 0, v2, vcc
	v_cmp_ngt_f32_e32 vcc, s33, v4
	v_ldexp_f32 v8, v8, v118
	v_mul_f32_e32 v9, 0x3fb8aa3b, v61
	v_cndmask_b32_e32 v6, 0, v6, vcc
	v_cmp_ngt_f32_e32 vcc, s33, v5
	v_fma_f32 v119, v61, s47, -v9
	v_rndne_f32_e32 v120, v9
	v_cndmask_b32_e32 v7, 0, v7, vcc
	v_cmp_ngt_f32_e32 vcc, s33, v13
	v_fmac_f32_e32 v119, 0x32a5705f, v61
	v_sub_f32_e32 v9, v9, v120
	v_cndmask_b32_e32 v62, 0, v8, vcc
	v_cmp_nlt_f32_e32 vcc, s8, v3
	v_add_f32_e32 v116, v9, v119
	v_sub_f32_e32 v10, v10, v58
	v_cndmask_b32_e32 v112, v103, v2, vcc
	v_cmp_nlt_f32_e32 vcc, s8, v4
	v_sub_f32_e32 v11, v11, v58
	v_sub_f32_e32 v12, v12, v58
	v_cndmask_b32_e32 v113, v103, v6, vcc
	v_cmp_nlt_f32_e32 vcc, s8, v5
	v_add_f32_e32 v2, v112, v113
	v_lshl_add_u64 v[4:5], v[28:29], 2, s[10:11]
	v_cndmask_b32_e32 v63, v103, v7, vcc
	v_add_f32_e32 v115, v63, v2
	v_lshl_add_u64 v[2:3], v[26:27], 2, s[10:11]
	v_lshl_add_u64 v[2:3], v[2:3], 0, v[18:19]
	;; [unrolled: 1-line block ×3, first 2 shown]
	global_load_dwordx4 v[2:5], v[2:3], off
	s_nop 0
	global_load_dwordx4 v[6:9], v[6:7], off
	v_exp_f32_e32 v18, v116
	v_cvt_i32_f32_e32 v116, v120
	v_cmp_nlt_f32_e32 vcc, s8, v13
	v_sub_f32_e32 v111, v111, v58
	s_waitcnt vmcnt(1)
	ds_write_b128 v64, v[2:5]
	s_waitcnt vmcnt(0)
	ds_write_b128 v94, v[6:9]
	v_cndmask_b32_e32 v13, v103, v62, vcc
	v_add_f32_e32 v62, v13, v115
	v_mul_f32_e32 v115, 0x3fb8aa3b, v10
	v_ldexp_f32 v18, v18, v116
	v_fma_f32 v116, v10, s47, -v115
	v_rndne_f32_e32 v117, v115
	v_fmac_f32_e32 v116, 0x32a5705f, v10
	v_sub_f32_e32 v115, v115, v117
	v_add_f32_e32 v115, v115, v116
	v_exp_f32_e32 v115, v115
	v_cvt_i32_f32_e32 v116, v117
	v_cmp_ngt_f32_e32 vcc, s33, v61
	s_waitcnt lgkmcnt(0)
	s_barrier
	v_cndmask_b32_e32 v18, 0, v18, vcc
	v_cmp_nlt_f32_e32 vcc, s8, v61
	v_cvt_pk_f16_f32 v63, v63, v13
	s_nop 0
	v_cndmask_b32_e32 v18, v103, v18, vcc
	v_add_f32_e32 v61, v18, v62
	v_ldexp_f32 v62, v115, v116
	v_mul_f32_e32 v115, 0x3fb8aa3b, v11
	v_fma_f32 v116, v11, s47, -v115
	v_rndne_f32_e32 v117, v115
	v_fmac_f32_e32 v116, 0x32a5705f, v11
	v_sub_f32_e32 v115, v115, v117
	v_add_f32_e32 v115, v115, v116
	v_exp_f32_e32 v115, v115
	v_cvt_i32_f32_e32 v116, v117
	v_cmp_ngt_f32_e32 vcc, s33, v10
	s_cselect_b64 s[10:11], -1, 0
	s_and_b64 s[14:15], s[12:13], s[10:11]
	v_cndmask_b32_e32 v62, 0, v62, vcc
	v_cmp_nlt_f32_e32 vcc, s8, v10
	s_nop 1
	v_cndmask_b32_e32 v10, v103, v62, vcc
	v_ldexp_f32 v62, v115, v116
	v_cmp_ngt_f32_e32 vcc, s33, v11
	v_add_f32_e32 v61, v10, v61
	s_nop 0
	v_cndmask_b32_e32 v62, 0, v62, vcc
	v_cmp_nlt_f32_e32 vcc, s8, v11
	s_nop 1
	v_cndmask_b32_e32 v11, v103, v62, vcc
	v_mul_f32_e32 v62, 0x3fb8aa3b, v12
	v_fma_f32 v115, v12, s47, -v62
	v_rndne_f32_e32 v116, v62
	v_fmac_f32_e32 v115, 0x32a5705f, v12
	v_sub_f32_e32 v62, v62, v116
	v_add_f32_e32 v62, v62, v115
	v_cvt_i32_f32_e32 v115, v116
	v_mul_f32_e32 v116, 0x3fb8aa3b, v111
	v_fma_f32 v117, v111, s47, -v116
	v_rndne_f32_e32 v118, v116
	v_fmac_f32_e32 v117, 0x32a5705f, v111
	v_sub_f32_e32 v116, v116, v118
	v_exp_f32_e32 v62, v62
	v_add_f32_e32 v116, v116, v117
	v_exp_f32_e32 v116, v116
	v_cvt_i32_f32_e32 v117, v118
	v_ldexp_f32 v62, v62, v115
	v_cmp_ngt_f32_e32 vcc, s33, v12
	v_add_f32_e32 v61, v11, v61
	v_ldexp_f32 v115, v116, v117
	v_cndmask_b32_e32 v62, 0, v62, vcc
	v_cmp_ngt_f32_e32 vcc, s33, v111
	s_nop 1
	v_cndmask_b32_e32 v115, 0, v115, vcc
	v_cmp_nlt_f32_e32 vcc, s8, v111
	s_nop 1
	v_cndmask_b32_e32 v115, v103, v115, vcc
	v_cmp_le_f32_e32 vcc, s9, v111
	s_nop 1
	v_cndmask_b32_e32 v111, 0, v115, vcc
	v_cvt_f16_f32_e32 v115, v111
	v_cmp_nlt_f32_e32 vcc, s8, v12
	s_nop 1
	v_cndmask_b32_e32 v12, v103, v62, vcc
	v_add_f32_e32 v61, v12, v61
	v_fmac_f32_e32 v61, v114, v111
	v_mul_u32_u24_e32 v111, 0x10001, v115
	v_pk_mul_f16 v62, v109, v111
	v_pk_mul_f16 v109, v110, v111
	ds_read_u16 v5, v72
	ds_read_u16 v110, v72 offset:32
	ds_read_u16 v8, v72 offset:4608
	;; [unrolled: 1-line block ×7, first 2 shown]
	ds_read_u16 v6, v73
	ds_read_u16 v119, v73 offset:32
	ds_read_u16 v9, v73 offset:4608
	;; [unrolled: 1-line block ×7, first 2 shown]
	s_waitcnt lgkmcnt(7)
	v_perm_b32 v7, v6, v5, s88
	ds_read_u16 v5, v71 offset:144
	ds_read_u16 v6, v71
	ds_read_u16 v125, v71 offset:32
	ds_read_u16 v126, v71 offset:176
	;; [unrolled: 1-line block ×6, first 2 shown]
	s_waitcnt lgkmcnt(6)
	v_perm_b32 v6, v5, v6, s88
	v_cvt_f32_f16_e32 v2, v62
	v_cvt_f32_f16_sdwa v3, v62 dst_sel:DWORD dst_unused:UNUSED_PAD src0_sel:WORD_1
	v_cvt_f32_f16_e32 v4, v109
	v_cvt_f32_f16_sdwa v5, v109 dst_sel:DWORD dst_unused:UNUSED_PAD src0_sel:WORD_1
	v_cvt_pk_f16_f32 v62, v112, v113
	v_pk_mul_f16 v108, v108, v111
	v_pk_mul_f16 v109, v107, v111
	v_mfma_f32_16x16x16_f16 v[2:5], v[6:7], v[62:63], v[2:5]
	v_perm_b32 v7, v9, v8, s88
	ds_read_u16 v6, v71 offset:4608
	ds_read_u16 v8, v71 offset:4752
	;; [unrolled: 1-line block ×8, first 2 shown]
	s_waitcnt lgkmcnt(6)
	v_perm_b32 v6, v8, v6, s88
	v_cvt_f16_f32_e32 v2, v2
	v_cvt_f16_f32_e32 v3, v3
	;; [unrolled: 1-line block ×4, first 2 shown]
	v_cvt_f32_f16_e32 v2, v2
	v_cvt_f32_f16_e32 v3, v3
	;; [unrolled: 1-line block ×4, first 2 shown]
	v_pk_mul_f16 v134, v106, v111
	v_cvt_pk_f16_f32 v107, v11, v12
	v_cvt_pk_f16_f32 v106, v18, v10
	v_perm_b32 v11, v119, v110, s88
	v_perm_b32 v10, v126, v125, s88
	v_mfma_f32_16x16x16_f16 v[6:9], v[6:7], v[106:107], v[2:5]
	v_pk_mul_f16 v18, v105, v111
	v_perm_b32 v12, v128, v127, s88
	v_pk_mul_f16 v104, v104, v111
	v_cvt_f32_f16_e32 v2, v108
	v_cvt_f32_f16_sdwa v3, v108 dst_sel:DWORD dst_unused:UNUSED_PAD src0_sel:WORD_1
	v_cvt_f32_f16_e32 v4, v109
	v_cvt_f32_f16_sdwa v5, v109 dst_sel:DWORD dst_unused:UNUSED_PAD src0_sel:WORD_1
	s_nop 0
	v_cvt_f16_f32_e32 v105, v8
	v_cvt_f16_f32_e32 v109, v9
	v_mfma_f32_16x16x16_f16 v[2:5], v[10:11], v[62:63], v[2:5]
	v_perm_b32 v11, v120, v114, s88
	s_waitcnt lgkmcnt(4)
	v_perm_b32 v10, v112, v13, s88
	v_perm_b32 v13, v121, v115, s88
	v_pk_mul_f16 v49, v49, v111
	s_nop 2
	v_cvt_f16_f32_e32 v2, v2
	v_cvt_f16_f32_e32 v3, v3
	;; [unrolled: 1-line block ×4, first 2 shown]
	v_cvt_f32_f16_e32 v2, v2
	v_cvt_f32_f16_e32 v3, v3
	;; [unrolled: 1-line block ×4, first 2 shown]
	v_cvt_f16_f32_e32 v108, v6
	v_cvt_f16_f32_e32 v110, v7
	v_mfma_f32_16x16x16_f16 v[8:11], v[10:11], v[106:107], v[2:5]
	s_waitcnt lgkmcnt(0)
	s_barrier
	s_nop 0
	v_cvt_f32_f16_e32 v2, v134
	v_cvt_f32_f16_sdwa v3, v134 dst_sel:DWORD dst_unused:UNUSED_PAD src0_sel:WORD_1
	v_cvt_f32_f16_e32 v4, v18
	v_cvt_f32_f16_sdwa v5, v18 dst_sel:DWORD dst_unused:UNUSED_PAD src0_sel:WORD_1
	v_perm_b32 v18, v109, v105, s88
	v_cvt_f16_f32_e32 v112, v10
	v_mfma_f32_16x16x16_f16 v[2:5], v[12:13], v[62:63], v[2:5]
	v_perm_b32 v13, v122, v116, s88
	v_perm_b32 v12, v131, v113, s88
	v_cvt_f16_f32_e32 v113, v11
	v_cvt_f32_f16_e32 v10, v104
	s_nop 3
	v_cvt_f16_f32_e32 v2, v2
	v_cvt_f16_f32_e32 v3, v3
	v_cvt_f16_f32_e32 v4, v4
	v_cvt_f16_f32_e32 v5, v5
	v_cvt_f32_f16_e32 v2, v2
	v_cvt_f32_f16_e32 v3, v3
	;; [unrolled: 1-line block ×4, first 2 shown]
	v_cvt_f32_f16_sdwa v11, v104 dst_sel:DWORD dst_unused:UNUSED_PAD src0_sel:WORD_1
	v_perm_b32 v105, v124, v118, s88
	v_perm_b32 v104, v129, v130, s88
	v_mfma_f32_16x16x16_f16 v[2:5], v[12:13], v[106:107], v[2:5]
	v_cvt_f32_f16_e32 v12, v49
	v_cvt_f32_f16_sdwa v13, v49 dst_sel:DWORD dst_unused:UNUSED_PAD src0_sel:WORD_1
	v_cvt_f16_f32_e32 v109, v8
	v_cvt_f16_f32_e32 v111, v9
	v_mfma_f32_16x16x16_f16 v[10:13], v[104:105], v[62:63], v[10:13]
	s_nop 2
	v_cvt_f16_f32_e32 v4, v4
	v_cvt_f16_f32_e32 v5, v5
	v_perm_b32 v63, v123, v117, s88
	v_perm_b32 v62, v132, v133, s88
	s_nop 0
	v_cvt_f16_f32_e32 v10, v10
	v_cvt_f16_f32_e32 v11, v11
	;; [unrolled: 1-line block ×4, first 2 shown]
	v_cvt_f32_f16_e32 v10, v10
	v_cvt_f32_f16_e32 v11, v11
	;; [unrolled: 1-line block ×4, first 2 shown]
	v_perm_b32 v4, v5, v4, s88
	ds_bpermute_b32 v5, v59, v61
	v_mfma_f32_16x16x16_f16 v[10:13], v[62:63], v[106:107], v[10:13]
	v_cvt_f16_f32_e32 v104, v2
	v_cvt_f16_f32_e32 v105, v3
	s_waitcnt lgkmcnt(0)
	v_add_f32_e32 v59, v61, v5
	ds_bpermute_b32 v61, v60, v59
	s_nop 2
	v_cvt_f16_f32_e32 v62, v10
	v_cvt_f16_f32_e32 v12, v12
	;; [unrolled: 1-line block ×4, first 2 shown]
	v_perm_b32 v49, v113, v112, s88
	s_waitcnt lgkmcnt(0)
	v_add_f32_e32 v59, v59, v61
	v_perm_b32 v5, v13, v12, s88
	v_perm_b32 v12, v110, v108, s88
	;; [unrolled: 1-line block ×5, first 2 shown]
	s_and_saveexec_b64 s[10:11], s[14:15]
	s_cbranch_execz .LBB0_117
; %bb.116:                              ;   in Loop: Header=BB0_12 Depth=1
	v_lshlrev_b32_e32 v12, 2, v32
	global_load_dword v12, v12, s[76:77]
	v_cvt_pk_f16_f32 v13, v6, v7
	v_max_f32_e32 v6, v58, v58
	v_cvt_pk_f16_f32 v8, v8, v9
	v_cvt_pk_f16_f32 v2, v2, v3
	;; [unrolled: 1-line block ×3, first 2 shown]
	s_waitcnt vmcnt(0)
	v_max_f32_e32 v7, v12, v12
	v_max_f32_e32 v6, v6, v7
	v_sub_f32_e32 v7, v58, v6
	v_sub_f32_e32 v9, v12, v6
	v_mul_f32_e32 v12, 0x3fb8aa3b, v7
	v_mul_f32_e32 v58, 0x3fb8aa3b, v9
	v_fma_f32 v61, v7, s47, -v12
	v_rndne_f32_e32 v62, v12
	v_fma_f32 v63, v9, s47, -v58
	v_rndne_f32_e32 v104, v58
	v_fmac_f32_e32 v61, 0x32a5705f, v7
	v_sub_f32_e32 v12, v12, v62
	v_fmac_f32_e32 v63, 0x32a5705f, v9
	v_sub_f32_e32 v58, v58, v104
	v_add_f32_e32 v12, v12, v61
	v_cvt_i32_f32_e32 v62, v62
	v_add_f32_e32 v58, v58, v63
	v_exp_f32_e32 v12, v12
	v_cvt_i32_f32_e32 v104, v104
	v_exp_f32_e32 v58, v58
	v_cmp_ngt_f32_e32 vcc, s33, v7
	v_ldexp_f32 v10, v12, v62
	v_ldexp_f32 v11, v58, v104
	v_cndmask_b32_e32 v10, 0, v10, vcc
	v_cmp_ngt_f32_e32 vcc, s33, v9
	s_nop 1
	v_cndmask_b32_e32 v11, 0, v11, vcc
	v_cmp_nlt_f32_e32 vcc, s8, v7
	s_nop 1
	v_cndmask_b32_e32 v10, v103, v10, vcc
	v_cmp_le_f32_e32 vcc, s9, v7
	s_nop 1
	v_cndmask_b32_e32 v10, 0, v10, vcc
	v_cvt_f16_f32_e32 v12, v10
	v_cmp_nlt_f32_e32 vcc, s8, v9
	v_mul_u32_u24_e32 v9, 0x10001, v12
	s_nop 0
	v_cndmask_b32_e32 v7, v103, v11, vcc
	v_fmac_f32_e32 v7, v59, v10
	v_pk_mul_f16 v12, v13, v9
	v_pk_mul_f16 v18, v18, v9
	;; [unrolled: 1-line block ×8, first 2 shown]
	v_mov_b64_e32 v[58:59], v[6:7]
.LBB0_117:                              ;   in Loop: Header=BB0_12 Depth=1
	s_or_b64 exec, exec, s[10:11]
	s_and_saveexec_b64 s[10:11], s[6:7]
; %bb.118:                              ;   in Loop: Header=BB0_12 Depth=1
	v_add_u32_e32 v2, 0, v74
	ds_write2_b32 v2, v58, v59 offset0:32 offset1:33
; %bb.119:                              ;   in Loop: Header=BB0_12 Depth=1
	s_or_b64 exec, exec, s[10:11]
	s_waitcnt lgkmcnt(0)
	s_barrier
	s_and_saveexec_b64 s[10:11], s[4:5]
	s_xor_b64 s[10:11], exec, s[10:11]
	s_cbranch_execz .LBB0_121
; %bb.120:                              ;   in Loop: Header=BB0_12 Depth=1
	s_barrier
                                        ; implicit-def: $vgpr60
.LBB0_121:                              ;   in Loop: Header=BB0_12 Depth=1
	s_andn2_saveexec_b64 s[10:11], s[10:11]
	s_cbranch_execz .LBB0_125
; %bb.122:                              ;   in Loop: Header=BB0_12 Depth=1
	v_add_u32_e32 v6, 0, v75
	ds_read_b64 v[2:3], v6 offset:128
	s_waitcnt lgkmcnt(0)
	s_barrier
	ds_bpermute_b32 v7, v60, v2
	v_max_f32_e32 v8, v2, v2
	s_waitcnt lgkmcnt(0)
	v_max_f32_e32 v7, v7, v7
	v_max_f32_e32 v7, v8, v7
	v_sub_f32_e32 v2, v2, v7
	v_mul_f32_e32 v7, 0x3fb8aa3b, v2
	v_fma_f32 v8, v2, s47, -v7
	v_rndne_f32_e32 v9, v7
	v_fmac_f32_e32 v8, 0x32a5705f, v2
	v_sub_f32_e32 v7, v7, v9
	v_add_f32_e32 v7, v7, v8
	v_cvt_i32_f32_e32 v9, v9
	v_exp_f32_e32 v7, v7
	v_cmp_ngt_f32_e32 vcc, s33, v2
	v_ldexp_f32 v7, v7, v9
	s_nop 0
	v_cndmask_b32_e32 v7, 0, v7, vcc
	v_cmp_nlt_f32_e32 vcc, s8, v2
	s_nop 1
	v_cndmask_b32_e32 v2, v103, v7, vcc
	v_mul_f32_e32 v3, v3, v2
	ds_bpermute_b32 v7, v60, v3
	s_mov_b64 s[14:15], exec
	v_readlane_b32 s64, v161, 9
	v_readlane_b32 s65, v161, 10
	s_and_b64 s[64:65], s[14:15], s[64:65]
	s_mov_b64 exec, s[64:65]
	s_cbranch_execz .LBB0_124
; %bb.123:                              ;   in Loop: Header=BB0_12 Depth=1
	s_waitcnt lgkmcnt(0)
	v_add_f32_e32 v3, v3, v7
	ds_write_b64 v6, v[2:3] offset:128
.LBB0_124:                              ;   in Loop: Header=BB0_12 Depth=1
	s_or_b64 exec, exec, s[14:15]
.LBB0_125:                              ;   in Loop: Header=BB0_12 Depth=1
	s_or_b64 exec, exec, s[10:11]
	v_add_u32_e32 v2, v65, v76
	ds_write2_b32 v2, v12, v18 offset1:1
	ds_write2_b32 v2, v13, v49 offset0:8 offset1:9
	ds_write2_b32 v2, v61, v4 offset0:16 offset1:17
	;; [unrolled: 1-line block ×3, first 2 shown]
	s_waitcnt lgkmcnt(0)
	s_barrier
	s_and_saveexec_b64 s[76:77], s[12:13]
	s_cbranch_execz .LBB0_10
; %bb.126:                              ;   in Loop: Header=BB0_12 Depth=1
	v_add_u32_e32 v2, s68, v97
	v_or_b32_e32 v3, s2, v36
	v_cmp_gt_i32_e32 vcc, s36, v2
	v_cmp_gt_i32_e64 s[10:11], s3, v3
	s_and_b64 s[64:65], vcc, s[10:11]
	v_mov_b32_e32 v3, 0x47
	s_and_saveexec_b64 s[14:15], s[64:65]
	s_cbranch_execz .LBB0_128
; %bb.127:                              ;   in Loop: Header=BB0_12 Depth=1
	v_add_u32_e32 v3, v92, v81
	ds_read2st64_b32 v[4:5], v3 offset1:9
	v_add_u32_e32 v3, 0, v81
	ds_read2_b32 v[6:7], v3 offset0:32 offset1:33
	ds_read_b32 v8, v3 offset:2432
	v_mad_u64_u32 v[2:3], s[64:65], v2, s37, v[36:37]
	s_waitcnt lgkmcnt(2)
	v_cvt_f32_f16_e32 v10, v4
	v_cvt_f32_f16_sdwa v11, v4 dst_sel:DWORD dst_unused:UNUSED_PAD src0_sel:WORD_1
	v_cvt_f32_f16_e32 v4, v5
	v_cvt_f32_f16_sdwa v5, v5 dst_sel:DWORD dst_unused:UNUSED_PAD src0_sel:WORD_1
	v_lshl_or_b32 v2, v2, 5, v16
	s_waitcnt lgkmcnt(1)
	v_pk_fma_f32 v[10:11], v[6:7], v[10:11], 0 op_sel_hi:[0,1,0]
	v_ashrrev_i32_e32 v3, 31, v2
	s_waitcnt lgkmcnt(0)
	v_pk_fma_f32 v[4:5], v[8:9], v[4:5], v[10:11] op_sel_hi:[0,1,1]
	v_div_scale_f32 v6, s[64:65], v7, v7, v5
	v_rcp_f32_e32 v8, v6
	v_lshl_add_u64 v[2:3], v[2:3], 3, s[74:75]
	v_fma_f32 v9, -v6, v8, 1.0
	v_fmac_f32_e32 v8, v9, v8
	v_div_scale_f32 v9, vcc, v5, v7, v5
	v_mul_f32_e32 v10, v9, v8
	v_fma_f32 v11, -v6, v10, v9
	v_fmac_f32_e32 v10, v11, v8
	v_fma_f32 v6, -v6, v10, v9
	v_div_scale_f32 v9, s[64:65], v7, v7, v4
	v_rcp_f32_e32 v11, v9
	v_div_fmas_f32 v6, v6, v8, v10
	v_div_fixup_f32 v5, v6, v7, v5
	v_fma_f32 v6, -v9, v11, 1.0
	v_fmac_f32_e32 v11, v6, v11
	v_div_scale_f32 v6, vcc, v4, v7, v4
	v_mul_f32_e32 v8, v6, v11
	v_fma_f32 v10, -v9, v8, v6
	v_fmac_f32_e32 v8, v10, v11
	v_fma_f32 v6, -v9, v8, v6
	v_div_fmas_f32 v6, v6, v11, v8
	v_div_fixup_f32 v4, v6, v7, v4
	global_store_dwordx2 v[2:3], v[4:5], off
	v_mov_b32_e32 v3, 0
.LBB0_128:                              ;   in Loop: Header=BB0_12 Depth=1
	s_or_b64 exec, exec, s[14:15]
	s_movk_i32 s14, 0x47
	v_cmp_gt_i32_e32 vcc, s14, v3
	s_mov_b64 s[14:15], -1
	s_and_saveexec_b64 s[78:79], vcc
; %bb.129:                              ;   in Loop: Header=BB0_12 Depth=1
	v_cmp_eq_u32_e32 vcc, 0, v3
	s_orn2_b64 s[14:15], vcc, exec
; %bb.130:                              ;   in Loop: Header=BB0_12 Depth=1
	s_or_b64 exec, exec, s[78:79]
	s_and_b64 exec, exec, s[14:15]
	s_cbranch_execz .LBB0_10
; %bb.131:                              ;   in Loop: Header=BB0_12 Depth=1
	v_add_u32_e32 v2, s68, v98
	v_or_b32_e32 v3, s2, v38
	v_cmp_gt_i32_e32 vcc, s36, v2
	v_cmp_gt_i32_e64 s[14:15], s3, v3
	s_and_b64 s[64:65], vcc, s[14:15]
	v_mov_b32_e32 v3, 0x47
	s_and_saveexec_b64 s[14:15], s[64:65]
	s_cbranch_execz .LBB0_133
; %bb.132:                              ;   in Loop: Header=BB0_12 Depth=1
	v_add_u32_e32 v3, v92, v82
	ds_read2st64_b32 v[4:5], v3 offset1:9
	v_add_u32_e32 v3, 0, v82
	ds_read2_b32 v[6:7], v3 offset0:32 offset1:33
	ds_read_b32 v8, v3 offset:2432
	v_mad_u64_u32 v[2:3], s[64:65], v2, s37, v[38:39]
	s_waitcnt lgkmcnt(2)
	v_cvt_f32_f16_e32 v10, v4
	v_cvt_f32_f16_sdwa v11, v4 dst_sel:DWORD dst_unused:UNUSED_PAD src0_sel:WORD_1
	v_cvt_f32_f16_e32 v4, v5
	v_cvt_f32_f16_sdwa v5, v5 dst_sel:DWORD dst_unused:UNUSED_PAD src0_sel:WORD_1
	v_lshl_or_b32 v2, v2, 5, v16
	s_waitcnt lgkmcnt(1)
	v_pk_fma_f32 v[10:11], v[6:7], v[10:11], 0 op_sel_hi:[0,1,0]
	v_ashrrev_i32_e32 v3, 31, v2
	s_waitcnt lgkmcnt(0)
	v_pk_fma_f32 v[4:5], v[8:9], v[4:5], v[10:11] op_sel_hi:[0,1,1]
	v_div_scale_f32 v6, s[64:65], v7, v7, v5
	v_rcp_f32_e32 v8, v6
	v_lshl_add_u64 v[2:3], v[2:3], 3, s[74:75]
	v_fma_f32 v9, -v6, v8, 1.0
	v_fmac_f32_e32 v8, v9, v8
	v_div_scale_f32 v9, vcc, v5, v7, v5
	v_mul_f32_e32 v10, v9, v8
	v_fma_f32 v11, -v6, v10, v9
	v_fmac_f32_e32 v10, v11, v8
	v_fma_f32 v6, -v6, v10, v9
	v_div_scale_f32 v9, s[64:65], v7, v7, v4
	v_rcp_f32_e32 v11, v9
	v_div_fmas_f32 v6, v6, v8, v10
	v_div_fixup_f32 v5, v6, v7, v5
	v_fma_f32 v6, -v9, v11, 1.0
	v_fmac_f32_e32 v11, v6, v11
	v_div_scale_f32 v6, vcc, v4, v7, v4
	v_mul_f32_e32 v8, v6, v11
	v_fma_f32 v10, -v9, v8, v6
	v_fmac_f32_e32 v8, v10, v11
	v_fma_f32 v6, -v9, v8, v6
	v_div_fmas_f32 v6, v6, v11, v8
	v_div_fixup_f32 v4, v6, v7, v4
	global_store_dwordx2 v[2:3], v[4:5], off
	v_mov_b32_e32 v3, 0
.LBB0_133:                              ;   in Loop: Header=BB0_12 Depth=1
	s_or_b64 exec, exec, s[14:15]
	s_movk_i32 s14, 0x47
	v_cmp_gt_i32_e32 vcc, s14, v3
	s_mov_b64 s[14:15], -1
	s_and_saveexec_b64 s[78:79], vcc
; %bb.134:                              ;   in Loop: Header=BB0_12 Depth=1
	v_cmp_eq_u32_e32 vcc, 0, v3
	s_orn2_b64 s[14:15], vcc, exec
; %bb.135:                              ;   in Loop: Header=BB0_12 Depth=1
	s_or_b64 exec, exec, s[78:79]
	s_and_b64 exec, exec, s[14:15]
	s_cbranch_execz .LBB0_10
; %bb.136:                              ;   in Loop: Header=BB0_12 Depth=1
	v_add_u32_e32 v2, s68, v83
	v_cmp_gt_i32_e32 vcc, s36, v2
	s_and_b64 s[64:65], vcc, s[10:11]
	v_mov_b32_e32 v3, 0x47
	s_and_saveexec_b64 s[14:15], s[64:65]
	s_cbranch_execz .LBB0_138
; %bb.137:                              ;   in Loop: Header=BB0_12 Depth=1
	v_add_u32_e32 v3, v92, v84
	ds_read2st64_b32 v[4:5], v3 offset1:9
	v_add_u32_e32 v3, 0, v84
	ds_read2_b32 v[6:7], v3 offset0:32 offset1:33
	ds_read_b32 v8, v3 offset:2432
	v_mad_u64_u32 v[2:3], s[64:65], v2, s37, v[36:37]
	s_waitcnt lgkmcnt(2)
	v_cvt_f32_f16_e32 v10, v4
	v_cvt_f32_f16_sdwa v11, v4 dst_sel:DWORD dst_unused:UNUSED_PAD src0_sel:WORD_1
	v_cvt_f32_f16_e32 v4, v5
	v_cvt_f32_f16_sdwa v5, v5 dst_sel:DWORD dst_unused:UNUSED_PAD src0_sel:WORD_1
	v_lshl_or_b32 v2, v2, 5, v16
	s_waitcnt lgkmcnt(1)
	v_pk_fma_f32 v[10:11], v[6:7], v[10:11], 0 op_sel_hi:[0,1,0]
	v_ashrrev_i32_e32 v3, 31, v2
	s_waitcnt lgkmcnt(0)
	v_pk_fma_f32 v[4:5], v[8:9], v[4:5], v[10:11] op_sel_hi:[0,1,1]
	v_div_scale_f32 v6, s[64:65], v7, v7, v5
	v_rcp_f32_e32 v8, v6
	v_lshl_add_u64 v[2:3], v[2:3], 3, s[74:75]
	v_fma_f32 v9, -v6, v8, 1.0
	v_fmac_f32_e32 v8, v9, v8
	v_div_scale_f32 v9, vcc, v5, v7, v5
	v_mul_f32_e32 v10, v9, v8
	v_fma_f32 v11, -v6, v10, v9
	v_fmac_f32_e32 v10, v11, v8
	v_fma_f32 v6, -v6, v10, v9
	v_div_scale_f32 v9, s[64:65], v7, v7, v4
	v_rcp_f32_e32 v11, v9
	v_div_fmas_f32 v6, v6, v8, v10
	v_div_fixup_f32 v5, v6, v7, v5
	v_fma_f32 v6, -v9, v11, 1.0
	v_fmac_f32_e32 v11, v6, v11
	v_div_scale_f32 v6, vcc, v4, v7, v4
	v_mul_f32_e32 v8, v6, v11
	v_fma_f32 v10, -v9, v8, v6
	v_fmac_f32_e32 v8, v10, v11
	v_fma_f32 v6, -v9, v8, v6
	v_div_fmas_f32 v6, v6, v11, v8
	v_div_fixup_f32 v4, v6, v7, v4
	global_store_dwordx2 v[2:3], v[4:5], off
	v_mov_b32_e32 v3, 0
.LBB0_138:                              ;   in Loop: Header=BB0_12 Depth=1
	s_or_b64 exec, exec, s[14:15]
	s_movk_i32 s14, 0x47
	v_cmp_gt_i32_e32 vcc, s14, v3
	s_mov_b64 s[14:15], -1
	s_and_saveexec_b64 s[78:79], vcc
; %bb.139:                              ;   in Loop: Header=BB0_12 Depth=1
	v_cmp_eq_u32_e32 vcc, 0, v3
	s_orn2_b64 s[14:15], vcc, exec
; %bb.140:                              ;   in Loop: Header=BB0_12 Depth=1
	s_or_b64 exec, exec, s[78:79]
	s_and_b64 exec, exec, s[14:15]
	s_cbranch_execz .LBB0_10
; %bb.141:                              ;   in Loop: Header=BB0_12 Depth=1
	v_add_u32_e32 v2, s68, v99
	v_or_b32_e32 v3, s2, v40
	v_cmp_gt_i32_e32 vcc, s36, v2
	v_cmp_gt_i32_e64 s[14:15], s3, v3
	s_and_b64 s[64:65], vcc, s[14:15]
	v_mov_b32_e32 v3, 0x47
	s_and_saveexec_b64 s[14:15], s[64:65]
	s_cbranch_execz .LBB0_143
; %bb.142:                              ;   in Loop: Header=BB0_12 Depth=1
	v_add_u32_e32 v3, v92, v85
	ds_read2st64_b32 v[4:5], v3 offset1:9
	v_add_u32_e32 v3, 0, v85
	ds_read2_b32 v[6:7], v3 offset0:32 offset1:33
	ds_read_b32 v8, v3 offset:2432
	v_mad_u64_u32 v[2:3], s[64:65], v2, s37, v[40:41]
	s_waitcnt lgkmcnt(2)
	v_cvt_f32_f16_e32 v10, v4
	v_cvt_f32_f16_sdwa v11, v4 dst_sel:DWORD dst_unused:UNUSED_PAD src0_sel:WORD_1
	v_cvt_f32_f16_e32 v4, v5
	v_cvt_f32_f16_sdwa v5, v5 dst_sel:DWORD dst_unused:UNUSED_PAD src0_sel:WORD_1
	v_lshl_or_b32 v2, v2, 5, v16
	s_waitcnt lgkmcnt(1)
	v_pk_fma_f32 v[10:11], v[6:7], v[10:11], 0 op_sel_hi:[0,1,0]
	v_ashrrev_i32_e32 v3, 31, v2
	s_waitcnt lgkmcnt(0)
	v_pk_fma_f32 v[4:5], v[8:9], v[4:5], v[10:11] op_sel_hi:[0,1,1]
	v_div_scale_f32 v6, s[64:65], v7, v7, v5
	v_rcp_f32_e32 v8, v6
	v_lshl_add_u64 v[2:3], v[2:3], 3, s[74:75]
	v_fma_f32 v9, -v6, v8, 1.0
	v_fmac_f32_e32 v8, v9, v8
	v_div_scale_f32 v9, vcc, v5, v7, v5
	v_mul_f32_e32 v10, v9, v8
	v_fma_f32 v11, -v6, v10, v9
	v_fmac_f32_e32 v10, v11, v8
	v_fma_f32 v6, -v6, v10, v9
	v_div_scale_f32 v9, s[64:65], v7, v7, v4
	v_rcp_f32_e32 v11, v9
	v_div_fmas_f32 v6, v6, v8, v10
	v_div_fixup_f32 v5, v6, v7, v5
	v_fma_f32 v6, -v9, v11, 1.0
	v_fmac_f32_e32 v11, v6, v11
	v_div_scale_f32 v6, vcc, v4, v7, v4
	v_mul_f32_e32 v8, v6, v11
	v_fma_f32 v10, -v9, v8, v6
	v_fmac_f32_e32 v8, v10, v11
	v_fma_f32 v6, -v9, v8, v6
	v_div_fmas_f32 v6, v6, v11, v8
	v_div_fixup_f32 v4, v6, v7, v4
	global_store_dwordx2 v[2:3], v[4:5], off
	v_mov_b32_e32 v3, 0
.LBB0_143:                              ;   in Loop: Header=BB0_12 Depth=1
	s_or_b64 exec, exec, s[14:15]
	s_movk_i32 s14, 0x47
	v_cmp_gt_i32_e32 vcc, s14, v3
	s_mov_b64 s[14:15], -1
	s_and_saveexec_b64 s[78:79], vcc
; %bb.144:                              ;   in Loop: Header=BB0_12 Depth=1
	v_cmp_eq_u32_e32 vcc, 0, v3
	s_orn2_b64 s[14:15], vcc, exec
; %bb.145:                              ;   in Loop: Header=BB0_12 Depth=1
	s_or_b64 exec, exec, s[78:79]
	s_and_b64 exec, exec, s[14:15]
	s_cbranch_execz .LBB0_10
; %bb.146:                              ;   in Loop: Header=BB0_12 Depth=1
	v_add_u32_e32 v2, s68, v86
	v_cmp_gt_i32_e32 vcc, s36, v2
	s_and_b64 s[64:65], vcc, s[10:11]
	v_mov_b32_e32 v3, 0x47
	s_and_saveexec_b64 s[14:15], s[64:65]
	s_cbranch_execz .LBB0_148
; %bb.147:                              ;   in Loop: Header=BB0_12 Depth=1
	v_add_u32_e32 v3, v92, v87
	ds_read2st64_b32 v[4:5], v3 offset1:9
	v_add_u32_e32 v3, 0, v87
	ds_read2_b32 v[6:7], v3 offset0:32 offset1:33
	ds_read_b32 v8, v3 offset:2432
	v_mad_u64_u32 v[2:3], s[64:65], v2, s37, v[36:37]
	s_waitcnt lgkmcnt(2)
	v_cvt_f32_f16_e32 v10, v4
	v_cvt_f32_f16_sdwa v11, v4 dst_sel:DWORD dst_unused:UNUSED_PAD src0_sel:WORD_1
	v_cvt_f32_f16_e32 v4, v5
	v_cvt_f32_f16_sdwa v5, v5 dst_sel:DWORD dst_unused:UNUSED_PAD src0_sel:WORD_1
	v_lshl_or_b32 v2, v2, 5, v16
	s_waitcnt lgkmcnt(1)
	v_pk_fma_f32 v[10:11], v[6:7], v[10:11], 0 op_sel_hi:[0,1,0]
	v_ashrrev_i32_e32 v3, 31, v2
	s_waitcnt lgkmcnt(0)
	v_pk_fma_f32 v[4:5], v[8:9], v[4:5], v[10:11] op_sel_hi:[0,1,1]
	v_div_scale_f32 v6, s[64:65], v7, v7, v5
	v_rcp_f32_e32 v8, v6
	v_lshl_add_u64 v[2:3], v[2:3], 3, s[74:75]
	v_fma_f32 v9, -v6, v8, 1.0
	v_fmac_f32_e32 v8, v9, v8
	v_div_scale_f32 v9, vcc, v5, v7, v5
	v_mul_f32_e32 v10, v9, v8
	v_fma_f32 v11, -v6, v10, v9
	v_fmac_f32_e32 v10, v11, v8
	v_fma_f32 v6, -v6, v10, v9
	v_div_scale_f32 v9, s[64:65], v7, v7, v4
	v_rcp_f32_e32 v11, v9
	v_div_fmas_f32 v6, v6, v8, v10
	v_div_fixup_f32 v5, v6, v7, v5
	v_fma_f32 v6, -v9, v11, 1.0
	v_fmac_f32_e32 v11, v6, v11
	v_div_scale_f32 v6, vcc, v4, v7, v4
	v_mul_f32_e32 v8, v6, v11
	v_fma_f32 v10, -v9, v8, v6
	v_fmac_f32_e32 v8, v10, v11
	v_fma_f32 v6, -v9, v8, v6
	v_div_fmas_f32 v6, v6, v11, v8
	v_div_fixup_f32 v4, v6, v7, v4
	global_store_dwordx2 v[2:3], v[4:5], off
	v_mov_b32_e32 v3, 0
.LBB0_148:                              ;   in Loop: Header=BB0_12 Depth=1
	s_or_b64 exec, exec, s[14:15]
	s_movk_i32 s14, 0x47
	v_cmp_gt_i32_e32 vcc, s14, v3
	s_mov_b64 s[14:15], -1
	s_and_saveexec_b64 s[78:79], vcc
; %bb.149:                              ;   in Loop: Header=BB0_12 Depth=1
	v_cmp_eq_u32_e32 vcc, 0, v3
	s_orn2_b64 s[14:15], vcc, exec
; %bb.150:                              ;   in Loop: Header=BB0_12 Depth=1
	s_or_b64 exec, exec, s[78:79]
	s_and_b64 exec, exec, s[14:15]
	s_cbranch_execz .LBB0_10
; %bb.151:                              ;   in Loop: Header=BB0_12 Depth=1
	v_add_u32_e32 v2, s68, v100
	v_or_b32_e32 v3, s2, v42
	v_cmp_gt_i32_e32 vcc, s36, v2
	v_cmp_gt_i32_e64 s[14:15], s3, v3
	s_and_b64 s[64:65], vcc, s[14:15]
	v_mov_b32_e32 v3, 0x47
	s_and_saveexec_b64 s[14:15], s[64:65]
	s_cbranch_execz .LBB0_153
; %bb.152:                              ;   in Loop: Header=BB0_12 Depth=1
	v_add_u32_e32 v3, v92, v88
	ds_read2st64_b32 v[4:5], v3 offset1:9
	v_add_u32_e32 v3, 0, v88
	ds_read2_b32 v[6:7], v3 offset0:32 offset1:33
	ds_read_b32 v8, v3 offset:2432
	v_mad_u64_u32 v[2:3], s[64:65], v2, s37, v[42:43]
	s_waitcnt lgkmcnt(2)
	v_cvt_f32_f16_e32 v10, v4
	v_cvt_f32_f16_sdwa v11, v4 dst_sel:DWORD dst_unused:UNUSED_PAD src0_sel:WORD_1
	v_cvt_f32_f16_e32 v4, v5
	v_cvt_f32_f16_sdwa v5, v5 dst_sel:DWORD dst_unused:UNUSED_PAD src0_sel:WORD_1
	v_lshl_or_b32 v2, v2, 5, v16
	s_waitcnt lgkmcnt(1)
	v_pk_fma_f32 v[10:11], v[6:7], v[10:11], 0 op_sel_hi:[0,1,0]
	v_ashrrev_i32_e32 v3, 31, v2
	s_waitcnt lgkmcnt(0)
	v_pk_fma_f32 v[4:5], v[8:9], v[4:5], v[10:11] op_sel_hi:[0,1,1]
	v_div_scale_f32 v6, s[64:65], v7, v7, v5
	v_rcp_f32_e32 v8, v6
	v_lshl_add_u64 v[2:3], v[2:3], 3, s[74:75]
	v_fma_f32 v9, -v6, v8, 1.0
	v_fmac_f32_e32 v8, v9, v8
	v_div_scale_f32 v9, vcc, v5, v7, v5
	v_mul_f32_e32 v10, v9, v8
	v_fma_f32 v11, -v6, v10, v9
	v_fmac_f32_e32 v10, v11, v8
	v_fma_f32 v6, -v6, v10, v9
	v_div_scale_f32 v9, s[64:65], v7, v7, v4
	v_rcp_f32_e32 v11, v9
	v_div_fmas_f32 v6, v6, v8, v10
	v_div_fixup_f32 v5, v6, v7, v5
	v_fma_f32 v6, -v9, v11, 1.0
	v_fmac_f32_e32 v11, v6, v11
	v_div_scale_f32 v6, vcc, v4, v7, v4
	v_mul_f32_e32 v8, v6, v11
	v_fma_f32 v10, -v9, v8, v6
	v_fmac_f32_e32 v8, v10, v11
	v_fma_f32 v6, -v9, v8, v6
	v_div_fmas_f32 v6, v6, v11, v8
	v_div_fixup_f32 v4, v6, v7, v4
	global_store_dwordx2 v[2:3], v[4:5], off
	v_mov_b32_e32 v3, 0
.LBB0_153:                              ;   in Loop: Header=BB0_12 Depth=1
	s_or_b64 exec, exec, s[14:15]
	s_movk_i32 s14, 0x47
	v_cmp_gt_i32_e32 vcc, s14, v3
	s_mov_b64 s[14:15], -1
	s_and_saveexec_b64 s[78:79], vcc
; %bb.154:                              ;   in Loop: Header=BB0_12 Depth=1
	v_cmp_eq_u32_e32 vcc, 0, v3
	s_orn2_b64 s[14:15], vcc, exec
; %bb.155:                              ;   in Loop: Header=BB0_12 Depth=1
	s_or_b64 exec, exec, s[78:79]
	s_and_b64 exec, exec, s[14:15]
	s_cbranch_execz .LBB0_10
; %bb.156:                              ;   in Loop: Header=BB0_12 Depth=1
	v_add_u32_e32 v2, s68, v89
	v_cmp_gt_i32_e32 vcc, s36, v2
	s_and_b64 s[14:15], vcc, s[10:11]
	v_mov_b32_e32 v3, 0x47
	s_and_saveexec_b64 s[10:11], s[14:15]
	s_cbranch_execz .LBB0_158
; %bb.157:                              ;   in Loop: Header=BB0_12 Depth=1
	v_add_u32_e32 v3, v92, v90
	ds_read2st64_b32 v[4:5], v3 offset1:9
	v_add_u32_e32 v3, 0, v90
	ds_read2_b32 v[6:7], v3 offset0:32 offset1:33
	ds_read_b32 v8, v3 offset:2432
	v_mad_u64_u32 v[2:3], s[14:15], v2, s37, v[36:37]
	s_waitcnt lgkmcnt(2)
	v_cvt_f32_f16_e32 v10, v4
	v_cvt_f32_f16_sdwa v11, v4 dst_sel:DWORD dst_unused:UNUSED_PAD src0_sel:WORD_1
	v_cvt_f32_f16_e32 v4, v5
	v_cvt_f32_f16_sdwa v5, v5 dst_sel:DWORD dst_unused:UNUSED_PAD src0_sel:WORD_1
	v_lshl_or_b32 v2, v2, 5, v16
	s_waitcnt lgkmcnt(1)
	v_pk_fma_f32 v[10:11], v[6:7], v[10:11], 0 op_sel_hi:[0,1,0]
	v_ashrrev_i32_e32 v3, 31, v2
	s_waitcnt lgkmcnt(0)
	v_pk_fma_f32 v[4:5], v[8:9], v[4:5], v[10:11] op_sel_hi:[0,1,1]
	v_div_scale_f32 v6, s[14:15], v7, v7, v5
	v_rcp_f32_e32 v8, v6
	v_lshl_add_u64 v[2:3], v[2:3], 3, s[74:75]
	v_fma_f32 v9, -v6, v8, 1.0
	v_fmac_f32_e32 v8, v9, v8
	v_div_scale_f32 v9, vcc, v5, v7, v5
	v_mul_f32_e32 v10, v9, v8
	v_fma_f32 v11, -v6, v10, v9
	v_fmac_f32_e32 v10, v11, v8
	v_fma_f32 v6, -v6, v10, v9
	v_div_scale_f32 v9, s[14:15], v7, v7, v4
	v_rcp_f32_e32 v11, v9
	v_div_fmas_f32 v6, v6, v8, v10
	v_div_fixup_f32 v5, v6, v7, v5
	v_fma_f32 v6, -v9, v11, 1.0
	v_fmac_f32_e32 v11, v6, v11
	v_div_scale_f32 v6, vcc, v4, v7, v4
	v_mul_f32_e32 v8, v6, v11
	v_fma_f32 v10, -v9, v8, v6
	v_fmac_f32_e32 v8, v10, v11
	v_fma_f32 v6, -v9, v8, v6
	v_div_fmas_f32 v6, v6, v11, v8
	v_div_fixup_f32 v4, v6, v7, v4
	global_store_dwordx2 v[2:3], v[4:5], off
	v_mov_b32_e32 v3, 0
.LBB0_158:                              ;   in Loop: Header=BB0_12 Depth=1
	s_or_b64 exec, exec, s[10:11]
	s_movk_i32 s10, 0x47
	v_cmp_gt_i32_e32 vcc, s10, v3
	s_mov_b64 s[10:11], -1
	s_and_saveexec_b64 s[14:15], vcc
; %bb.159:                              ;   in Loop: Header=BB0_12 Depth=1
	v_cmp_eq_u32_e32 vcc, 0, v3
	s_orn2_b64 s[10:11], vcc, exec
; %bb.160:                              ;   in Loop: Header=BB0_12 Depth=1
	s_or_b64 exec, exec, s[14:15]
	s_and_b64 exec, exec, s[10:11]
	s_cbranch_execz .LBB0_10
; %bb.161:                              ;   in Loop: Header=BB0_12 Depth=1
	v_add_u32_e32 v2, s68, v101
	v_or_b32_e32 v3, s2, v44
	v_cmp_gt_i32_e32 vcc, s36, v2
	v_cmp_gt_i32_e64 s[10:11], s3, v3
	s_and_b64 s[10:11], vcc, s[10:11]
	s_and_b64 exec, exec, s[10:11]
	s_cbranch_execz .LBB0_10
; %bb.162:                              ;   in Loop: Header=BB0_12 Depth=1
	v_add_u32_e32 v3, v92, v91
	ds_read2st64_b32 v[4:5], v3 offset1:9
	v_add_u32_e32 v3, 0, v91
	ds_read2_b32 v[6:7], v3 offset0:32 offset1:33
	ds_read_b32 v8, v3 offset:2432
	v_mad_u64_u32 v[2:3], s[10:11], v2, s37, v[44:45]
	s_waitcnt lgkmcnt(2)
	v_cvt_f32_f16_e32 v10, v4
	v_cvt_f32_f16_sdwa v11, v4 dst_sel:DWORD dst_unused:UNUSED_PAD src0_sel:WORD_1
	v_cvt_f32_f16_e32 v4, v5
	v_cvt_f32_f16_sdwa v5, v5 dst_sel:DWORD dst_unused:UNUSED_PAD src0_sel:WORD_1
	v_lshl_or_b32 v2, v2, 5, v16
	s_waitcnt lgkmcnt(1)
	v_pk_fma_f32 v[10:11], v[6:7], v[10:11], 0 op_sel_hi:[0,1,0]
	v_ashrrev_i32_e32 v3, 31, v2
	s_waitcnt lgkmcnt(0)
	v_pk_fma_f32 v[4:5], v[8:9], v[4:5], v[10:11] op_sel_hi:[0,1,1]
	v_div_scale_f32 v6, s[10:11], v7, v7, v5
	v_rcp_f32_e32 v8, v6
	v_lshl_add_u64 v[2:3], v[2:3], 3, s[74:75]
	v_fma_f32 v9, -v6, v8, 1.0
	v_fmac_f32_e32 v8, v9, v8
	v_div_scale_f32 v9, vcc, v5, v7, v5
	v_mul_f32_e32 v10, v9, v8
	v_fma_f32 v11, -v6, v10, v9
	v_fmac_f32_e32 v10, v11, v8
	v_fma_f32 v6, -v6, v10, v9
	v_div_scale_f32 v9, s[10:11], v7, v7, v4
	v_rcp_f32_e32 v11, v9
	v_div_fmas_f32 v6, v6, v8, v10
	v_div_fixup_f32 v5, v6, v7, v5
	v_fma_f32 v6, -v9, v11, 1.0
	v_fmac_f32_e32 v11, v6, v11
	v_div_scale_f32 v6, vcc, v4, v7, v4
	v_mul_f32_e32 v8, v6, v11
	v_fma_f32 v10, -v9, v8, v6
	v_fmac_f32_e32 v8, v10, v11
	v_fma_f32 v6, -v9, v8, v6
	v_div_fmas_f32 v6, v6, v11, v8
	v_div_fixup_f32 v4, v6, v7, v4
	global_store_dwordx2 v[2:3], v[4:5], off
	s_branch .LBB0_10
.LBB0_163:
	v_readlane_b32 s33, v161, 11
	v_readlane_b32 s35, v161, 4
	;; [unrolled: 1-line block ×7, first 2 shown]
	s_andn2_b64 vcc, exec, s[10:11]
	s_cbranch_vccnz .LBB0_8
.LBB0_164:
	s_abs_i32 s0, s91
	v_cvt_f32_u32_e32 v2, s0
	s_sub_i32 s4, 0, s0
	s_abs_i32 s2, s56
	s_xor_b32 s1, s56, s91
	v_rcp_iflag_f32_e32 v2, v2
	s_ashr_i32 s1, s1, 31
	v_mov_b32_e32 v8, s67
	v_mul_f32_e32 v2, 0x4f7ffffe, v2
	v_cvt_u32_f32_e32 v2, v2
	s_nop 0
	v_readfirstlane_b32 s5, v2
	s_mul_i32 s4, s4, s5
	s_mul_hi_u32 s4, s5, s4
	s_add_i32 s5, s5, s4
	s_mul_hi_u32 s4, s2, s5
	s_mul_i32 s5, s4, s0
	s_sub_i32 s2, s2, s5
	s_add_i32 s6, s4, 1
	s_sub_i32 s5, s2, s0
	s_cmp_ge_u32 s2, s0
	s_cselect_b32 s4, s6, s4
	s_cselect_b32 s2, s5, s2
	s_add_i32 s5, s4, 1
	s_cmp_ge_u32 s2, s0
	s_cselect_b32 s0, s5, s4
	s_abs_i32 s4, s90
	v_cvt_f32_u32_e32 v2, s4
	s_xor_b32 s0, s0, s1
	s_sub_i32 s5, 0, s4
	s_sub_i32 s2, s0, s1
	v_rcp_iflag_f32_e32 v2, v2
	s_mul_i32 s0, s2, s91
	s_sub_i32 s0, s56, s0
	s_abs_i32 s6, s0
	v_mul_f32_e32 v2, 0x4f7ffffe, v2
	v_cvt_u32_f32_e32 v2, v2
	s_xor_b32 s1, s0, s90
	s_ashr_i32 s1, s1, 31
	v_readfirstlane_b32 s7, v2
	s_mul_i32 s5, s5, s7
	s_mul_hi_u32 s5, s7, s5
	s_add_i32 s7, s7, s5
	s_mul_hi_u32 s5, s6, s7
	s_mul_i32 s7, s5, s4
	s_sub_i32 s6, s6, s7
	s_add_i32 s8, s5, 1
	s_sub_i32 s7, s6, s4
	s_cmp_ge_u32 s6, s4
	s_cselect_b32 s5, s8, s5
	s_cselect_b32 s6, s7, s6
	s_add_i32 s7, s5, 1
	s_cmp_ge_u32 s6, s4
	s_cselect_b32 s4, s7, s5
	s_abs_i32 s5, s89
	v_cvt_f32_u32_e32 v2, s5
	s_xor_b32 s4, s4, s1
	s_sub_i32 s6, 0, s5
	s_sub_i32 s8, s4, s1
	v_rcp_iflag_f32_e32 v2, v2
	s_mul_i32 s1, s8, s90
	s_sub_i32 s1, s0, s1
	s_abs_i32 s4, s1
	v_mul_f32_e32 v2, 0x4f7ffffe, v2
	v_cvt_u32_f32_e32 v2, v2
	s_xor_b32 s0, s1, s89
	s_ashr_i32 s0, s0, 31
	v_readfirstlane_b32 s7, v2
	s_mul_i32 s6, s6, s7
	s_mul_hi_u32 s6, s7, s6
	s_add_i32 s7, s7, s6
	s_mul_hi_u32 s6, s4, s7
	s_mul_i32 s7, s6, s5
	s_sub_i32 s4, s4, s7
	s_add_i32 s9, s6, 1
	s_sub_i32 s7, s4, s5
	s_cmp_ge_u32 s4, s5
	s_cselect_b32 s6, s9, s6
	s_cselect_b32 s4, s7, s4
	s_add_i32 s7, s6, 1
	s_cmp_ge_u32 s4, s5
	s_cselect_b32 s4, s7, s6
	s_xor_b32 s4, s4, s0
	s_sub_i32 s0, s4, s0
	s_mul_i32 s4, s0, s89
	s_sub_i32 s1, s1, s4
	s_ashr_i32 s4, s1, 31
	v_readlane_b32 s5, v161, 3
	s_abs_i32 s1, s1
	s_xor_b32 s4, s4, s5
	s_mul_hi_u32 s5, s1, s54
	s_mul_i32 s6, s5, s93
	s_sub_i32 s1, s1, s6
	s_add_i32 s6, s5, 1
	s_sub_i32 s7, s1, s93
	s_cmp_ge_u32 s1, s93
	s_cselect_b32 s5, s6, s5
	s_cselect_b32 s1, s7, s1
	s_add_i32 s6, s5, 1
	s_cmp_ge_u32 s1, s93
	s_cselect_b32 s1, s6, s5
	s_abs_i32 s9, s14
	v_cvt_f32_u32_e32 v2, s9
	s_xor_b32 s1, s1, s4
	s_sub_i32 s1, s1, s4
	s_cmp_eq_u64 s[26:27], 0
	v_rcp_iflag_f32_e32 v2, v2
	s_nop 0
	v_mul_f32_e32 v2, 0x4f7ffffe, v2
	v_cvt_u32_f32_e32 v2, v2
	s_nop 0
	v_readfirstlane_b32 s11, v2
	s_cbranch_scc1 .LBB0_166
; %bb.165:
	v_readlane_b32 s4, v161, 0
	s_mul_i32 s4, s2, s4
	s_add_i32 s4, s1, s4
	s_ashr_i32 s5, s4, 31
	s_lshl_b64 s[4:5], s[4:5], 2
	s_add_u32 s4, s26, s4
	s_addc_u32 s5, s27, s5
	v_mov_b32_e32 v2, 0
	global_load_dword v2, v2, s[4:5]
	s_waitcnt vmcnt(0)
	v_ashrrev_i32_e32 v3, 31, v2
	v_lshrrev_b32_e32 v3, 26, v3
	v_add_u32_e32 v2, v2, v3
	v_ashrrev_i32_e32 v2, 6, v2
	v_min_i32_e32 v8, s67, v2
.LBB0_166:
	s_mul_i32 s4, s8, s3
	s_lshl_b32 s5, s0, 3
	s_add_i32 s0, s5, s4
	s_mul_i32 s4, s2, s49
	s_ashr_i32 s6, s4, 31
	s_add_u32 s4, s16, s4
	s_mul_i32 s0, s0, s48
	s_addc_u32 s7, s17, s6
	s_ashr_i32 s10, s0, 31
	s_add_u32 s6, s4, s0
	s_addc_u32 s7, s7, s10
	s_lshl_b32 s10, s1, 2
	v_lshrrev_b32_e32 v3, 3, v43
	v_and_b32_e32 v2, 7, v43
	v_add_u32_e32 v3, s10, v3
	v_or_b32_e32 v4, s5, v2
	v_cmp_le_i32_e64 s[0:1], s36, v3
	v_cmp_le_i32_e64 s[4:5], s3, v4
	s_mov_b32 s12, 0x10001
	v_lshl_add_u32 v22, v16, 2, 0
	v_cmp_gt_i32_e32 vcc, s3, v4
	s_or_b64 s[0:1], s[0:1], s[4:5]
	s_and_saveexec_b64 s[4:5], s[0:1]
	s_xor_b64 s[0:1], exec, s[4:5]
; %bb.167:
	s_movk_i32 s3, 0x90
	v_mad_u32_u24 v3, v43, s3, v22
	v_mov_b32_e32 v4, 0
	ds_write_b32 v3, v4
                                        ; implicit-def: $vgpr3
; %bb.168:
	s_or_saveexec_b64 s[0:1], s[0:1]
	v_mul_lo_u32 v1, v1, s12
	s_xor_b64 exec, exec, s[0:1]
	s_cbranch_execz .LBB0_170
; %bb.169:
	v_mul_lo_u32 v3, v3, s57
	v_mul_lo_u32 v4, v2, s55
	v_add3_u32 v4, v4, v16, v3
	v_ashrrev_i32_e32 v5, 31, v4
	v_lshl_add_u64 v[4:5], v[4:5], 3, s[6:7]
	global_load_dwordx2 v[4:5], v[4:5], off
	s_movk_i32 s3, 0x90
	s_waitcnt vmcnt(0)
	v_cvt_pk_f16_f32 v3, v4, v5
	v_pk_mul_f16 v3, v3, v1
	v_mad_u32_u24 v4, v43, s3, v22
	ds_write_b32 v4, v3
.LBB0_170:
	s_or_b64 exec, exec, s[0:1]
	v_add_u32_e32 v3, 8, v43
	v_lshrrev_b32_e32 v4, 3, v3
	v_add_u32_e32 v4, s10, v4
	v_cmp_le_i32_e64 s[0:1], s36, v4
	s_xor_b64 s[4:5], vcc, -1
	s_sub_i32 s3, 0, s9
	s_or_b64 s[0:1], s[0:1], s[4:5]
	s_and_saveexec_b64 s[12:13], s[0:1]
	s_xor_b64 s[0:1], exec, s[12:13]
; %bb.171:
	s_movk_i32 s12, 0x90
	v_mad_u32_u24 v3, v3, s12, v22
	v_mov_b32_e32 v4, 0
	ds_write_b32 v3, v4
                                        ; implicit-def: $vgpr4
                                        ; implicit-def: $vgpr3
; %bb.172:
	s_or_saveexec_b64 s[0:1], s[0:1]
	s_mul_i32 s3, s3, s11
	s_xor_b64 exec, exec, s[0:1]
	s_cbranch_execz .LBB0_174
; %bb.173:
	v_mul_lo_u32 v4, v4, s57
	v_mul_lo_u32 v5, v2, s55
	v_add3_u32 v4, v5, v16, v4
	v_ashrrev_i32_e32 v5, 31, v4
	v_lshl_add_u64 v[4:5], v[4:5], 3, s[6:7]
	global_load_dwordx2 v[4:5], v[4:5], off
	s_movk_i32 s12, 0x90
	v_mad_u32_u24 v3, v3, s12, v22
	s_waitcnt vmcnt(0)
	v_cvt_pk_f16_f32 v4, v4, v5
	v_pk_mul_f16 v4, v4, v1
	ds_write_b32 v3, v4
.LBB0_174:
	s_or_b64 exec, exec, s[0:1]
	v_add_u32_e32 v3, 16, v43
	v_lshrrev_b32_e32 v4, 3, v3
	v_add_u32_e32 v4, s10, v4
	v_cmp_le_i32_e32 vcc, s36, v4
	s_mul_hi_u32 s12, s11, s3
	s_or_b64 s[0:1], vcc, s[4:5]
	s_and_saveexec_b64 s[14:15], s[0:1]
	s_xor_b64 s[0:1], exec, s[14:15]
; %bb.175:
	s_movk_i32 s3, 0x90
	v_mad_u32_u24 v3, v3, s3, v22
	v_mov_b32_e32 v4, 0
	ds_write_b32 v3, v4
                                        ; implicit-def: $vgpr4
                                        ; implicit-def: $vgpr3
; %bb.176:
	s_or_saveexec_b64 s[0:1], s[0:1]
	s_abs_i32 s3, s2
	s_add_i32 s11, s11, s12
	s_xor_b64 exec, exec, s[0:1]
	s_cbranch_execz .LBB0_178
; %bb.177:
	v_mul_lo_u32 v4, v4, s57
	v_mul_lo_u32 v5, v2, s55
	v_add3_u32 v4, v5, v16, v4
	v_ashrrev_i32_e32 v5, 31, v4
	v_lshl_add_u64 v[4:5], v[4:5], 3, s[6:7]
	global_load_dwordx2 v[4:5], v[4:5], off
	s_movk_i32 s12, 0x90
	v_mad_u32_u24 v3, v3, s12, v22
	s_waitcnt vmcnt(0)
	v_cvt_pk_f16_f32 v4, v4, v5
	v_pk_mul_f16 v4, v4, v1
	ds_write_b32 v3, v4
.LBB0_178:
	s_or_b64 exec, exec, s[0:1]
	v_add_u32_e32 v3, 24, v43
	v_lshrrev_b32_e32 v4, 3, v3
	v_add_u32_e32 v4, s10, v4
	v_cmp_le_i32_e32 vcc, s36, v4
	s_mul_hi_u32 s13, s3, s11
	s_or_b64 s[0:1], vcc, s[4:5]
	s_and_saveexec_b64 s[4:5], s[0:1]
	s_xor_b64 s[0:1], exec, s[4:5]
; %bb.179:
	s_movk_i32 s4, 0x90
	v_mad_u32_u24 v1, v3, s4, v22
	v_mov_b32_e32 v2, 0
	ds_write_b32 v1, v2
                                        ; implicit-def: $vgpr4
                                        ; implicit-def: $vgpr2
                                        ; implicit-def: $vgpr1
                                        ; implicit-def: $vgpr3
; %bb.180:
	s_or_saveexec_b64 s[0:1], s[0:1]
	s_ashr_i32 s14, s2, 31
	v_and_b32_e32 v23, 0x3ff, v0
	s_xor_b64 exec, exec, s[0:1]
	s_cbranch_execz .LBB0_182
; %bb.181:
	v_mul_lo_u32 v0, v4, s57
	v_mul_lo_u32 v2, v2, s55
	v_add3_u32 v4, v2, v16, v0
	v_ashrrev_i32_e32 v5, 31, v4
	v_lshl_add_u64 v[4:5], v[4:5], 3, s[6:7]
	global_load_dwordx2 v[4:5], v[4:5], off
	s_movk_i32 s4, 0x90
	s_waitcnt vmcnt(0)
	v_cvt_pk_f16_f32 v0, v4, v5
	v_pk_mul_f16 v0, v0, v1
	v_mad_u32_u24 v1, v3, s4, v22
	ds_write_b32 v1, v0
.LBB0_182:
	s_or_b64 exec, exec, s[0:1]
	s_mul_hi_u32 s0, s40, s2
	s_mul_i32 s1, s40, s14
	s_add_i32 s0, s0, s1
	s_mul_i32 s1, s41, s2
	v_readlane_b32 s4, v161, 1
	s_add_i32 s0, s0, s1
	s_mul_i32 s1, s40, s2
	v_readlane_b32 s5, v161, 2
	s_add_u32 s1, s18, s1
	s_mul_i32 s4, s8, s5
	s_addc_u32 s0, s19, s0
	s_ashr_i32 s5, s4, 31
	s_add_u32 s11, s1, s4
	s_mul_i32 s13, s13, s9
	s_addc_u32 s12, s0, s5
	s_sub_i32 s0, s3, s13
	s_sub_i32 s1, s0, s9
	s_cmp_ge_u32 s0, s9
	s_cselect_b32 s0, s1, s0
	s_sub_i32 s1, s0, s9
	s_cmp_ge_u32 s0, s9
	s_cselect_b32 s0, s1, s0
	s_xor_b32 s0, s0, s14
	s_sub_i32 s0, s0, s14
	s_ashr_i32 s1, s0, 31
	s_mul_i32 s1, s52, s1
	s_mul_hi_u32 s3, s52, s0
	s_add_i32 s1, s3, s1
	s_mul_i32 s3, s53, s0
	s_add_i32 s1, s1, s3
	s_mul_i32 s0, s52, s0
	v_lshrrev_b32_e32 v11, 3, v23
	s_add_u32 s4, s22, s0
	v_and_b32_e32 v9, 0x1ff0, v39
	s_movk_i32 s6, 0x90
	v_and_b32_e32 v24, 15, v23
	v_and_b32_e32 v1, 0x7e, v11
	s_addc_u32 s5, s23, s1
	s_mul_hi_u32 s0, s50, s2
	s_mul_i32 s1, s50, s14
	v_mad_u32_u24 v0, v9, s6, 0
	v_mul_u32_u24_e32 v44, 0x90, v24
	v_lshlrev_b32_e32 v25, 2, v1
	s_add_i32 s0, s0, s1
	s_mul_i32 s1, s51, s2
	v_add3_u32 v0, v0, v44, v25
	s_add_i32 s0, s0, s1
	s_mul_i32 s1, s50, s2
	s_waitcnt lgkmcnt(0)
	s_barrier
	ds_read2_b64 v[4:7], v0 offset1:4
	ds_read2_b64 v[0:3], v0 offset0:8 offset1:12
	s_add_u32 s1, s20, s1
	s_mul_i32 s8, s8, s43
	s_addc_u32 s0, s21, s0
	s_ashr_i32 s3, s8, 31
	v_add_u32_e32 v47, -1, v8
	s_add_u32 s2, s1, s8
	v_cmp_ge_i32_e32 vcc, s84, v47
	v_add_u32_e32 v45, v39, v11
	s_addc_u32 s3, s0, s3
	s_and_b64 vcc, exec, vcc
	v_cmp_gt_u32_e64 s[0:1], 4, v43
	v_mul_lo_u32 v10, s38, v45
	v_lshrrev_b32_e32 v42, 2, v23
	v_and_or_b32 v40, v23, 8, v9
	v_mul_lo_u32 v8, s34, v45
	v_and_b32_e32 v32, 8, v39
	v_lshlrev_b32_e32 v34, 1, v11
	v_lshlrev_b32_e32 v31, 1, v24
	s_waitcnt lgkmcnt(0)
	s_barrier
	s_cbranch_vccnz .LBB0_189
; %bb.183:
	v_add_u32_e32 v9, s10, v43
	v_mul_hi_u32 v11, s44, v9
	v_add_u32_e32 v11, v9, v11
	v_lshrrev_b32_e32 v11, s45, v11
	v_mul_lo_u32 v11, v11, s36
	v_sub_u32_e32 v9, v9, v11
	v_lshlrev_b32_e32 v18, 2, v23
	v_mad_i64_i32 v[14:15], s[8:9], v9, s46, 0
	v_mul_u32_u24_e32 v11, 0x90, v43
	v_and_b32_e32 v12, 0x7c, v18
	v_lshl_add_u64 v[14:15], v[14:15], 1, s[4:5]
	v_mov_b32_e32 v13, 0
	v_add3_u32 v49, 0, v11, v12
	v_lshl_add_u64 v[14:15], v[14:15], 0, v[12:13]
	v_and_b32_e32 v12, 28, v18
	v_mul_u32_u24_e32 v9, 0x90, v45
	v_lshlrev_b32_e32 v11, 2, v12
	v_add3_u32 v50, 0, v9, v11
	v_and_b32_e32 v9, 16, v37
	v_and_b32_e32 v20, 0xfc, v42
	v_mul_u32_u24_e32 v27, 0x90, v9
	v_add_u32_e32 v21, v20, v9
	v_lshrrev_b32_e32 v28, 3, v40
	v_add_u16_e32 v9, v20, v9
	v_mad_u32_u24 v28, v28, s6, 0
	v_lshrrev_b16_e32 v9, 1, v9
	v_lshl_add_u32 v29, v9, 2, v28
	v_lshl_add_u32 v9, v21, 1, v28
	v_add_u32_e32 v52, 64, v9
	v_add_u32_e32 v53, 0x44, v9
	v_mbcnt_hi_u32_b32 v9, -1, v41
	v_and_b32_e32 v20, 64, v9
	v_add_u32_e32 v20, 64, v20
	v_xor_b32_e32 v21, 32, v9
	v_cmp_lt_i32_e32 vcc, v21, v20
	v_and_b32_e32 v28, 0xfc, v34
	v_or_b32_e32 v30, 2, v34
	v_cndmask_b32_e32 v21, v9, v21, vcc
	v_lshlrev_b32_e32 v54, 2, v21
	v_xor_b32_e32 v21, 16, v9
	v_cmp_lt_i32_e32 vcc, v21, v20
	v_or_b32_e32 v35, 3, v34
	s_movk_i32 s6, 0x120
	v_lshl_add_u32 v18, s38, 5, v10
	v_add3_u32 v26, 0, v44, v25
	v_cndmask_b32_e32 v9, v9, v21, vcc
	v_lshl_add_u32 v20, s34, 5, v8
	v_mul_u32_u24_e32 v28, 0x90, v28
	v_mul_u32_u24_e32 v30, 0x90, v30
	;; [unrolled: 1-line block ×3, first 2 shown]
	v_mad_u32_u24 v36, v32, s6, 0
	v_ashrrev_i32_e32 v11, 31, v10
	v_add_u32_e32 v51, 0x1200, v50
	v_ashrrev_i32_e32 v19, 31, v18
	v_lshlrev_b32_e32 v55, 2, v9
	v_ashrrev_i32_e32 v9, 31, v8
	v_ashrrev_i32_e32 v21, 31, v20
	v_add3_u32 v56, v36, v28, v31
	v_add3_u32 v57, v36, v30, v31
	;; [unrolled: 1-line block ×3, first 2 shown]
	s_lshl_b32 s6, s84, 6
	v_mov_b32_e32 v48, 0xfeffffff
	v_lshlrev_b32_e32 v12, 2, v12
	v_add_u32_e32 v59, v26, v27
	v_add_u32_e32 v60, 0x2400, v29
	s_mov_b32 s13, 0x3fb8aa3b
	s_mov_b32 s14, 0xc2ce8ed0
	;; [unrolled: 1-line block ×5, first 2 shown]
	v_mov_b32_e32 v61, 0x7f800000
	v_mov_b32_e32 v62, v13
	;; [unrolled: 1-line block ×10, first 2 shown]
	s_ashr_i32 s7, s6, 31
	s_and_saveexec_b64 s[8:9], s[0:1]
	s_cbranch_execz .LBB0_185
.LBB0_184:
	v_lshl_add_u64 v[64:65], s[6:7], 1, v[14:15]
	global_load_dword v46, v[64:65], off
	s_waitcnt vmcnt(0)
	ds_write_b32 v49, v46 offset:9216
.LBB0_185:                              ; =>This Inner Loop Header: Depth=1
	s_or_b64 exec, exec, s[8:9]
	s_mul_hi_i32 s9, s6, s38
	s_mul_i32 s8, s6, s38
	s_lshl_b64 s[8:9], s[8:9], 2
	s_add_u32 s8, s11, s8
	s_addc_u32 s9, s12, s9
	v_lshl_add_u64 v[64:65], v[10:11], 2, s[8:9]
	v_lshl_add_u64 v[72:73], v[64:65], 0, v[12:13]
	;; [unrolled: 1-line block ×4, first 2 shown]
	global_load_dwordx4 v[64:67], v[72:73], off
	global_load_dwordx4 v[68:71], v[74:75], off
	v_add_u32_e32 v46, 0x1000, v59
	s_mul_hi_i32 s9, s6, s34
	s_mul_i32 s8, s6, s34
	s_lshl_b64 s[8:9], s[8:9], 2
	s_add_u32 s8, s2, s8
	s_addc_u32 s9, s3, s9
	s_add_i32 s84, s84, 1
	s_add_i32 s6, s6, 64
	s_waitcnt vmcnt(1)
	ds_write_b128 v50, v[64:67]
	s_waitcnt vmcnt(0)
	ds_write_b128 v51, v[68:71]
	s_waitcnt lgkmcnt(0)
	s_barrier
	ds_read2_b64 v[64:67], v59 offset1:4
	ds_read2_b64 v[72:75], v46 offset0:64 offset1:68
	s_waitcnt lgkmcnt(1)
	v_mfma_f32_16x16x16_f16 v[68:71], v[64:65], v[4:5], 0
	ds_read2_b64 v[80:83], v59 offset0:8 offset1:12
	v_mfma_f32_16x16x16_f16 v[64:67], v[66:67], v[6:7], v[68:71]
	s_nop 5
	ds_read2_b64 v[68:71], v46 offset0:72 offset1:76
	s_waitcnt lgkmcnt(2)
	v_mfma_f32_16x16x16_f16 v[76:79], v[72:73], v[4:5], 0
	s_waitcnt lgkmcnt(0)
	s_barrier
	v_mfma_f32_16x16x16_f16 v[72:75], v[74:75], v[6:7], v[76:79]
	v_mfma_f32_16x16x16_f16 v[64:67], v[80:81], v[0:1], v[64:67]
	s_nop 3
	ds_read2_b32 v[76:77], v60 offset1:1
	ds_read_b32 v46, v52 offset:9216
	ds_read_b32 v63, v53 offset:9216
	s_waitcnt lgkmcnt(2)
	v_cvt_f32_f16_e32 v78, v76
	v_mfma_f32_16x16x16_f16 v[72:75], v[68:69], v[0:1], v[72:75]
	v_cvt_f32_f16_sdwa v76, v76 dst_sel:DWORD dst_unused:UNUSED_PAD src0_sel:WORD_1
	v_cvt_f32_f16_e32 v79, v77
	v_cvt_f32_f16_sdwa v77, v77 dst_sel:DWORD dst_unused:UNUSED_PAD src0_sel:WORD_1
	v_mfma_f32_16x16x16_f16 v[64:67], v[82:83], v[2:3], v[64:67]
	s_waitcnt lgkmcnt(1)
	v_cvt_f32_f16_e32 v80, v46
	v_cvt_f32_f16_sdwa v46, v46 dst_sel:DWORD dst_unused:UNUSED_PAD src0_sel:WORD_1
	s_waitcnt lgkmcnt(0)
	v_cvt_f32_f16_e32 v81, v63
	v_mfma_f32_16x16x16_f16 v[68:71], v[70:71], v[2:3], v[72:75]
	v_cvt_f32_f16_sdwa v63, v63 dst_sel:DWORD dst_unused:UNUSED_PAD src0_sel:WORD_1
	s_nop 0
	v_add_f32_e32 v78, v64, v78
	v_add_f32_e32 v76, v65, v76
	;; [unrolled: 1-line block ×4, first 2 shown]
	s_nop 1
	v_add_f32_e32 v82, v69, v46
	v_add_f32_e32 v46, 0x40051340, v78
	;; [unrolled: 1-line block ×6, first 2 shown]
	v_max3_f32 v46, v48, v46, v64
	v_add_f32_e32 v81, v70, v81
	v_add_f32_e32 v63, v71, v63
	;; [unrolled: 1-line block ×4, first 2 shown]
	v_max3_f32 v46, v46, v65, v66
	v_add_f32_e32 v69, 0x40051340, v81
	v_add_f32_e32 v70, 0x40051340, v63
	v_max3_f32 v46, v46, v67, v68
	v_max3_f32 v46, v46, v69, v70
	ds_bpermute_b32 v68, v54, v46
	v_lshl_add_u64 v[64:65], v[8:9], 2, s[8:9]
	v_lshl_add_u64 v[66:67], v[20:21], 2, s[8:9]
	;; [unrolled: 1-line block ×4, first 2 shown]
	s_waitcnt lgkmcnt(0)
	v_max_f32_e32 v68, v68, v68
	v_max_f32_e32 v46, v46, v68
	global_load_dwordx4 v[64:67], v[72:73], off
	global_load_dwordx4 v[68:71], v[74:75], off
	ds_bpermute_b32 v83, v55, v46
	s_waitcnt vmcnt(1)
	ds_write_b128 v50, v[64:67]
	s_waitcnt vmcnt(0)
	ds_write_b128 v51, v[68:71]
	s_waitcnt lgkmcnt(2)
	v_max_f32_e32 v72, v83, v83
	v_max_f32_e32 v46, v46, v72
	v_sub_f32_e32 v72, v78, v46
	v_sub_f32_e32 v73, v76, v46
	;; [unrolled: 1-line block ×3, first 2 shown]
	v_mul_f32_e32 v77, 0x3fb8aa3b, v72
	v_sub_f32_e32 v74, v79, v46
	v_mul_f32_e32 v78, 0x3fb8aa3b, v73
	v_fma_f32 v84, v72, s13, -v77
	v_rndne_f32_e32 v85, v77
	v_mul_f32_e32 v79, 0x3fb8aa3b, v74
	v_fma_f32 v86, v73, s13, -v78
	v_rndne_f32_e32 v87, v78
	v_fmac_f32_e32 v84, 0x32a5705f, v72
	v_sub_f32_e32 v77, v77, v85
	v_sub_f32_e32 v76, v80, v46
	v_mul_f32_e32 v80, 0x3fb8aa3b, v75
	v_fma_f32 v88, v74, s13, -v79
	v_rndne_f32_e32 v89, v79
	v_fmac_f32_e32 v86, 0x32a5705f, v73
	v_sub_f32_e32 v78, v78, v87
	v_add_f32_e32 v77, v77, v84
	v_fma_f32 v90, v75, s13, -v80
	v_rndne_f32_e32 v91, v80
	v_cvt_i32_f32_e32 v85, v85
	v_fmac_f32_e32 v88, 0x32a5705f, v74
	v_sub_f32_e32 v79, v79, v89
	v_add_f32_e32 v78, v78, v86
	v_exp_f32_e32 v77, v77
	v_cvt_i32_f32_e32 v87, v87
	v_fmac_f32_e32 v90, 0x32a5705f, v75
	v_sub_f32_e32 v80, v80, v91
	v_add_f32_e32 v79, v79, v88
	v_exp_f32_e32 v78, v78
	v_cvt_i32_f32_e32 v89, v89
	v_add_f32_e32 v80, v80, v90
	v_exp_f32_e32 v79, v79
	v_cvt_i32_f32_e32 v91, v91
	v_exp_f32_e32 v80, v80
	v_ldexp_f32 v77, v77, v85
	v_cmp_ngt_f32_e32 vcc, s14, v72
	v_ldexp_f32 v78, v78, v87
	v_ldexp_f32 v79, v79, v89
	v_cndmask_b32_e32 v77, 0, v77, vcc
	v_cmp_ngt_f32_e32 vcc, s14, v73
	v_ldexp_f32 v80, v80, v91
	v_mul_f32_e32 v83, 0x3fb8aa3b, v76
	v_cndmask_b32_e32 v78, 0, v78, vcc
	v_cmp_ngt_f32_e32 vcc, s14, v74
	v_fma_f32 v92, v76, s13, -v83
	v_rndne_f32_e32 v93, v83
	v_cndmask_b32_e32 v79, 0, v79, vcc
	v_cmp_ngt_f32_e32 vcc, s14, v75
	v_fmac_f32_e32 v92, 0x32a5705f, v76
	v_sub_f32_e32 v83, v83, v93
	v_cndmask_b32_e32 v80, 0, v80, vcc
	v_cmp_nlt_f32_e32 vcc, s15, v72
	v_add_f32_e32 v83, v83, v92
	v_cvt_i32_f32_e32 v93, v93
	v_cndmask_b32_e32 v84, v61, v77, vcc
	v_cmp_nlt_f32_e32 vcc, s15, v73
	v_sub_f32_e32 v73, v82, v46
	v_exp_f32_e32 v83, v83
	v_cndmask_b32_e32 v85, v61, v78, vcc
	v_cmp_nlt_f32_e32 vcc, s15, v74
	v_mul_f32_e32 v74, 0x3fb8aa3b, v73
	v_rndne_f32_e32 v77, v74
	v_cndmask_b32_e32 v86, v61, v79, vcc
	v_cmp_nlt_f32_e32 vcc, s15, v75
	v_fma_f32 v75, v73, s13, -v74
	v_fmac_f32_e32 v75, 0x32a5705f, v73
	v_sub_f32_e32 v74, v74, v77
	v_add_f32_e32 v74, v74, v75
	v_exp_f32_e32 v74, v74
	v_cvt_i32_f32_e32 v75, v77
	v_cndmask_b32_e32 v87, v61, v80, vcc
	v_ldexp_f32 v72, v83, v93
	v_cmp_ngt_f32_e32 vcc, s14, v76
	v_sub_f32_e32 v63, v63, v46
	v_sub_f32_e32 v48, v48, v46
	v_cndmask_b32_e32 v72, 0, v72, vcc
	v_cmp_nlt_f32_e32 vcc, s15, v76
	s_waitcnt lgkmcnt(0)
	s_barrier
	v_cndmask_b32_e32 v82, v61, v72, vcc
	v_ldexp_f32 v72, v74, v75
	v_sub_f32_e32 v74, v81, v46
	v_mul_f32_e32 v75, 0x3fb8aa3b, v74
	v_fma_f32 v76, v74, s13, -v75
	v_rndne_f32_e32 v77, v75
	v_fmac_f32_e32 v76, 0x32a5705f, v74
	v_sub_f32_e32 v75, v75, v77
	v_add_f32_e32 v75, v75, v76
	v_exp_f32_e32 v75, v75
	v_cvt_i32_f32_e32 v76, v77
	v_cmp_ngt_f32_e32 vcc, s14, v73
	s_nop 1
	v_cndmask_b32_e32 v72, 0, v72, vcc
	v_cmp_nlt_f32_e32 vcc, s15, v73
	v_mul_f32_e32 v73, 0x3fb8aa3b, v63
	s_nop 0
	v_cndmask_b32_e32 v83, v61, v72, vcc
	v_ldexp_f32 v72, v75, v76
	v_fma_f32 v75, v63, s13, -v73
	v_rndne_f32_e32 v76, v73
	v_fmac_f32_e32 v75, 0x32a5705f, v63
	v_sub_f32_e32 v73, v73, v76
	v_add_f32_e32 v73, v73, v75
	v_cvt_i32_f32_e32 v75, v76
	v_mul_f32_e32 v76, 0x3fb8aa3b, v48
	v_fma_f32 v77, v48, s13, -v76
	v_rndne_f32_e32 v78, v76
	v_fmac_f32_e32 v77, 0x32a5705f, v48
	v_sub_f32_e32 v76, v76, v78
	v_add_f32_e32 v76, v76, v77
	v_exp_f32_e32 v73, v73
	v_exp_f32_e32 v76, v76
	v_cvt_i32_f32_e32 v77, v78
	v_cmp_ngt_f32_e32 vcc, s14, v74
	v_cvt_pk_f16_f32 v78, v82, v83
	s_nop 0
	v_cndmask_b32_e32 v72, 0, v72, vcc
	v_cmp_nlt_f32_e32 vcc, s15, v74
	s_nop 1
	v_cndmask_b32_e32 v88, v61, v72, vcc
	v_ldexp_f32 v72, v73, v75
	v_ldexp_f32 v73, v76, v77
	v_cmp_ngt_f32_e32 vcc, s14, v48
	v_cvt_pk_f16_f32 v77, v86, v87
	v_cvt_pk_f16_f32 v76, v84, v85
	v_cndmask_b32_e32 v73, 0, v73, vcc
	v_cmp_nlt_f32_e32 vcc, s15, v48
	s_nop 1
	v_cndmask_b32_e32 v73, v61, v73, vcc
	v_cmp_le_f32_e32 vcc, s16, v48
	s_nop 1
	v_cndmask_b32_e32 v89, 0, v73, vcc
	v_cvt_f16_f32_e32 v48, v89
	v_cmp_ngt_f32_e32 vcc, s14, v63
	v_mul_u32_u24_e32 v48, 0x10001, v48
	s_nop 0
	v_cndmask_b32_e32 v72, 0, v72, vcc
	v_cmp_nlt_f32_e32 vcc, s15, v63
	v_pk_mul_f16 v38, v38, v48
	v_pk_mul_f16 v36, v36, v48
	v_cndmask_b32_e32 v63, v61, v72, vcc
	v_cvt_f32_f16_e32 v64, v38
	v_cvt_f32_f16_sdwa v65, v38 dst_sel:DWORD dst_unused:UNUSED_PAD src0_sel:WORD_1
	ds_read_u16 v38, v57
	ds_read_u16 v71, v57 offset:32
	ds_read_u16 v70, v57 offset:4608
	;; [unrolled: 1-line block ×7, first 2 shown]
	ds_read_u16 v67, v58
	ds_read_u16 v72, v58 offset:32
	ds_read_u16 v73, v58 offset:4608
	;; [unrolled: 1-line block ×7, first 2 shown]
	s_waitcnt lgkmcnt(7)
	v_perm_b32 v69, v67, v38, s17
	ds_read_u16 v38, v56 offset:144
	ds_read_u16 v67, v56
	ds_read_u16 v96, v56 offset:32
	ds_read_u16 v97, v56 offset:176
	;; [unrolled: 1-line block ×6, first 2 shown]
	s_waitcnt lgkmcnt(6)
	v_perm_b32 v68, v38, v67, s17
	v_cvt_f32_f16_e32 v66, v36
	v_cvt_f32_f16_sdwa v67, v36 dst_sel:DWORD dst_unused:UNUSED_PAD src0_sel:WORD_1
	v_pk_mul_f16 v35, v35, v48
	v_pk_mul_f16 v30, v30, v48
	v_mfma_f32_16x16x16_f16 v[64:67], v[68:69], v[76:77], v[64:67]
	v_perm_b32 v69, v73, v70, s17
	v_cvt_pk_f16_f32 v79, v88, v63
	v_perm_b32 v73, v72, v71, s17
	s_waitcnt lgkmcnt(4)
	v_perm_b32 v72, v97, v96, s17
	s_nop 2
	v_cvt_f16_f32_e32 v36, v64
	v_cvt_f16_f32_e32 v38, v65
	;; [unrolled: 1-line block ×4, first 2 shown]
	v_cvt_f32_f16_e32 v64, v36
	v_cvt_f32_f16_e32 v65, v38
	ds_read_u16 v36, v56 offset:4608
	ds_read_u16 v38, v56 offset:4752
	;; [unrolled: 1-line block ×8, first 2 shown]
	s_waitcnt lgkmcnt(6)
	v_perm_b32 v68, v38, v36, s17
	v_cvt_f32_f16_e32 v66, v66
	v_cvt_f32_f16_e32 v67, v67
	;; [unrolled: 1-line block ×3, first 2 shown]
	v_cvt_f32_f16_sdwa v71, v30 dst_sel:DWORD dst_unused:UNUSED_PAD src0_sel:WORD_1
	v_mfma_f32_16x16x16_f16 v[64:67], v[68:69], v[78:79], v[64:67]
	v_cvt_f32_f16_e32 v68, v35
	v_cvt_f32_f16_sdwa v69, v35 dst_sel:DWORD dst_unused:UNUSED_PAD src0_sel:WORD_1
	v_pk_mul_f16 v29, v29, v48
	v_pk_mul_f16 v27, v27, v48
	v_mfma_f32_16x16x16_f16 v[68:71], v[72:73], v[76:77], v[68:71]
	v_perm_b32 v73, v91, v74, s17
	s_waitcnt lgkmcnt(4)
	v_perm_b32 v72, v103, v102, s17
	v_perm_b32 v81, v95, v81, s17
	v_cmp_lt_i32_e32 vcc, s84, v47
	s_nop 2
	v_cvt_f16_f32_e32 v30, v68
	v_cvt_f16_f32_e32 v35, v69
	;; [unrolled: 1-line block ×4, first 2 shown]
	v_cvt_f32_f16_e32 v68, v30
	v_cvt_f32_f16_e32 v69, v35
	;; [unrolled: 1-line block ×4, first 2 shown]
	v_pk_mul_f16 v30, v28, v48
	v_perm_b32 v28, v99, v98, s17
	v_mfma_f32_16x16x16_f16 v[68:71], v[72:73], v[78:79], v[68:71]
	v_cvt_f32_f16_e32 v72, v29
	v_cvt_f32_f16_sdwa v73, v29 dst_sel:DWORD dst_unused:UNUSED_PAD src0_sel:WORD_1
	v_perm_b32 v29, v92, v75, s17
	v_cvt_f32_f16_e32 v74, v30
	v_cvt_f32_f16_sdwa v75, v30 dst_sel:DWORD dst_unused:UNUSED_PAD src0_sel:WORD_1
	v_add_f32_e32 v30, v84, v85
	v_add_f32_e32 v30, v86, v30
	v_mfma_f32_16x16x16_f16 v[72:75], v[28:29], v[76:77], v[72:75]
	v_add_f32_e32 v30, v87, v30
	v_add_f32_e32 v30, v82, v30
	;; [unrolled: 1-line block ×4, first 2 shown]
	s_nop 3
	v_cvt_f16_f32_e32 v28, v72
	v_cvt_f16_f32_e32 v29, v73
	;; [unrolled: 1-line block ×4, first 2 shown]
	v_cvt_f32_f16_e32 v72, v28
	v_cvt_f32_f16_e32 v73, v29
	v_perm_b32 v29, v93, v80, s17
	s_waitcnt lgkmcnt(2)
	v_perm_b32 v28, v105, v104, s17
	v_cvt_f32_f16_e32 v74, v35
	v_cvt_f32_f16_e32 v75, v36
	v_pk_mul_f16 v35, v26, v48
	v_perm_b32 v80, v100, v101, s17
	v_mfma_f32_16x16x16_f16 v[72:75], v[28:29], v[78:79], v[72:75]
	v_cvt_f32_f16_e32 v26, v27
	v_cvt_f32_f16_sdwa v27, v27 dst_sel:DWORD dst_unused:UNUSED_PAD src0_sel:WORD_1
	v_cvt_f32_f16_e32 v28, v35
	v_cvt_f32_f16_sdwa v29, v35 dst_sel:DWORD dst_unused:UNUSED_PAD src0_sel:WORD_1
	v_add_f32_e32 v48, v63, v30
	v_fmac_f32_e32 v48, v62, v89
	v_mfma_f32_16x16x16_f16 v[26:29], v[80:81], v[76:77], v[26:29]
	v_perm_b32 v77, v94, v90, s17
	s_waitcnt lgkmcnt(0)
	v_perm_b32 v76, v106, v107, s17
	v_cvt_pk_f16_f32 v38, v64, v65
	v_cvt_pk_f16_f32 v36, v66, v67
	s_nop 2
	v_cvt_f16_f32_e32 v26, v26
	v_cvt_f16_f32_e32 v27, v27
	;; [unrolled: 1-line block ×4, first 2 shown]
	v_cvt_f32_f16_e32 v26, v26
	v_cvt_f32_f16_e32 v27, v27
	;; [unrolled: 1-line block ×4, first 2 shown]
	v_cvt_pk_f16_f32 v35, v68, v69
	v_cvt_pk_f16_f32 v30, v70, v71
	v_mfma_f32_16x16x16_f16 v[76:79], v[76:77], v[78:79], v[26:29]
	s_and_b64 vcc, exec, vcc
	s_nop 1
	v_cvt_pk_f16_f32 v29, v72, v73
	v_cvt_pk_f16_f32 v28, v74, v75
	s_nop 2
	v_cvt_pk_f16_f32 v27, v76, v77
	v_cvt_pk_f16_f32 v26, v78, v79
	s_barrier
	s_cbranch_vccz .LBB0_190
; %bb.186:                              ;   in Loop: Header=BB0_185 Depth=1
	v_mov_b32_e32 v62, v48
	v_mov_b32_e32 v48, v46
	s_ashr_i32 s7, s6, 31
	s_and_saveexec_b64 s[8:9], s[0:1]
	s_cbranch_execnz .LBB0_184
	s_branch .LBB0_185
.LBB0_187:
                                        ; implicit-def: $sgpr56_sgpr57
	s_load_dwordx2 s[48:49], s[0:1], 0x74
	v_cvt_f32_u32_e32 v1, s35
	s_branch .LBB0_2
.LBB0_188:
                                        ; implicit-def: $sgpr60_sgpr61
	s_load_dwordx2 s[44:45], s[0:1], 0x5c
	s_branch .LBB0_5
.LBB0_189:
	v_mov_b32_e32 v46, 0xfeffffff
	v_mov_b32_e32 v48, 0
	;; [unrolled: 1-line block ×10, first 2 shown]
.LBB0_190:
	s_lshl_b32 s0, s84, 6
	s_ashr_i32 s1, s0, 31
	v_cmp_gt_u32_e32 vcc, 4, v43
	s_and_saveexec_b64 s[6:7], vcc
	s_cbranch_execz .LBB0_192
; %bb.191:
	v_or_b32_e32 v9, s10, v43
	v_mul_hi_u32 v11, s44, v9
	v_add_u32_e32 v11, v9, v11
	v_lshrrev_b32_e32 v11, s45, v11
	s_lshl_b64 s[8:9], s[0:1], 1
	v_mul_lo_u32 v11, v11, s36
	s_add_u32 s4, s4, s8
	v_sub_u32_e32 v9, v9, v11
	s_addc_u32 s5, s5, s9
	v_lshlrev_b32_e32 v11, 2, v23
	v_mad_i64_i32 v[14:15], s[8:9], v9, s46, 0
	v_and_b32_e32 v12, 0x7c, v11
	v_lshl_add_u64 v[14:15], v[14:15], 1, s[4:5]
	v_mov_b32_e32 v13, 0
	v_lshl_add_u64 v[14:15], v[14:15], 0, v[12:13]
	global_load_dword v9, v[14:15], off
	v_mul_u32_u24_e32 v11, 0x90, v43
	v_add3_u32 v11, 0, v11, v12
	s_waitcnt vmcnt(0)
	ds_write_b32 v11, v9 offset:9216
.LBB0_192:
	s_or_b64 exec, exec, s[6:7]
	s_mul_hi_i32 s5, s0, s38
	s_mul_i32 s4, s0, s38
	s_lshl_b64 s[4:5], s[4:5], 2
	s_add_u32 s4, s11, s4
	s_addc_u32 s5, s12, s5
	v_ashrrev_i32_e32 v11, 31, v10
	v_lshlrev_b32_e32 v9, 4, v23
	v_lshl_add_u64 v[14:15], v[10:11], 2, s[4:5]
	v_lshl_add_u32 v10, s38, 5, v10
	v_and_b32_e32 v12, 0x70, v9
	v_mov_b32_e32 v13, 0
	v_ashrrev_i32_e32 v11, 31, v10
	v_lshl_add_u64 v[14:15], v[14:15], 0, v[12:13]
	v_lshl_add_u64 v[10:11], v[10:11], 2, s[4:5]
	;; [unrolled: 1-line block ×3, first 2 shown]
	global_load_dwordx4 v[18:21], v[14:15], off
	global_load_dwordx4 v[50:53], v[10:11], off
	v_and_b32_e32 v10, 16, v37
	v_mul_u32_u24_e32 v9, 0x90, v45
	v_add_u32_e32 v11, 0, v44
	v_lshrrev_b32_e32 v15, 3, v40
	v_mul_u32_u24_e32 v40, 0x90, v10
	v_and_b32_e32 v14, 0xfc, v42
	v_add3_u32 v47, 0, v9, v12
	v_add3_u32 v9, v11, v25, v40
	v_add_u32_e32 v45, v14, v10
	v_add_u16_e32 v10, v14, v10
	v_add_u32_e32 v14, 0x1000, v9
	v_mbcnt_hi_u32_b32 v44, -1, v41
	s_movk_i32 s6, 0x90
	v_lshrrev_b16_e32 v10, 1, v10
	s_movk_i32 s1, 0x2400
	v_mad_u32_u24 v15, v15, s6, 0
	v_lshlrev_b32_e32 v10, 2, v10
	v_and_b32_e32 v11, 64, v44
	v_lshl_add_u32 v45, v45, 1, v15
	v_add3_u32 v10, v15, v10, s1
	v_add_u32_e32 v66, 64, v11
	v_add_u32_e32 v45, 0x2400, v45
	v_xor_b32_e32 v49, 32, v44
	v_cmp_lt_i32_e32 vcc, v49, v66
	s_mov_b32 s5, 0x3fb8aa3b
	s_mov_b32 s1, 0xc2ce8ed0
	;; [unrolled: 1-line block ×3, first 2 shown]
	s_mul_hi_i32 s9, s0, s34
	s_mul_i32 s8, s0, s34
	s_lshl_b64 s[8:9], s[8:9], 2
	s_add_u32 s2, s2, s8
	s_addc_u32 s3, s3, s9
	s_mov_b32 s0, 0xc1a00000
	s_waitcnt vmcnt(1)
	ds_write_b128 v47, v[18:21]
	s_waitcnt vmcnt(0)
	ds_write_b128 v47, v[50:53] offset:4608
	s_waitcnt lgkmcnt(0)
	s_barrier
	ds_read2_b64 v[18:21], v9 offset1:4
	ds_read2_b64 v[40:43], v14 offset0:64 offset1:68
	s_waitcnt lgkmcnt(1)
	v_mfma_f32_16x16x16_f16 v[50:53], v[18:19], v[4:5], 0
	ds_read2_b64 v[58:61], v9 offset0:8 offset1:12
	ds_read2_b64 v[62:65], v14 offset0:72 offset1:76
	s_waitcnt lgkmcnt(0)
	s_barrier
	v_mfma_f32_16x16x16_f16 v[54:57], v[40:41], v[4:5], 0
	ds_read2_b32 v[10:11], v10 offset1:1
	ds_read2_b32 v[40:41], v45 offset0:16 offset1:17
	v_mfma_f32_16x16x16_f16 v[18:21], v[20:21], v[6:7], v[50:53]
	v_cndmask_b32_e32 v9, v44, v49, vcc
	v_lshlrev_b32_e32 v14, 2, v9
	s_waitcnt lgkmcnt(1)
	v_cvt_f32_f16_e32 v9, v10
	v_mfma_f32_16x16x16_f16 v[4:7], v[42:43], v[6:7], v[54:57]
	v_cvt_f32_f16_sdwa v10, v10 dst_sel:DWORD dst_unused:UNUSED_PAD src0_sel:WORD_1
	v_cvt_f32_f16_e32 v15, v11
	v_cvt_f32_f16_sdwa v11, v11 dst_sel:DWORD dst_unused:UNUSED_PAD src0_sel:WORD_1
	v_mfma_f32_16x16x16_f16 v[18:21], v[58:59], v[0:1], v[18:21]
	s_waitcnt lgkmcnt(0)
	v_cvt_f32_f16_e32 v42, v40
	v_cvt_f32_f16_sdwa v40, v40 dst_sel:DWORD dst_unused:UNUSED_PAD src0_sel:WORD_1
	v_cvt_f32_f16_e32 v43, v41
	v_mfma_f32_16x16x16_f16 v[4:7], v[62:63], v[0:1], v[4:7]
	v_cvt_f32_f16_sdwa v41, v41 dst_sel:DWORD dst_unused:UNUSED_PAD src0_sel:WORD_1
	v_mfma_f32_16x16x16_f16 v[18:21], v[60:61], v[2:3], v[18:21]
	v_mfma_f32_16x16x16_f16 v[0:3], v[64:65], v[2:3], v[4:7]
	s_nop 6
	v_add_f32_e32 v4, v18, v9
	v_add_f32_e32 v5, v19, v10
	;; [unrolled: 1-line block ×12, first 2 shown]
	v_max3_f32 v1, v46, v1, v2
	v_add_f32_e32 v10, 0x40051340, v0
	v_add_f32_e32 v11, 0x40051340, v15
	v_max3_f32 v1, v1, v3, v9
	v_add_f32_e32 v18, 0x40051340, v20
	v_add_f32_e32 v19, 0x40051340, v21
	v_max3_f32 v1, v1, v10, v11
	v_max3_f32 v1, v1, v18, v19
	ds_bpermute_b32 v2, v14, v1
	v_xor_b32_e32 v3, 16, v44
	v_cmp_lt_i32_e32 vcc, v3, v66
	v_mov_b32_e32 v40, 0x7f800000
	s_waitcnt lgkmcnt(0)
	v_max_f32_e32 v2, v2, v2
	v_cndmask_b32_e32 v3, v44, v3, vcc
	v_lshlrev_b32_e32 v19, 2, v3
	v_max_f32_e32 v1, v1, v2
	ds_bpermute_b32 v2, v19, v1
	s_waitcnt lgkmcnt(0)
	v_max_f32_e32 v2, v2, v2
	v_max_f32_e32 v18, v1, v2
	v_sub_f32_e32 v1, v4, v18
	v_sub_f32_e32 v2, v5, v18
	v_mul_f32_e32 v4, 0x3fb8aa3b, v1
	v_sub_f32_e32 v3, v6, v18
	v_mul_f32_e32 v5, 0x3fb8aa3b, v2
	v_fma_f32 v9, v1, s5, -v4
	v_rndne_f32_e32 v10, v4
	v_mul_f32_e32 v6, 0x3fb8aa3b, v3
	v_fma_f32 v11, v2, s5, -v5
	v_rndne_f32_e32 v41, v5
	v_fmac_f32_e32 v9, 0x32a5705f, v1
	v_sub_f32_e32 v4, v4, v10
	v_fma_f32 v42, v3, s5, -v6
	v_rndne_f32_e32 v43, v6
	v_fmac_f32_e32 v11, 0x32a5705f, v2
	v_sub_f32_e32 v5, v5, v41
	v_add_f32_e32 v4, v4, v9
	v_cvt_i32_f32_e32 v10, v10
	v_fmac_f32_e32 v42, 0x32a5705f, v3
	v_sub_f32_e32 v6, v6, v43
	v_add_f32_e32 v5, v5, v11
	v_exp_f32_e32 v4, v4
	v_cvt_i32_f32_e32 v41, v41
	v_exp_f32_e32 v5, v5
	v_add_f32_e32 v6, v6, v42
	v_cvt_i32_f32_e32 v43, v43
	v_exp_f32_e32 v6, v6
	v_ldexp_f32 v4, v4, v10
	v_cmp_ngt_f32_e32 vcc, s1, v1
	v_ldexp_f32 v5, v5, v41
	v_sub_f32_e32 v49, v0, v18
	v_cndmask_b32_e32 v4, 0, v4, vcc
	v_cmp_ngt_f32_e32 vcc, s1, v2
	v_mul_f32_e32 v0, 0x3fb8aa3b, v49
	v_ashrrev_i32_e32 v9, 31, v8
	v_cndmask_b32_e32 v5, 0, v5, vcc
	v_cmp_nlt_f32_e32 vcc, s4, v1
	v_ldexp_f32 v1, v6, v43
	v_sub_f32_e32 v43, v7, v18
	v_cndmask_b32_e32 v41, v40, v4, vcc
	v_cmp_nlt_f32_e32 vcc, s4, v2
	v_mul_f32_e32 v2, 0x3fb8aa3b, v43
	v_fma_f32 v4, v43, s5, -v2
	v_cndmask_b32_e32 v42, v40, v5, vcc
	v_rndne_f32_e32 v5, v2
	v_fmac_f32_e32 v4, 0x32a5705f, v43
	v_sub_f32_e32 v2, v2, v5
	v_add_f32_e32 v2, v2, v4
	v_exp_f32_e32 v2, v2
	v_cvt_i32_f32_e32 v4, v5
	v_cmp_ngt_f32_e32 vcc, s1, v3
	v_ldexp_f32 v45, v2, v4
	s_nop 0
	v_cndmask_b32_e32 v1, 0, v1, vcc
	v_cmp_nlt_f32_e32 vcc, s4, v3
	v_rndne_f32_e32 v2, v0
	v_cvt_i32_f32_e32 v51, v2
	v_cndmask_b32_e32 v44, v40, v1, vcc
	v_fma_f32 v1, v49, s5, -v0
	v_fmac_f32_e32 v1, 0x32a5705f, v49
	v_sub_f32_e32 v0, v0, v2
	v_add_f32_e32 v0, v0, v1
	v_exp_f32_e32 v50, v0
	v_lshl_add_u64 v[0:1], v[8:9], 2, s[2:3]
	v_lshl_add_u64 v[10:11], v[0:1], 0, v[12:13]
	v_lshl_add_u32 v0, s34, 5, v8
	v_ashrrev_i32_e32 v1, 31, v0
	v_lshl_add_u64 v[0:1], v[0:1], 2, s[2:3]
	v_lshl_add_u64 v[8:9], v[0:1], 0, v[12:13]
	global_load_dwordx4 v[0:3], v[10:11], off
	global_load_dwordx4 v[4:7], v[8:9], off
	v_sub_f32_e32 v9, v15, v18
	v_mul_f32_e32 v10, 0x3fb8aa3b, v9
	v_fma_f32 v11, v9, s5, -v10
	v_rndne_f32_e32 v12, v10
	v_fmac_f32_e32 v11, 0x32a5705f, v9
	v_sub_f32_e32 v10, v10, v12
	v_add_f32_e32 v10, v10, v11
	v_cmp_ngt_f32_e32 vcc, s1, v43
	v_exp_f32_e32 v10, v10
	v_cvt_i32_f32_e32 v11, v12
	v_cndmask_b32_e32 v8, 0, v45, vcc
	v_cmp_nlt_f32_e32 vcc, s4, v43
	s_waitcnt vmcnt(1)
	ds_write_b128 v47, v[0:3]
	s_waitcnt vmcnt(0)
	ds_write_b128 v47, v[4:7] offset:4608
	v_cndmask_b32_e32 v43, v40, v8, vcc
	v_ldexp_f32 v8, v50, v51
	v_cmp_ngt_f32_e32 vcc, s1, v49
	s_waitcnt lgkmcnt(0)
	s_barrier
	v_cndmask_b32_e32 v8, 0, v8, vcc
	v_cmp_nlt_f32_e32 vcc, s4, v49
	s_nop 1
	v_cndmask_b32_e32 v15, v40, v8, vcc
	v_ldexp_f32 v8, v10, v11
	v_sub_f32_e32 v10, v20, v18
	v_mul_f32_e32 v11, 0x3fb8aa3b, v10
	v_fma_f32 v12, v10, s5, -v11
	v_rndne_f32_e32 v13, v11
	v_fmac_f32_e32 v12, 0x32a5705f, v10
	v_sub_f32_e32 v11, v11, v13
	v_add_f32_e32 v11, v11, v12
	v_exp_f32_e32 v11, v11
	v_cvt_i32_f32_e32 v12, v13
	v_cmp_ngt_f32_e32 vcc, s1, v9
	s_nop 1
	v_cndmask_b32_e32 v8, 0, v8, vcc
	v_cmp_nlt_f32_e32 vcc, s4, v9
	v_sub_f32_e32 v9, v21, v18
	s_nop 0
	v_cndmask_b32_e32 v45, v40, v8, vcc
	v_ldexp_f32 v8, v11, v12
	v_mul_f32_e32 v11, 0x3fb8aa3b, v9
	v_fma_f32 v12, v9, s5, -v11
	v_rndne_f32_e32 v13, v11
	v_fmac_f32_e32 v12, 0x32a5705f, v9
	v_sub_f32_e32 v11, v11, v13
	v_add_f32_e32 v11, v11, v12
	v_cvt_i32_f32_e32 v12, v13
	v_sub_f32_e32 v13, v46, v18
	v_mul_f32_e32 v20, 0x3fb8aa3b, v13
	v_fma_f32 v21, v13, s5, -v20
	v_rndne_f32_e32 v46, v20
	v_fmac_f32_e32 v21, 0x32a5705f, v13
	v_sub_f32_e32 v20, v20, v46
	v_add_f32_e32 v20, v20, v21
	v_exp_f32_e32 v20, v20
	v_cvt_i32_f32_e32 v21, v46
	v_cmp_ngt_f32_e32 vcc, s1, v10
	v_exp_f32_e32 v11, v11
	s_nop 0
	v_cndmask_b32_e32 v8, 0, v8, vcc
	v_cmp_nlt_f32_e32 vcc, s4, v10
	v_ldexp_f32 v10, v20, v21
	s_nop 0
	v_cndmask_b32_e32 v46, v40, v8, vcc
	v_cmp_ngt_f32_e32 vcc, s1, v13
	v_ldexp_f32 v8, v11, v12
	v_or_b32_e32 v11, 2, v34
	v_cndmask_b32_e32 v10, 0, v10, vcc
	v_cmp_nlt_f32_e32 vcc, s4, v13
	v_mul_u32_u24_e32 v11, 0x90, v11
	v_or_b32_e32 v12, 3, v34
	v_cndmask_b32_e32 v10, v40, v10, vcc
	v_cmp_le_f32_e32 vcc, s0, v13
	s_movk_i32 s0, 0x120
	v_mad_u32_u24 v0, v32, s0, 0
	v_cndmask_b32_e32 v49, 0, v10, vcc
	v_cvt_f16_f32_e32 v10, v49
	v_cmp_ngt_f32_e32 vcc, s1, v9
	v_mul_u32_u24_e32 v12, 0x90, v12
	v_add3_u32 v3, v0, v11, v31
	v_cndmask_b32_e32 v8, 0, v8, vcc
	v_cmp_nlt_f32_e32 vcc, s4, v9
	v_mul_u32_u24_e32 v50, 0x10001, v10
	v_and_b32_e32 v10, 0xfc, v34
	v_cndmask_b32_e32 v40, v40, v8, vcc
	v_pk_mul_f16 v8, v38, v50
	v_mul_u32_u24_e32 v10, 0x90, v10
	v_pk_mul_f16 v9, v36, v50
	v_add3_u32 v6, v0, v10, v31
	v_add3_u32 v4, v0, v12, v31
	v_cvt_f32_f16_e32 v0, v8
	v_cvt_f32_f16_sdwa v1, v8 dst_sel:DWORD dst_unused:UNUSED_PAD src0_sel:WORD_1
	s_mov_b32 s0, 0x5040100
	ds_read_u16 v5, v3
	ds_read_u16 v7, v3 offset:32
	ds_read_u16 v8, v3 offset:4608
	;; [unrolled: 1-line block ×7, first 2 shown]
	ds_read_u16 v3, v4
	ds_read_u16 v36, v4 offset:32
	ds_read_u16 v20, v4 offset:4608
	;; [unrolled: 1-line block ×7, first 2 shown]
	s_waitcnt lgkmcnt(7)
	v_perm_b32 v5, v3, v5, s0
	ds_read_u16 v3, v6 offset:144
	ds_read_u16 v4, v6
	ds_read_u16 v54, v6 offset:32
	ds_read_u16 v55, v6 offset:176
	;; [unrolled: 1-line block ×6, first 2 shown]
	s_waitcnt lgkmcnt(6)
	v_perm_b32 v4, v3, v4, s0
	v_cvt_f32_f16_e32 v2, v9
	v_cvt_f32_f16_sdwa v3, v9 dst_sel:DWORD dst_unused:UNUSED_PAD src0_sel:WORD_1
	v_cvt_pk_f16_f32 v13, v44, v43
	v_cvt_pk_f16_f32 v12, v41, v42
	v_pk_mul_f16 v9, v35, v50
	v_cvt_pk_f16_f32 v21, v46, v40
	v_mfma_f32_16x16x16_f16 v[0:3], v[4:5], v[12:13], v[0:3]
	v_perm_b32 v5, v20, v8, s0
	ds_read_u16 v4, v6 offset:4608
	ds_read_u16 v8, v6 offset:4752
	;; [unrolled: 1-line block ×8, first 2 shown]
	s_waitcnt lgkmcnt(6)
	v_perm_b32 v4, v8, v4, s0
	v_cvt_f16_f32_e32 v0, v0
	v_cvt_f16_f32_e32 v1, v1
	;; [unrolled: 1-line block ×4, first 2 shown]
	v_cvt_f32_f16_e32 v0, v0
	v_cvt_f32_f16_e32 v1, v1
	v_cvt_f32_f16_e32 v2, v2
	v_cvt_f32_f16_e32 v3, v3
	v_cvt_pk_f16_f32 v20, v15, v45
	v_pk_mul_f16 v30, v30, v50
	v_perm_b32 v8, v55, v54, s0
	v_mfma_f32_16x16x16_f16 v[0:3], v[4:5], v[20:21], v[0:3]
	v_cvt_f32_f16_e32 v4, v9
	v_cvt_f32_f16_sdwa v5, v9 dst_sel:DWORD dst_unused:UNUSED_PAD src0_sel:WORD_1
	v_perm_b32 v9, v36, v7, s0
	v_cvt_f32_f16_e32 v6, v30
	v_cvt_f32_f16_sdwa v7, v30 dst_sel:DWORD dst_unused:UNUSED_PAD src0_sel:WORD_1
	v_add_f32_e32 v30, v41, v42
	v_add_f32_e32 v30, v44, v30
	v_mfma_f32_16x16x16_f16 v[4:7], v[8:9], v[12:13], v[4:7]
	v_perm_b32 v9, v38, v10, s0
	s_waitcnt lgkmcnt(4)
	v_perm_b32 v8, v60, v35, s0
	v_pk_mul_f16 v10, v29, v50
	v_pk_mul_f16 v35, v28, v50
	s_nop 2
	v_cvt_f16_f32_e32 v4, v4
	v_cvt_f16_f32_e32 v5, v5
	;; [unrolled: 1-line block ×4, first 2 shown]
	v_cvt_f32_f16_e32 v4, v4
	v_cvt_f32_f16_e32 v5, v5
	;; [unrolled: 1-line block ×4, first 2 shown]
	v_perm_b32 v29, v47, v11, s0
	v_perm_b32 v28, v57, v56, s0
	v_mfma_f32_16x16x16_f16 v[4:7], v[8:9], v[20:21], v[4:7]
	v_cvt_f32_f16_e32 v8, v10
	v_cvt_f32_f16_sdwa v9, v10 dst_sel:DWORD dst_unused:UNUSED_PAD src0_sel:WORD_1
	v_cvt_f32_f16_e32 v10, v35
	v_cvt_f32_f16_sdwa v11, v35 dst_sel:DWORD dst_unused:UNUSED_PAD src0_sel:WORD_1
	v_add_f32_e32 v30, v43, v30
	v_add_f32_e32 v15, v15, v30
	v_mfma_f32_16x16x16_f16 v[8:11], v[28:29], v[12:13], v[8:11]
	v_perm_b32 v29, v51, v31, s0
	s_waitcnt lgkmcnt(2)
	v_perm_b32 v28, v62, v61, s0
	v_pk_mul_f16 v27, v27, v50
	v_pk_mul_f16 v35, v26, v50
	s_nop 2
	v_cvt_f16_f32_e32 v8, v8
	v_cvt_f16_f32_e32 v9, v9
	;; [unrolled: 1-line block ×4, first 2 shown]
	v_cvt_f32_f16_e32 v8, v8
	v_cvt_f32_f16_e32 v9, v9
	;; [unrolled: 1-line block ×4, first 2 shown]
	v_perm_b32 v31, v53, v34, s0
	v_perm_b32 v30, v58, v59, s0
	v_mfma_f32_16x16x16_f16 v[8:11], v[28:29], v[20:21], v[8:11]
	v_cvt_f32_f16_e32 v26, v27
	v_cvt_f32_f16_sdwa v27, v27 dst_sel:DWORD dst_unused:UNUSED_PAD src0_sel:WORD_1
	v_cvt_f32_f16_e32 v28, v35
	v_cvt_f32_f16_sdwa v29, v35 dst_sel:DWORD dst_unused:UNUSED_PAD src0_sel:WORD_1
	v_add_f32_e32 v15, v45, v15
	v_add_f32_e32 v15, v46, v15
	v_mfma_f32_16x16x16_f16 v[26:29], v[30:31], v[12:13], v[26:29]
	v_add_f32_e32 v34, v40, v15
	v_fmac_f32_e32 v34, v48, v49
	ds_bpermute_b32 v30, v14, v34
	s_waitcnt lgkmcnt(0)
	s_nop 3
	v_cvt_f16_f32_e32 v12, v26
	v_cvt_f16_f32_e32 v13, v27
	;; [unrolled: 1-line block ×4, first 2 shown]
	v_cvt_f32_f16_e32 v26, v12
	v_cvt_f32_f16_e32 v27, v13
	v_perm_b32 v13, v52, v32, s0
	v_perm_b32 v12, v63, v64, s0
	v_cvt_f32_f16_e32 v28, v15
	v_cvt_f32_f16_e32 v29, v29
	v_cmp_gt_u32_e64 s[0:1], 16, v23
	s_barrier
	v_mfma_f32_16x16x16_f16 v[12:15], v[12:13], v[20:21], v[26:29]
	v_add_f32_e32 v20, v34, v30
	ds_bpermute_b32 v21, v19, v20
	s_waitcnt lgkmcnt(0)
	s_and_saveexec_b64 s[4:5], s[0:1]
; %bb.193:
	v_add_f32_e32 v20, v20, v21
	v_or_b32_e32 v21, v37, v23
	v_mad_u32_u24 v21, v21, s6, 0
	ds_write2_b32 v21, v18, v20 offset0:32 offset1:33
; %bb.194:
	s_or_b64 exec, exec, s[4:5]
	v_and_b32_e32 v18, 1, v33
	v_cmp_eq_u32_e32 vcc, 0, v18
	v_cmp_eq_u32_e64 s[4:5], 1, v18
	s_waitcnt lgkmcnt(0)
	s_barrier
	s_and_saveexec_b64 s[2:3], s[4:5]
	s_xor_b64 s[4:5], exec, s[2:3]
	s_cbranch_execz .LBB0_196
; %bb.195:
	s_barrier
                                        ; implicit-def: $vgpr39
                                        ; implicit-def: $vgpr23
                                        ; implicit-def: $vgpr19
.LBB0_196:
	s_andn2_saveexec_b64 s[6:7], s[4:5]
	s_cbranch_execz .LBB0_202
; %bb.197:
	v_or_b32_e32 v26, v37, v16
	s_movk_i32 s2, 0x90
	v_mad_u32_u24 v18, v26, s2, 0
	ds_read_b64 v[28:29], v18 offset:128
	s_mov_b32 s2, 0x3fb8aa3b
	s_mov_b32 s3, 0x42b17218
	s_waitcnt lgkmcnt(0)
	s_barrier
	ds_bpermute_b32 v18, v19, v28
	v_max_f32_e32 v20, v28, v28
	s_waitcnt lgkmcnt(0)
	v_max_f32_e32 v18, v18, v18
	v_max_f32_e32 v18, v20, v18
	v_sub_f32_e32 v20, v28, v18
	v_mul_f32_e32 v21, 0x3fb8aa3b, v20
	v_fma_f32 v27, v20, s2, -v21
	v_rndne_f32_e32 v28, v21
	v_fmamk_f32 v27, v20, 0x32a5705f, v27
	v_sub_f32_e32 v21, v21, v28
	v_add_f32_e32 v21, v21, v27
	v_cvt_i32_f32_e32 v28, v28
	v_exp_f32_e32 v21, v21
	s_mov_b32 s2, 0xc2ce8ed0
	v_cmp_ngt_f32_e64 s[4:5], s2, v20
	v_mov_b32_e32 v27, 0x7f800000
	v_ldexp_f32 v21, v21, v28
	v_cndmask_b32_e64 v21, 0, v21, s[4:5]
	v_cmp_nlt_f32_e64 s[4:5], s3, v20
	s_nop 1
	v_cndmask_b32_e64 v20, v27, v21, s[4:5]
	v_mul_f32_e32 v21, v29, v20
	ds_bpermute_b32 v21, v19, v21
	v_cmp_gt_u32_e64 s[4:5], 32, v23
	s_waitcnt lgkmcnt(0)
	v_fmac_f32_e32 v21, v29, v20
	s_and_saveexec_b64 s[8:9], s[4:5]
; %bb.198:
	v_mul_u32_u24_e32 v19, 0x90, v26
	v_add_u32_e32 v19, 0, v19
	ds_write_b64 v19, v[20:21] offset:128
; %bb.199:
	s_or_b64 exec, exec, s[8:9]
	s_and_saveexec_b64 s[4:5], s[0:1]
	s_cbranch_execz .LBB0_201
; %bb.200:
	s_add_i32 s0, s35, s33
	s_lshl_b32 s0, s0, 5
	s_mov_b32 s1, 0
	s_lshl_b64 s[0:1], s[0:1], 3
	s_add_u32 s0, s30, s0
	v_or_b32_e32 v19, v39, v23
	s_addc_u32 s1, s31, s1
	v_lshlrev_b32_e32 v20, 3, v19
	v_mov_b32_e32 v19, v21
	global_store_dwordx2 v20, v[18:19], s[0:1]
.LBB0_201:
	s_or_b64 exec, exec, s[4:5]
.LBB0_202:
	s_or_b64 exec, exec, s[6:7]
	v_cvt_pk_f16_f32 v2, v2, v3
	v_cvt_pk_f16_f32 v3, v4, v5
	;; [unrolled: 1-line block ×3, first 2 shown]
	v_or_b32_e32 v8, v37, v24
	v_mul_u32_u24_e32 v8, 0x90, v8
	v_cvt_pk_f16_f32 v0, v0, v1
	s_mov_b32 s3, 0
	s_movk_i32 s4, 0x90
	v_add3_u32 v8, 0, v25, v8
	v_cvt_pk_f16_f32 v1, v6, v7
	v_cvt_pk_f16_f32 v4, v10, v11
	;; [unrolled: 1-line block ×4, first 2 shown]
	ds_write2_b32 v8, v0, v2 offset1:1
	ds_write2_b32 v8, v3, v1 offset0:8 offset1:9
	ds_write2_b32 v8, v5, v4 offset0:16 offset1:17
	ds_write2_b32 v8, v7, v6 offset0:24 offset1:25
	s_waitcnt lgkmcnt(0)
	s_barrier
	s_and_saveexec_b64 s[0:1], vcc
	s_cbranch_execz .LBB0_204
; %bb.203:
	s_lshl_b32 s2, s33, 10
	s_lshl_b64 s[6:7], s[2:3], 3
	s_add_u32 s5, s30, s6
	s_addc_u32 s6, s31, s7
	s_lshl_b32 s2, s35, 6
	s_lshl_b64 s[2:3], s[2:3], 3
	v_add_u32_e32 v6, v17, v33
	s_add_u32 s2, s5, s2
	v_lshlrev_b32_e32 v0, 1, v6
	v_and_b32_e32 v7, 15, v6
	s_movk_i32 s5, 0xfe0
	v_and_or_b32 v2, v0, s5, v7
	v_mad_u32_u24 v0, v2, s4, v22
	ds_read2st64_b32 v[0:1], v0 offset1:9
	v_mad_u32_u24 v2, v2, s4, 0
	v_add_u32_e32 v2, 0x80, v2
	ds_read2st64_b32 v[2:3], v2 offset1:9
	v_add_u32_e32 v10, 4, v6
	s_waitcnt lgkmcnt(1)
	v_cvt_f32_f16_e32 v4, v0
	v_cvt_f32_f16_sdwa v5, v0 dst_sel:DWORD dst_unused:UNUSED_PAD src0_sel:WORD_1
	v_cvt_f32_f16_e32 v0, v1
	v_cvt_f32_f16_sdwa v1, v1 dst_sel:DWORD dst_unused:UNUSED_PAD src0_sel:WORD_1
	s_movk_i32 s5, 0x1fe0
	s_waitcnt lgkmcnt(0)
	v_pk_fma_f32 v[4:5], v[2:3], v[4:5], 0 op_sel_hi:[0,1,0]
	v_mov_b32_e32 v2, v3
	v_pk_fma_f32 v[0:1], v[2:3], v[0:1], v[4:5] op_sel_hi:[0,1,1]
	v_lshlrev_b32_e32 v2, 1, v10
	v_and_b32_e32 v3, 15, v10
	v_and_or_b32 v4, v2, s5, v3
	v_mad_u32_u24 v2, v4, s4, v22
	v_lshlrev_b32_e32 v8, 3, v16
	ds_read2st64_b32 v[2:3], v2 offset1:9
	s_addc_u32 s3, s6, s3
	v_lshl_or_b32 v9, v6, 8, v8
	global_store_dwordx2 v9, v[0:1], s[2:3]
	v_mad_u32_u24 v0, v4, s4, 0
	v_add_u32_e32 v0, 0x80, v0
	ds_read2st64_b32 v[0:1], v0 offset1:9
	s_waitcnt lgkmcnt(1)
	v_cvt_f32_f16_e32 v4, v2
	v_cvt_f32_f16_sdwa v5, v2 dst_sel:DWORD dst_unused:UNUSED_PAD src0_sel:WORD_1
	v_cvt_f32_f16_e32 v2, v3
	v_cvt_f32_f16_sdwa v3, v3 dst_sel:DWORD dst_unused:UNUSED_PAD src0_sel:WORD_1
	v_lshl_or_b32 v9, v10, 8, v8
	s_waitcnt lgkmcnt(0)
	v_pk_fma_f32 v[4:5], v[0:1], v[4:5], 0 op_sel_hi:[0,1,0]
	v_mov_b32_e32 v0, v1
	v_add_u32_e32 v10, 8, v6
	v_pk_fma_f32 v[0:1], v[0:1], v[2:3], v[4:5] op_sel_hi:[0,1,1]
	v_lshlrev_b32_e32 v2, 1, v10
	v_and_b32_e32 v3, 15, v10
	v_and_or_b32 v4, v2, s5, v3
	v_mad_u32_u24 v2, v4, s4, v22
	ds_read2st64_b32 v[2:3], v2 offset1:9
	global_store_dwordx2 v9, v[0:1], s[2:3]
	v_mad_u32_u24 v0, v4, s4, 0
	v_add_u32_e32 v0, 0x80, v0
	ds_read2st64_b32 v[0:1], v0 offset1:9
	s_waitcnt lgkmcnt(1)
	v_cvt_f32_f16_e32 v4, v2
	v_cvt_f32_f16_sdwa v5, v2 dst_sel:DWORD dst_unused:UNUSED_PAD src0_sel:WORD_1
	v_cvt_f32_f16_e32 v2, v3
	v_cvt_f32_f16_sdwa v3, v3 dst_sel:DWORD dst_unused:UNUSED_PAD src0_sel:WORD_1
	v_lshl_or_b32 v9, v10, 8, v8
	s_waitcnt lgkmcnt(0)
	v_pk_fma_f32 v[4:5], v[0:1], v[4:5], 0 op_sel_hi:[0,1,0]
	v_mov_b32_e32 v0, v1
	v_add_u32_e32 v10, 12, v6
	v_pk_fma_f32 v[0:1], v[0:1], v[2:3], v[4:5] op_sel_hi:[0,1,1]
	v_lshlrev_b32_e32 v2, 1, v10
	v_and_b32_e32 v3, 15, v10
	v_and_or_b32 v4, v2, s5, v3
	v_mad_u32_u24 v2, v4, s4, v22
	ds_read2st64_b32 v[2:3], v2 offset1:9
	global_store_dwordx2 v9, v[0:1], s[2:3]
	v_mad_u32_u24 v0, v4, s4, 0
	v_add_u32_e32 v0, 0x80, v0
	ds_read2st64_b32 v[0:1], v0 offset1:9
	s_waitcnt lgkmcnt(1)
	v_cvt_f32_f16_e32 v4, v2
	v_cvt_f32_f16_sdwa v5, v2 dst_sel:DWORD dst_unused:UNUSED_PAD src0_sel:WORD_1
	v_cvt_f32_f16_e32 v2, v3
	v_cvt_f32_f16_sdwa v3, v3 dst_sel:DWORD dst_unused:UNUSED_PAD src0_sel:WORD_1
	v_lshl_or_b32 v9, v10, 8, v8
	s_waitcnt lgkmcnt(0)
	v_pk_fma_f32 v[4:5], v[0:1], v[4:5], 0 op_sel_hi:[0,1,0]
	v_mov_b32_e32 v0, v1
	v_add_u32_e32 v10, 16, v6
	v_pk_fma_f32 v[0:1], v[0:1], v[2:3], v[4:5] op_sel_hi:[0,1,1]
	v_lshlrev_b32_e32 v2, 1, v10
	v_and_or_b32 v4, v2, s5, v7
	v_mad_u32_u24 v2, v4, s4, v22
	ds_read2st64_b32 v[2:3], v2 offset1:9
	global_store_dwordx2 v9, v[0:1], s[2:3]
	v_mad_u32_u24 v0, v4, s4, 0
	v_add_u32_e32 v0, 0x80, v0
	ds_read2st64_b32 v[0:1], v0 offset1:9
	s_waitcnt lgkmcnt(1)
	v_cvt_f32_f16_e32 v4, v2
	v_cvt_f32_f16_sdwa v5, v2 dst_sel:DWORD dst_unused:UNUSED_PAD src0_sel:WORD_1
	v_cvt_f32_f16_e32 v2, v3
	v_cvt_f32_f16_sdwa v3, v3 dst_sel:DWORD dst_unused:UNUSED_PAD src0_sel:WORD_1
	v_add_u32_e32 v9, 20, v6
	s_waitcnt lgkmcnt(0)
	v_pk_fma_f32 v[4:5], v[0:1], v[4:5], 0 op_sel_hi:[0,1,0]
	v_mov_b32_e32 v0, v1
	v_pk_fma_f32 v[0:1], v[0:1], v[2:3], v[4:5] op_sel_hi:[0,1,1]
	v_lshlrev_b32_e32 v2, 1, v9
	v_and_b32_e32 v3, 15, v9
	v_and_or_b32 v4, v2, s5, v3
	v_mad_u32_u24 v2, v4, s4, v22
	ds_read2st64_b32 v[2:3], v2 offset1:9
	v_lshl_or_b32 v7, v10, 8, v8
	global_store_dwordx2 v7, v[0:1], s[2:3]
	v_mad_u32_u24 v0, v4, s4, 0
	v_add_u32_e32 v0, 0x80, v0
	ds_read2st64_b32 v[0:1], v0 offset1:9
	s_waitcnt lgkmcnt(1)
	v_cvt_f32_f16_e32 v4, v2
	v_cvt_f32_f16_sdwa v5, v2 dst_sel:DWORD dst_unused:UNUSED_PAD src0_sel:WORD_1
	v_cvt_f32_f16_e32 v2, v3
	v_cvt_f32_f16_sdwa v3, v3 dst_sel:DWORD dst_unused:UNUSED_PAD src0_sel:WORD_1
	v_lshl_or_b32 v7, v9, 8, v8
	s_waitcnt lgkmcnt(0)
	v_pk_fma_f32 v[4:5], v[0:1], v[4:5], 0 op_sel_hi:[0,1,0]
	v_mov_b32_e32 v0, v1
	v_add_u32_e32 v9, 24, v6
	v_pk_fma_f32 v[0:1], v[0:1], v[2:3], v[4:5] op_sel_hi:[0,1,1]
	v_lshlrev_b32_e32 v2, 1, v9
	v_and_b32_e32 v3, 15, v9
	v_and_or_b32 v4, v2, s5, v3
	v_mad_u32_u24 v2, v4, s4, v22
	ds_read2st64_b32 v[2:3], v2 offset1:9
	global_store_dwordx2 v7, v[0:1], s[2:3]
	v_mad_u32_u24 v0, v4, s4, 0
	v_add_u32_e32 v0, 0x80, v0
	ds_read2st64_b32 v[0:1], v0 offset1:9
	s_waitcnt lgkmcnt(1)
	v_cvt_f32_f16_e32 v4, v2
	v_cvt_f32_f16_sdwa v5, v2 dst_sel:DWORD dst_unused:UNUSED_PAD src0_sel:WORD_1
	v_cvt_f32_f16_e32 v2, v3
	v_cvt_f32_f16_sdwa v3, v3 dst_sel:DWORD dst_unused:UNUSED_PAD src0_sel:WORD_1
	v_add_u32_e32 v6, 28, v6
	s_waitcnt lgkmcnt(0)
	v_pk_fma_f32 v[4:5], v[0:1], v[4:5], 0 op_sel_hi:[0,1,0]
	v_mov_b32_e32 v0, v1
	v_pk_fma_f32 v[0:1], v[0:1], v[2:3], v[4:5] op_sel_hi:[0,1,1]
	v_lshlrev_b32_e32 v2, 1, v6
	v_and_b32_e32 v3, 15, v6
	v_and_or_b32 v4, v2, s5, v3
	v_mad_u32_u24 v2, v4, s4, v22
	ds_read2st64_b32 v[2:3], v2 offset1:9
	v_lshl_or_b32 v7, v9, 8, v8
	global_store_dwordx2 v7, v[0:1], s[2:3]
	v_mad_u32_u24 v0, v4, s4, 0
	v_add_u32_e32 v0, 0x80, v0
	ds_read2st64_b32 v[0:1], v0 offset1:9
	s_waitcnt lgkmcnt(1)
	v_cvt_f32_f16_e32 v4, v2
	v_cvt_f32_f16_sdwa v5, v2 dst_sel:DWORD dst_unused:UNUSED_PAD src0_sel:WORD_1
	v_cvt_f32_f16_e32 v2, v3
	v_cvt_f32_f16_sdwa v3, v3 dst_sel:DWORD dst_unused:UNUSED_PAD src0_sel:WORD_1
	v_lshl_or_b32 v6, v6, 8, v8
	s_waitcnt lgkmcnt(0)
	v_pk_fma_f32 v[4:5], v[0:1], v[4:5], 0 op_sel_hi:[0,1,0]
	v_mov_b32_e32 v0, v1
	v_pk_fma_f32 v[0:1], v[0:1], v[2:3], v[4:5] op_sel_hi:[0,1,1]
	global_store_dwordx2 v6, v[0:1], s[2:3]
.LBB0_204:
	s_or_b64 exec, exec, s[0:1]
	s_barrier
	s_endpgm
	.section	.rodata,"a",@progbits
	.p2align	6, 0x0
	.amdhsa_kernel _ZL18flash_attn_ext_f16ILi64ELi64ELi4ELi8ELb0ELb0EEvPKcS1_S1_S1_S1_PKiPfP15HIP_vector_typeIfLj2EEffffjfiS5_IjLj3EEiiiiiiiiiiiliiliiiiil
		.amdhsa_group_segment_fixed_size 0
		.amdhsa_private_segment_fixed_size 0
		.amdhsa_kernarg_size 464
		.amdhsa_user_sgpr_count 2
		.amdhsa_user_sgpr_dispatch_ptr 0
		.amdhsa_user_sgpr_queue_ptr 0
		.amdhsa_user_sgpr_kernarg_segment_ptr 1
		.amdhsa_user_sgpr_dispatch_id 0
		.amdhsa_user_sgpr_kernarg_preload_length 0
		.amdhsa_user_sgpr_kernarg_preload_offset 0
		.amdhsa_user_sgpr_private_segment_size 0
		.amdhsa_uses_dynamic_stack 0
		.amdhsa_enable_private_segment 0
		.amdhsa_system_sgpr_workgroup_id_x 1
		.amdhsa_system_sgpr_workgroup_id_y 0
		.amdhsa_system_sgpr_workgroup_id_z 0
		.amdhsa_system_sgpr_workgroup_info 0
		.amdhsa_system_vgpr_workitem_id 1
		.amdhsa_next_free_vgpr 162
		.amdhsa_next_free_sgpr 100
		.amdhsa_accum_offset 164
		.amdhsa_reserve_vcc 1
		.amdhsa_float_round_mode_32 0
		.amdhsa_float_round_mode_16_64 0
		.amdhsa_float_denorm_mode_32 3
		.amdhsa_float_denorm_mode_16_64 3
		.amdhsa_dx10_clamp 1
		.amdhsa_ieee_mode 1
		.amdhsa_fp16_overflow 0
		.amdhsa_tg_split 0
		.amdhsa_exception_fp_ieee_invalid_op 0
		.amdhsa_exception_fp_denorm_src 0
		.amdhsa_exception_fp_ieee_div_zero 0
		.amdhsa_exception_fp_ieee_overflow 0
		.amdhsa_exception_fp_ieee_underflow 0
		.amdhsa_exception_fp_ieee_inexact 0
		.amdhsa_exception_int_div_zero 0
	.end_amdhsa_kernel
	.section	.text._ZL18flash_attn_ext_f16ILi64ELi64ELi4ELi8ELb0ELb0EEvPKcS1_S1_S1_S1_PKiPfP15HIP_vector_typeIfLj2EEffffjfiS5_IjLj3EEiiiiiiiiiiiliiliiiiil,"axG",@progbits,_ZL18flash_attn_ext_f16ILi64ELi64ELi4ELi8ELb0ELb0EEvPKcS1_S1_S1_S1_PKiPfP15HIP_vector_typeIfLj2EEffffjfiS5_IjLj3EEiiiiiiiiiiiliiliiiiil,comdat
.Lfunc_end0:
	.size	_ZL18flash_attn_ext_f16ILi64ELi64ELi4ELi8ELb0ELb0EEvPKcS1_S1_S1_S1_PKiPfP15HIP_vector_typeIfLj2EEffffjfiS5_IjLj3EEiiiiiiiiiiiliiliiiiil, .Lfunc_end0-_ZL18flash_attn_ext_f16ILi64ELi64ELi4ELi8ELb0ELb0EEvPKcS1_S1_S1_S1_PKiPfP15HIP_vector_typeIfLj2EEffffjfiS5_IjLj3EEiiiiiiiiiiiliiliiiiil
                                        ; -- End function
	.set _ZL18flash_attn_ext_f16ILi64ELi64ELi4ELi8ELb0ELb0EEvPKcS1_S1_S1_S1_PKiPfP15HIP_vector_typeIfLj2EEffffjfiS5_IjLj3EEiiiiiiiiiiiliiliiiiil.num_vgpr, 162
	.set _ZL18flash_attn_ext_f16ILi64ELi64ELi4ELi8ELb0ELb0EEvPKcS1_S1_S1_S1_PKiPfP15HIP_vector_typeIfLj2EEffffjfiS5_IjLj3EEiiiiiiiiiiiliiliiiiil.num_agpr, 0
	.set _ZL18flash_attn_ext_f16ILi64ELi64ELi4ELi8ELb0ELb0EEvPKcS1_S1_S1_S1_PKiPfP15HIP_vector_typeIfLj2EEffffjfiS5_IjLj3EEiiiiiiiiiiiliiliiiiil.numbered_sgpr, 100
	.set _ZL18flash_attn_ext_f16ILi64ELi64ELi4ELi8ELb0ELb0EEvPKcS1_S1_S1_S1_PKiPfP15HIP_vector_typeIfLj2EEffffjfiS5_IjLj3EEiiiiiiiiiiiliiliiiiil.num_named_barrier, 0
	.set _ZL18flash_attn_ext_f16ILi64ELi64ELi4ELi8ELb0ELb0EEvPKcS1_S1_S1_S1_PKiPfP15HIP_vector_typeIfLj2EEffffjfiS5_IjLj3EEiiiiiiiiiiiliiliiiiil.private_seg_size, 0
	.set _ZL18flash_attn_ext_f16ILi64ELi64ELi4ELi8ELb0ELb0EEvPKcS1_S1_S1_S1_PKiPfP15HIP_vector_typeIfLj2EEffffjfiS5_IjLj3EEiiiiiiiiiiiliiliiiiil.uses_vcc, 1
	.set _ZL18flash_attn_ext_f16ILi64ELi64ELi4ELi8ELb0ELb0EEvPKcS1_S1_S1_S1_PKiPfP15HIP_vector_typeIfLj2EEffffjfiS5_IjLj3EEiiiiiiiiiiiliiliiiiil.uses_flat_scratch, 0
	.set _ZL18flash_attn_ext_f16ILi64ELi64ELi4ELi8ELb0ELb0EEvPKcS1_S1_S1_S1_PKiPfP15HIP_vector_typeIfLj2EEffffjfiS5_IjLj3EEiiiiiiiiiiiliiliiiiil.has_dyn_sized_stack, 0
	.set _ZL18flash_attn_ext_f16ILi64ELi64ELi4ELi8ELb0ELb0EEvPKcS1_S1_S1_S1_PKiPfP15HIP_vector_typeIfLj2EEffffjfiS5_IjLj3EEiiiiiiiiiiiliiliiiiil.has_recursion, 0
	.set _ZL18flash_attn_ext_f16ILi64ELi64ELi4ELi8ELb0ELb0EEvPKcS1_S1_S1_S1_PKiPfP15HIP_vector_typeIfLj2EEffffjfiS5_IjLj3EEiiiiiiiiiiiliiliiiiil.has_indirect_call, 0
	.section	.AMDGPU.csdata,"",@progbits
; Kernel info:
; codeLenInByte = 29424
; TotalNumSgprs: 106
; NumVgprs: 162
; NumAgprs: 0
; TotalNumVgprs: 162
; ScratchSize: 0
; MemoryBound: 0
; FloatMode: 240
; IeeeMode: 1
; LDSByteSize: 0 bytes/workgroup (compile time only)
; SGPRBlocks: 13
; VGPRBlocks: 20
; NumSGPRsForWavesPerEU: 106
; NumVGPRsForWavesPerEU: 162
; AccumOffset: 164
; Occupancy: 3
; WaveLimiterHint : 0
; COMPUTE_PGM_RSRC2:SCRATCH_EN: 0
; COMPUTE_PGM_RSRC2:USER_SGPR: 2
; COMPUTE_PGM_RSRC2:TRAP_HANDLER: 0
; COMPUTE_PGM_RSRC2:TGID_X_EN: 1
; COMPUTE_PGM_RSRC2:TGID_Y_EN: 0
; COMPUTE_PGM_RSRC2:TGID_Z_EN: 0
; COMPUTE_PGM_RSRC2:TIDIG_COMP_CNT: 1
; COMPUTE_PGM_RSRC3_GFX90A:ACCUM_OFFSET: 40
; COMPUTE_PGM_RSRC3_GFX90A:TG_SPLIT: 0
	.text
	.p2align	2                               ; -- Begin function __ockl_printf_append_string_n
	.type	__ockl_printf_append_string_n,@function
__ockl_printf_append_string_n:          ; @__ockl_printf_append_string_n
; %bb.0:
	s_waitcnt vmcnt(0) expcnt(0) lgkmcnt(0)
	s_getpc_b64 s[0:1]
	s_add_u32 s0, s0, __FUNCTION__._ZL18flash_attn_ext_f16ILi64ELi64ELi4ELi8ELb1ELb0EEvPKcS1_S1_S1_S1_PKiPfP15HIP_vector_typeIfLj2EEffffjfiS5_IjLj3EEiiiiiiiiiiiliiliiiiil@rel32@lo+4
	s_addc_u32 s1, s1, __FUNCTION__._ZL18flash_attn_ext_f16ILi64ELi64ELi4ELi8ELb1ELb0EEvPKcS1_S1_S1_S1_PKiPfP15HIP_vector_typeIfLj2EEffffjfiS5_IjLj3EEiiiiiiiiiiiliiliiiiil@rel32@hi+12
	v_mov_b32_e32 v2, v0
	s_mov_b64 s[2:3], 0
	s_cmp_lg_u64 s[0:1], 0
	v_mbcnt_lo_u32_b32 v3, -1, 0
	s_cbranch_scc0 .LBB1_87
; %bb.1:
	s_load_dwordx2 s[4:5], s[8:9], 0x50
	v_and_b32_e32 v0, -3, v2
	s_getpc_b64 s[0:1]
	s_add_u32 s0, s0, __FUNCTION__._ZL18flash_attn_ext_f16ILi64ELi64ELi4ELi8ELb1ELb0EEvPKcS1_S1_S1_S1_PKiPfP15HIP_vector_typeIfLj2EEffffjfiS5_IjLj3EEiiiiiiiiiiiliiliiiiil@rel32@lo+4
	s_addc_u32 s1, s1, __FUNCTION__._ZL18flash_attn_ext_f16ILi64ELi64ELi4ELi8ELb1ELb0EEvPKcS1_S1_S1_S1_PKiPfP15HIP_vector_typeIfLj2EEffffjfiS5_IjLj3EEiiiiiiiiiiiliiliiiiil@rel32@hi+12
	v_and_b32_e32 v26, 2, v2
	s_mov_b32 s16, 0
	v_mov_b32_e32 v29, 0
	v_mbcnt_hi_u32_b32 v30, -1, v3
	v_mov_b64_e32 v[32:33], s[0:1]
	s_movk_i32 s17, 0x1e0
	v_mov_b32_e32 v50, 2
	v_mov_b32_e32 v51, 1
	v_mov_b64_e32 v[6:7], v[0:1]
	s_branch .LBB1_3
.LBB1_2:                                ;   in Loop: Header=BB1_3 Depth=1
	s_or_b64 exec, exec, s[10:11]
	v_sub_co_u32_e32 v4, vcc, v4, v34
	v_lshl_add_u64 v[32:33], v[32:33], 0, v[34:35]
	s_nop 0
	v_subb_co_u32_e32 v5, vcc, v5, v35, vcc
	v_cmp_eq_u64_e32 vcc, 0, v[4:5]
	s_or_b64 s[2:3], vcc, s[2:3]
	s_andn2_b64 exec, exec, s[2:3]
	s_cbranch_execz .LBB1_85
.LBB1_3:                                ; =>This Loop Header: Depth=1
                                        ;     Child Loop BB1_6 Depth 2
                                        ;     Child Loop BB1_14 Depth 2
	;; [unrolled: 1-line block ×11, first 2 shown]
	v_cmp_gt_u64_e32 vcc, 56, v[4:5]
	v_lshl_add_u64 v[12:13], v[32:33], 0, 8
	s_nop 0
	v_cndmask_b32_e32 v35, 0, v5, vcc
	v_cndmask_b32_e32 v34, 56, v4, vcc
	v_cmp_gt_u64_e32 vcc, 8, v[4:5]
	s_and_saveexec_b64 s[0:1], vcc
	s_xor_b64 s[0:1], exec, s[0:1]
	s_cbranch_execz .LBB1_9
; %bb.4:                                ;   in Loop: Header=BB1_3 Depth=1
	v_mov_b64_e32 v[8:9], 0
	v_cmp_ne_u64_e32 vcc, 0, v[4:5]
	s_and_saveexec_b64 s[6:7], vcc
	s_cbranch_execz .LBB1_8
; %bb.5:                                ;   in Loop: Header=BB1_3 Depth=1
	v_lshlrev_b64 v[10:11], 3, v[34:35]
	s_mov_b64 s[10:11], 0
	v_mov_b64_e32 v[8:9], 0
	v_mov_b64_e32 v[12:13], v[32:33]
	s_mov_b64 s[12:13], 0
.LBB1_6:                                ;   Parent Loop BB1_3 Depth=1
                                        ; =>  This Inner Loop Header: Depth=2
	global_load_ubyte v0, v[12:13], off
	v_mov_b32_e32 v15, s16
	v_lshl_add_u64 v[12:13], v[12:13], 0, 1
	s_waitcnt vmcnt(0)
	v_and_b32_e32 v14, 0xffff, v0
	v_lshlrev_b64 v[14:15], s12, v[14:15]
	s_add_u32 s12, s12, 8
	s_addc_u32 s13, s13, 0
	v_cmp_eq_u32_e32 vcc, s12, v10
	v_or_b32_e32 v9, v15, v9
	s_or_b64 s[10:11], vcc, s[10:11]
	v_or_b32_e32 v8, v14, v8
	s_andn2_b64 exec, exec, s[10:11]
	s_cbranch_execnz .LBB1_6
; %bb.7:                                ;   in Loop: Header=BB1_3 Depth=1
	s_or_b64 exec, exec, s[10:11]
.LBB1_8:                                ;   in Loop: Header=BB1_3 Depth=1
	s_or_b64 exec, exec, s[6:7]
	v_mov_b64_e32 v[12:13], v[32:33]
.LBB1_9:                                ;   in Loop: Header=BB1_3 Depth=1
	s_or_saveexec_b64 s[0:1], s[0:1]
	v_mov_b32_e32 v0, 0
	s_xor_b64 exec, exec, s[0:1]
	s_cbranch_execz .LBB1_11
; %bb.10:                               ;   in Loop: Header=BB1_3 Depth=1
	global_load_dwordx2 v[8:9], v[32:33], off
	v_add_u32_e32 v0, -8, v34
.LBB1_11:                               ;   in Loop: Header=BB1_3 Depth=1
	s_or_b64 exec, exec, s[0:1]
	v_cmp_gt_u32_e32 vcc, 8, v0
	v_lshl_add_u64 v[14:15], v[12:13], 0, 8
                                        ; implicit-def: $vgpr10_vgpr11
	s_and_saveexec_b64 s[0:1], vcc
	s_xor_b64 s[0:1], exec, s[0:1]
	s_cbranch_execz .LBB1_17
; %bb.12:                               ;   in Loop: Header=BB1_3 Depth=1
	v_cmp_ne_u32_e32 vcc, 0, v0
	v_mov_b64_e32 v[10:11], 0
	s_and_saveexec_b64 s[6:7], vcc
	s_cbranch_execz .LBB1_16
; %bb.13:                               ;   in Loop: Header=BB1_3 Depth=1
	s_mov_b64 s[10:11], 0
	v_mov_b64_e32 v[10:11], 0
	s_mov_b64 s[12:13], 0
	s_mov_b64 s[14:15], 0
.LBB1_14:                               ;   Parent Loop BB1_3 Depth=1
                                        ; =>  This Inner Loop Header: Depth=2
	v_lshl_add_u64 v[14:15], v[12:13], 0, s[14:15]
	global_load_ubyte v14, v[14:15], off
	s_add_u32 s14, s14, 1
	v_mov_b32_e32 v15, s16
	s_addc_u32 s15, s15, 0
	v_cmp_eq_u32_e32 vcc, s14, v0
	s_waitcnt vmcnt(0)
	v_and_b32_e32 v14, 0xffff, v14
	v_lshlrev_b64 v[14:15], s12, v[14:15]
	s_add_u32 s12, s12, 8
	s_addc_u32 s13, s13, 0
	v_or_b32_e32 v11, v15, v11
	s_or_b64 s[10:11], vcc, s[10:11]
	v_or_b32_e32 v10, v14, v10
	s_andn2_b64 exec, exec, s[10:11]
	s_cbranch_execnz .LBB1_14
; %bb.15:                               ;   in Loop: Header=BB1_3 Depth=1
	s_or_b64 exec, exec, s[10:11]
.LBB1_16:                               ;   in Loop: Header=BB1_3 Depth=1
	s_or_b64 exec, exec, s[6:7]
	v_mov_b64_e32 v[14:15], v[12:13]
                                        ; implicit-def: $vgpr0
.LBB1_17:                               ;   in Loop: Header=BB1_3 Depth=1
	s_or_saveexec_b64 s[0:1], s[0:1]
	v_mov_b32_e32 v18, 0
	s_xor_b64 exec, exec, s[0:1]
	s_cbranch_execz .LBB1_19
; %bb.18:                               ;   in Loop: Header=BB1_3 Depth=1
	global_load_dwordx2 v[10:11], v[12:13], off
	v_add_u32_e32 v18, -8, v0
.LBB1_19:                               ;   in Loop: Header=BB1_3 Depth=1
	s_or_b64 exec, exec, s[0:1]
	v_cmp_gt_u32_e32 vcc, 8, v18
	v_lshl_add_u64 v[16:17], v[14:15], 0, 8
	s_and_saveexec_b64 s[0:1], vcc
	s_xor_b64 s[0:1], exec, s[0:1]
	s_cbranch_execz .LBB1_25
; %bb.20:                               ;   in Loop: Header=BB1_3 Depth=1
	v_cmp_ne_u32_e32 vcc, 0, v18
	v_mov_b64_e32 v[12:13], 0
	s_and_saveexec_b64 s[6:7], vcc
	s_cbranch_execz .LBB1_24
; %bb.21:                               ;   in Loop: Header=BB1_3 Depth=1
	s_mov_b64 s[10:11], 0
	v_mov_b64_e32 v[12:13], 0
	s_mov_b64 s[12:13], 0
	s_mov_b64 s[14:15], 0
.LBB1_22:                               ;   Parent Loop BB1_3 Depth=1
                                        ; =>  This Inner Loop Header: Depth=2
	v_lshl_add_u64 v[16:17], v[14:15], 0, s[14:15]
	global_load_ubyte v0, v[16:17], off
	s_add_u32 s14, s14, 1
	v_mov_b32_e32 v17, s16
	s_addc_u32 s15, s15, 0
	v_cmp_eq_u32_e32 vcc, s14, v18
	s_waitcnt vmcnt(0)
	v_and_b32_e32 v16, 0xffff, v0
	v_lshlrev_b64 v[16:17], s12, v[16:17]
	s_add_u32 s12, s12, 8
	s_addc_u32 s13, s13, 0
	v_or_b32_e32 v13, v17, v13
	s_or_b64 s[10:11], vcc, s[10:11]
	v_or_b32_e32 v12, v16, v12
	s_andn2_b64 exec, exec, s[10:11]
	s_cbranch_execnz .LBB1_22
; %bb.23:                               ;   in Loop: Header=BB1_3 Depth=1
	s_or_b64 exec, exec, s[10:11]
.LBB1_24:                               ;   in Loop: Header=BB1_3 Depth=1
	s_or_b64 exec, exec, s[6:7]
	v_mov_b64_e32 v[16:17], v[14:15]
                                        ; implicit-def: $vgpr18
.LBB1_25:                               ;   in Loop: Header=BB1_3 Depth=1
	s_or_saveexec_b64 s[0:1], s[0:1]
	v_mov_b32_e32 v0, 0
	s_xor_b64 exec, exec, s[0:1]
	s_cbranch_execz .LBB1_27
; %bb.26:                               ;   in Loop: Header=BB1_3 Depth=1
	global_load_dwordx2 v[12:13], v[14:15], off
	v_add_u32_e32 v0, -8, v18
.LBB1_27:                               ;   in Loop: Header=BB1_3 Depth=1
	s_or_b64 exec, exec, s[0:1]
	v_cmp_gt_u32_e32 vcc, 8, v0
	v_lshl_add_u64 v[18:19], v[16:17], 0, 8
                                        ; implicit-def: $vgpr14_vgpr15
	s_and_saveexec_b64 s[0:1], vcc
	s_xor_b64 s[0:1], exec, s[0:1]
	s_cbranch_execz .LBB1_33
; %bb.28:                               ;   in Loop: Header=BB1_3 Depth=1
	v_cmp_ne_u32_e32 vcc, 0, v0
	v_mov_b64_e32 v[14:15], 0
	s_and_saveexec_b64 s[6:7], vcc
	s_cbranch_execz .LBB1_32
; %bb.29:                               ;   in Loop: Header=BB1_3 Depth=1
	s_mov_b64 s[10:11], 0
	v_mov_b64_e32 v[14:15], 0
	s_mov_b64 s[12:13], 0
	s_mov_b64 s[14:15], 0
.LBB1_30:                               ;   Parent Loop BB1_3 Depth=1
                                        ; =>  This Inner Loop Header: Depth=2
	v_lshl_add_u64 v[18:19], v[16:17], 0, s[14:15]
	global_load_ubyte v18, v[18:19], off
	s_add_u32 s14, s14, 1
	v_mov_b32_e32 v19, s16
	s_addc_u32 s15, s15, 0
	v_cmp_eq_u32_e32 vcc, s14, v0
	s_waitcnt vmcnt(0)
	v_and_b32_e32 v18, 0xffff, v18
	v_lshlrev_b64 v[18:19], s12, v[18:19]
	s_add_u32 s12, s12, 8
	s_addc_u32 s13, s13, 0
	v_or_b32_e32 v15, v19, v15
	s_or_b64 s[10:11], vcc, s[10:11]
	v_or_b32_e32 v14, v18, v14
	s_andn2_b64 exec, exec, s[10:11]
	s_cbranch_execnz .LBB1_30
; %bb.31:                               ;   in Loop: Header=BB1_3 Depth=1
	s_or_b64 exec, exec, s[10:11]
.LBB1_32:                               ;   in Loop: Header=BB1_3 Depth=1
	s_or_b64 exec, exec, s[6:7]
	v_mov_b64_e32 v[18:19], v[16:17]
                                        ; implicit-def: $vgpr0
.LBB1_33:                               ;   in Loop: Header=BB1_3 Depth=1
	s_or_saveexec_b64 s[0:1], s[0:1]
	v_mov_b32_e32 v22, 0
	s_xor_b64 exec, exec, s[0:1]
	s_cbranch_execz .LBB1_35
; %bb.34:                               ;   in Loop: Header=BB1_3 Depth=1
	global_load_dwordx2 v[14:15], v[16:17], off
	v_add_u32_e32 v22, -8, v0
.LBB1_35:                               ;   in Loop: Header=BB1_3 Depth=1
	s_or_b64 exec, exec, s[0:1]
	v_cmp_gt_u32_e32 vcc, 8, v22
	v_lshl_add_u64 v[20:21], v[18:19], 0, 8
	s_and_saveexec_b64 s[0:1], vcc
	s_xor_b64 s[0:1], exec, s[0:1]
	s_cbranch_execz .LBB1_41
; %bb.36:                               ;   in Loop: Header=BB1_3 Depth=1
	v_cmp_ne_u32_e32 vcc, 0, v22
	v_mov_b64_e32 v[16:17], 0
	s_and_saveexec_b64 s[6:7], vcc
	s_cbranch_execz .LBB1_40
; %bb.37:                               ;   in Loop: Header=BB1_3 Depth=1
	s_mov_b64 s[10:11], 0
	v_mov_b64_e32 v[16:17], 0
	s_mov_b64 s[12:13], 0
	s_mov_b64 s[14:15], 0
.LBB1_38:                               ;   Parent Loop BB1_3 Depth=1
                                        ; =>  This Inner Loop Header: Depth=2
	v_lshl_add_u64 v[20:21], v[18:19], 0, s[14:15]
	global_load_ubyte v0, v[20:21], off
	s_add_u32 s14, s14, 1
	v_mov_b32_e32 v21, s16
	s_addc_u32 s15, s15, 0
	v_cmp_eq_u32_e32 vcc, s14, v22
	s_waitcnt vmcnt(0)
	v_and_b32_e32 v20, 0xffff, v0
	v_lshlrev_b64 v[20:21], s12, v[20:21]
	s_add_u32 s12, s12, 8
	s_addc_u32 s13, s13, 0
	v_or_b32_e32 v17, v21, v17
	s_or_b64 s[10:11], vcc, s[10:11]
	v_or_b32_e32 v16, v20, v16
	s_andn2_b64 exec, exec, s[10:11]
	s_cbranch_execnz .LBB1_38
; %bb.39:                               ;   in Loop: Header=BB1_3 Depth=1
	s_or_b64 exec, exec, s[10:11]
.LBB1_40:                               ;   in Loop: Header=BB1_3 Depth=1
	s_or_b64 exec, exec, s[6:7]
	v_mov_b64_e32 v[20:21], v[18:19]
                                        ; implicit-def: $vgpr22
.LBB1_41:                               ;   in Loop: Header=BB1_3 Depth=1
	s_or_saveexec_b64 s[0:1], s[0:1]
	v_mov_b32_e32 v0, 0
	s_xor_b64 exec, exec, s[0:1]
	s_cbranch_execz .LBB1_43
; %bb.42:                               ;   in Loop: Header=BB1_3 Depth=1
	global_load_dwordx2 v[16:17], v[18:19], off
	v_add_u32_e32 v0, -8, v22
.LBB1_43:                               ;   in Loop: Header=BB1_3 Depth=1
	s_or_b64 exec, exec, s[0:1]
	v_cmp_gt_u32_e32 vcc, 8, v0
	v_lshl_add_u64 v[22:23], v[20:21], 0, 8
                                        ; implicit-def: $vgpr18_vgpr19
	s_and_saveexec_b64 s[0:1], vcc
	s_xor_b64 s[0:1], exec, s[0:1]
	s_cbranch_execz .LBB1_49
; %bb.44:                               ;   in Loop: Header=BB1_3 Depth=1
	v_cmp_ne_u32_e32 vcc, 0, v0
	v_mov_b64_e32 v[18:19], 0
	s_and_saveexec_b64 s[6:7], vcc
	s_cbranch_execz .LBB1_48
; %bb.45:                               ;   in Loop: Header=BB1_3 Depth=1
	s_mov_b64 s[10:11], 0
	v_mov_b64_e32 v[18:19], 0
	s_mov_b64 s[12:13], 0
	s_mov_b64 s[14:15], 0
.LBB1_46:                               ;   Parent Loop BB1_3 Depth=1
                                        ; =>  This Inner Loop Header: Depth=2
	v_lshl_add_u64 v[22:23], v[20:21], 0, s[14:15]
	global_load_ubyte v22, v[22:23], off
	s_add_u32 s14, s14, 1
	v_mov_b32_e32 v23, s16
	s_addc_u32 s15, s15, 0
	v_cmp_eq_u32_e32 vcc, s14, v0
	s_waitcnt vmcnt(0)
	v_and_b32_e32 v22, 0xffff, v22
	v_lshlrev_b64 v[22:23], s12, v[22:23]
	s_add_u32 s12, s12, 8
	s_addc_u32 s13, s13, 0
	v_or_b32_e32 v19, v23, v19
	s_or_b64 s[10:11], vcc, s[10:11]
	v_or_b32_e32 v18, v22, v18
	s_andn2_b64 exec, exec, s[10:11]
	s_cbranch_execnz .LBB1_46
; %bb.47:                               ;   in Loop: Header=BB1_3 Depth=1
	s_or_b64 exec, exec, s[10:11]
.LBB1_48:                               ;   in Loop: Header=BB1_3 Depth=1
	s_or_b64 exec, exec, s[6:7]
	v_mov_b64_e32 v[22:23], v[20:21]
                                        ; implicit-def: $vgpr0
.LBB1_49:                               ;   in Loop: Header=BB1_3 Depth=1
	s_or_saveexec_b64 s[0:1], s[0:1]
	v_mov_b32_e32 v24, 0
	s_xor_b64 exec, exec, s[0:1]
	s_cbranch_execz .LBB1_51
; %bb.50:                               ;   in Loop: Header=BB1_3 Depth=1
	global_load_dwordx2 v[18:19], v[20:21], off
	v_add_u32_e32 v24, -8, v0
.LBB1_51:                               ;   in Loop: Header=BB1_3 Depth=1
	s_or_b64 exec, exec, s[0:1]
	v_cmp_gt_u32_e32 vcc, 8, v24
	s_and_saveexec_b64 s[0:1], vcc
	s_xor_b64 s[0:1], exec, s[0:1]
	s_cbranch_execz .LBB1_57
; %bb.52:                               ;   in Loop: Header=BB1_3 Depth=1
	v_cmp_ne_u32_e32 vcc, 0, v24
	v_mov_b64_e32 v[20:21], 0
	s_and_saveexec_b64 s[6:7], vcc
	s_cbranch_execz .LBB1_56
; %bb.53:                               ;   in Loop: Header=BB1_3 Depth=1
	s_mov_b64 s[10:11], 0
	v_mov_b64_e32 v[20:21], 0
	s_mov_b64 s[12:13], 0
.LBB1_54:                               ;   Parent Loop BB1_3 Depth=1
                                        ; =>  This Inner Loop Header: Depth=2
	global_load_ubyte v0, v[22:23], off
	v_mov_b32_e32 v37, s16
	v_add_u32_e32 v24, -1, v24
	v_cmp_eq_u32_e32 vcc, 0, v24
	v_lshl_add_u64 v[22:23], v[22:23], 0, 1
	s_waitcnt vmcnt(0)
	v_and_b32_e32 v36, 0xffff, v0
	v_lshlrev_b64 v[36:37], s12, v[36:37]
	s_add_u32 s12, s12, 8
	s_addc_u32 s13, s13, 0
	v_or_b32_e32 v21, v37, v21
	s_or_b64 s[10:11], vcc, s[10:11]
	v_or_b32_e32 v20, v36, v20
	s_andn2_b64 exec, exec, s[10:11]
	s_cbranch_execnz .LBB1_54
; %bb.55:                               ;   in Loop: Header=BB1_3 Depth=1
	s_or_b64 exec, exec, s[10:11]
.LBB1_56:                               ;   in Loop: Header=BB1_3 Depth=1
	s_or_b64 exec, exec, s[6:7]
                                        ; implicit-def: $vgpr22_vgpr23
.LBB1_57:                               ;   in Loop: Header=BB1_3 Depth=1
	s_andn2_saveexec_b64 s[0:1], s[0:1]
	s_cbranch_execz .LBB1_59
; %bb.58:                               ;   in Loop: Header=BB1_3 Depth=1
	global_load_dwordx2 v[20:21], v[22:23], off
.LBB1_59:                               ;   in Loop: Header=BB1_3 Depth=1
	s_or_b64 exec, exec, s[0:1]
	v_readfirstlane_b32 s0, v30
	v_mov_b64_e32 v[36:37], 0
	s_nop 0
	v_cmp_eq_u32_e64 s[0:1], s0, v30
	s_and_saveexec_b64 s[6:7], s[0:1]
	s_cbranch_execz .LBB1_65
; %bb.60:                               ;   in Loop: Header=BB1_3 Depth=1
	s_waitcnt lgkmcnt(0)
	global_load_dwordx2 v[24:25], v29, s[4:5] offset:24 sc0 sc1
	s_waitcnt vmcnt(0)
	buffer_inv sc0 sc1
	global_load_dwordx2 v[22:23], v29, s[4:5] offset:40
	global_load_dwordx2 v[36:37], v29, s[4:5]
	s_waitcnt vmcnt(1)
	v_and_b32_e32 v0, v22, v24
	v_and_b32_e32 v22, v23, v25
	v_mul_lo_u32 v22, v22, 24
	v_mul_hi_u32 v23, v0, 24
	v_add_u32_e32 v23, v23, v22
	v_mul_lo_u32 v22, v0, 24
	s_waitcnt vmcnt(0)
	v_lshl_add_u64 v[22:23], v[36:37], 0, v[22:23]
	global_load_dwordx2 v[22:23], v[22:23], off sc0 sc1
	s_waitcnt vmcnt(0)
	global_atomic_cmpswap_x2 v[36:37], v29, v[22:25], s[4:5] offset:24 sc0 sc1
	s_waitcnt vmcnt(0)
	buffer_inv sc0 sc1
	v_cmp_ne_u64_e32 vcc, v[36:37], v[24:25]
	s_and_saveexec_b64 s[10:11], vcc
	s_cbranch_execz .LBB1_64
; %bb.61:                               ;   in Loop: Header=BB1_3 Depth=1
	s_mov_b64 s[12:13], 0
.LBB1_62:                               ;   Parent Loop BB1_3 Depth=1
                                        ; =>  This Inner Loop Header: Depth=2
	s_sleep 1
	global_load_dwordx2 v[22:23], v29, s[4:5] offset:40
	global_load_dwordx2 v[38:39], v29, s[4:5]
	v_mov_b64_e32 v[24:25], v[36:37]
	s_waitcnt vmcnt(1)
	v_and_b32_e32 v0, v22, v24
	v_and_b32_e32 v27, v23, v25
	s_waitcnt vmcnt(0)
	v_mad_u64_u32 v[22:23], s[14:15], v0, 24, v[38:39]
	v_mov_b32_e32 v0, v23
	v_mad_u64_u32 v[36:37], s[14:15], v27, 24, v[0:1]
	v_mov_b32_e32 v23, v36
	global_load_dwordx2 v[22:23], v[22:23], off sc0 sc1
	s_waitcnt vmcnt(0)
	global_atomic_cmpswap_x2 v[36:37], v29, v[22:25], s[4:5] offset:24 sc0 sc1
	s_waitcnt vmcnt(0)
	buffer_inv sc0 sc1
	v_cmp_eq_u64_e32 vcc, v[36:37], v[24:25]
	s_or_b64 s[12:13], vcc, s[12:13]
	s_andn2_b64 exec, exec, s[12:13]
	s_cbranch_execnz .LBB1_62
; %bb.63:                               ;   in Loop: Header=BB1_3 Depth=1
	s_or_b64 exec, exec, s[12:13]
.LBB1_64:                               ;   in Loop: Header=BB1_3 Depth=1
	s_or_b64 exec, exec, s[10:11]
.LBB1_65:                               ;   in Loop: Header=BB1_3 Depth=1
	s_or_b64 exec, exec, s[6:7]
	s_waitcnt lgkmcnt(0)
	global_load_dwordx2 v[38:39], v29, s[4:5] offset:40
	global_load_dwordx4 v[22:25], v29, s[4:5]
	v_readfirstlane_b32 s7, v37
	v_readfirstlane_b32 s6, v36
	s_mov_b64 s[10:11], exec
	s_waitcnt vmcnt(1)
	v_readfirstlane_b32 s12, v38
	v_readfirstlane_b32 s13, v39
	s_and_b64 s[12:13], s[12:13], s[6:7]
	s_mul_i32 s14, s13, 24
	s_mul_hi_u32 s15, s12, 24
	s_add_i32 s15, s15, s14
	s_mul_i32 s14, s12, 24
	s_waitcnt vmcnt(0)
	v_lshl_add_u64 v[36:37], v[22:23], 0, s[14:15]
	s_and_saveexec_b64 s[14:15], s[0:1]
	s_cbranch_execz .LBB1_67
; %bb.66:                               ;   in Loop: Header=BB1_3 Depth=1
	v_mov_b64_e32 v[48:49], s[10:11]
	global_store_dwordx4 v[36:37], v[48:51], off offset:8
.LBB1_67:                               ;   in Loop: Header=BB1_3 Depth=1
	s_or_b64 exec, exec, s[14:15]
	v_cmp_gt_u64_e32 vcc, 57, v[4:5]
	s_lshl_b64 s[10:11], s[12:13], 12
	v_and_b32_e32 v6, 0xffffff1f, v6
	v_cndmask_b32_e32 v0, 0, v26, vcc
	v_lshl_add_u64 v[24:25], v[24:25], 0, s[10:11]
	v_lshl_add_u32 v27, v34, 2, 28
	v_or_b32_e32 v0, v6, v0
	v_and_or_b32 v6, v27, s17, v0
	v_lshlrev_b32_e32 v28, 6, v30
	v_readfirstlane_b32 s10, v24
	v_readfirstlane_b32 s11, v25
	s_nop 4
	global_store_dwordx4 v28, v[6:9], s[10:11]
	global_store_dwordx4 v28, v[10:13], s[10:11] offset:16
	global_store_dwordx4 v28, v[14:17], s[10:11] offset:32
	;; [unrolled: 1-line block ×3, first 2 shown]
	s_and_saveexec_b64 s[10:11], s[0:1]
	s_cbranch_execz .LBB1_75
; %bb.68:                               ;   in Loop: Header=BB1_3 Depth=1
	global_load_dwordx2 v[14:15], v29, s[4:5] offset:32 sc0 sc1
	global_load_dwordx2 v[6:7], v29, s[4:5] offset:40
	v_mov_b32_e32 v12, s6
	v_mov_b32_e32 v13, s7
	s_waitcnt vmcnt(0)
	v_readfirstlane_b32 s12, v6
	v_readfirstlane_b32 s13, v7
	s_and_b64 s[12:13], s[12:13], s[6:7]
	s_mul_i32 s13, s13, 24
	s_mul_hi_u32 s14, s12, 24
	s_mul_i32 s12, s12, 24
	s_add_i32 s13, s14, s13
	v_lshl_add_u64 v[10:11], v[22:23], 0, s[12:13]
	global_store_dwordx2 v[10:11], v[14:15], off
	buffer_wbl2 sc0 sc1
	s_waitcnt vmcnt(0)
	global_atomic_cmpswap_x2 v[8:9], v29, v[12:15], s[4:5] offset:32 sc0 sc1
	s_waitcnt vmcnt(0)
	v_cmp_ne_u64_e32 vcc, v[8:9], v[14:15]
	s_and_saveexec_b64 s[12:13], vcc
	s_cbranch_execz .LBB1_71
; %bb.69:                               ;   in Loop: Header=BB1_3 Depth=1
	s_mov_b64 s[14:15], 0
.LBB1_70:                               ;   Parent Loop BB1_3 Depth=1
                                        ; =>  This Inner Loop Header: Depth=2
	s_sleep 1
	global_store_dwordx2 v[10:11], v[8:9], off
	v_mov_b32_e32 v6, s6
	v_mov_b32_e32 v7, s7
	buffer_wbl2 sc0 sc1
	s_waitcnt vmcnt(0)
	global_atomic_cmpswap_x2 v[6:7], v29, v[6:9], s[4:5] offset:32 sc0 sc1
	s_waitcnt vmcnt(0)
	v_cmp_eq_u64_e32 vcc, v[6:7], v[8:9]
	s_or_b64 s[14:15], vcc, s[14:15]
	v_mov_b64_e32 v[8:9], v[6:7]
	s_andn2_b64 exec, exec, s[14:15]
	s_cbranch_execnz .LBB1_70
.LBB1_71:                               ;   in Loop: Header=BB1_3 Depth=1
	s_or_b64 exec, exec, s[12:13]
	global_load_dwordx2 v[6:7], v29, s[4:5] offset:16
	s_mov_b64 s[14:15], exec
	v_mbcnt_lo_u32_b32 v0, s14, 0
	v_mbcnt_hi_u32_b32 v0, s15, v0
	v_cmp_eq_u32_e32 vcc, 0, v0
	s_and_saveexec_b64 s[12:13], vcc
	s_cbranch_execz .LBB1_73
; %bb.72:                               ;   in Loop: Header=BB1_3 Depth=1
	s_bcnt1_i32_b64 s14, s[14:15]
	v_mov_b32_e32 v8, s14
	v_mov_b32_e32 v9, v29
	buffer_wbl2 sc0 sc1
	s_waitcnt vmcnt(0)
	global_atomic_add_x2 v[6:7], v[8:9], off offset:8 sc1
.LBB1_73:                               ;   in Loop: Header=BB1_3 Depth=1
	s_or_b64 exec, exec, s[12:13]
	s_waitcnt vmcnt(0)
	global_load_dwordx2 v[8:9], v[6:7], off offset:16
	s_waitcnt vmcnt(0)
	v_cmp_eq_u64_e32 vcc, 0, v[8:9]
	s_cbranch_vccnz .LBB1_75
; %bb.74:                               ;   in Loop: Header=BB1_3 Depth=1
	global_load_dword v6, v[6:7], off offset:24
	v_mov_b32_e32 v7, v29
	s_waitcnt vmcnt(0)
	v_readfirstlane_b32 s12, v6
	s_and_b32 m0, s12, 0xffffff
	buffer_wbl2 sc0 sc1
	global_store_dwordx2 v[8:9], v[6:7], off sc0 sc1
	s_sendmsg sendmsg(MSG_INTERRUPT)
.LBB1_75:                               ;   in Loop: Header=BB1_3 Depth=1
	s_or_b64 exec, exec, s[10:11]
	v_lshl_add_u64 v[6:7], v[24:25], 0, v[28:29]
	s_branch .LBB1_79
.LBB1_76:                               ;   in Loop: Header=BB1_79 Depth=2
	s_or_b64 exec, exec, s[10:11]
	v_readfirstlane_b32 s10, v0
	s_cmp_eq_u32 s10, 0
	s_cbranch_scc1 .LBB1_78
; %bb.77:                               ;   in Loop: Header=BB1_79 Depth=2
	s_sleep 1
	s_cbranch_execnz .LBB1_79
	s_branch .LBB1_81
.LBB1_78:                               ;   in Loop: Header=BB1_3 Depth=1
	s_branch .LBB1_81
.LBB1_79:                               ;   Parent Loop BB1_3 Depth=1
                                        ; =>  This Inner Loop Header: Depth=2
	v_mov_b32_e32 v0, 1
	s_and_saveexec_b64 s[10:11], s[0:1]
	s_cbranch_execz .LBB1_76
; %bb.80:                               ;   in Loop: Header=BB1_79 Depth=2
	global_load_dword v0, v[36:37], off offset:20 sc0 sc1
	s_waitcnt vmcnt(0)
	buffer_inv sc0 sc1
	v_and_b32_e32 v0, 1, v0
	s_branch .LBB1_76
.LBB1_81:                               ;   in Loop: Header=BB1_3 Depth=1
	global_load_dwordx2 v[6:7], v[6:7], off
	s_and_saveexec_b64 s[10:11], s[0:1]
	s_cbranch_execz .LBB1_2
; %bb.82:                               ;   in Loop: Header=BB1_3 Depth=1
	global_load_dwordx2 v[8:9], v29, s[4:5] offset:40
	global_load_dwordx2 v[16:17], v29, s[4:5] offset:24 sc0 sc1
	global_load_dwordx2 v[10:11], v29, s[4:5]
	s_waitcnt vmcnt(2)
	v_readfirstlane_b32 s12, v8
	v_readfirstlane_b32 s13, v9
	s_add_u32 s14, s12, 1
	s_addc_u32 s15, s13, 0
	s_add_u32 s0, s14, s6
	s_addc_u32 s1, s15, s7
	s_cmp_eq_u64 s[0:1], 0
	s_cselect_b32 s1, s15, s1
	s_cselect_b32 s0, s14, s0
	s_and_b64 s[6:7], s[0:1], s[12:13]
	s_mul_i32 s7, s7, 24
	s_mul_hi_u32 s12, s6, 24
	s_mul_i32 s6, s6, 24
	s_add_i32 s7, s12, s7
	s_waitcnt vmcnt(0)
	v_lshl_add_u64 v[12:13], v[10:11], 0, s[6:7]
	v_mov_b32_e32 v14, s0
	global_store_dwordx2 v[12:13], v[16:17], off
	v_mov_b32_e32 v15, s1
	buffer_wbl2 sc0 sc1
	s_waitcnt vmcnt(0)
	global_atomic_cmpswap_x2 v[10:11], v29, v[14:17], s[4:5] offset:24 sc0 sc1
	s_waitcnt vmcnt(0)
	v_cmp_ne_u64_e32 vcc, v[10:11], v[16:17]
	s_and_b64 exec, exec, vcc
	s_cbranch_execz .LBB1_2
; %bb.83:                               ;   in Loop: Header=BB1_3 Depth=1
	s_mov_b64 s[6:7], 0
.LBB1_84:                               ;   Parent Loop BB1_3 Depth=1
                                        ; =>  This Inner Loop Header: Depth=2
	s_sleep 1
	global_store_dwordx2 v[12:13], v[10:11], off
	v_mov_b32_e32 v8, s0
	v_mov_b32_e32 v9, s1
	buffer_wbl2 sc0 sc1
	s_waitcnt vmcnt(0)
	global_atomic_cmpswap_x2 v[8:9], v29, v[8:11], s[4:5] offset:24 sc0 sc1
	s_waitcnt vmcnt(0)
	v_cmp_eq_u64_e32 vcc, v[8:9], v[10:11]
	s_or_b64 s[6:7], vcc, s[6:7]
	v_mov_b64_e32 v[10:11], v[8:9]
	s_andn2_b64 exec, exec, s[6:7]
	s_cbranch_execnz .LBB1_84
	s_branch .LBB1_2
.LBB1_85:
	s_or_b64 exec, exec, s[2:3]
.LBB1_86:
	s_waitcnt vmcnt(0)
	v_mov_b32_e32 v0, v6
	v_mov_b32_e32 v1, v7
	s_waitcnt lgkmcnt(0)
	s_setpc_b64 s[30:31]
.LBB1_87:
                                        ; implicit-def: $vgpr6_vgpr7
	s_cbranch_execz .LBB1_86
; %bb.88:
	s_load_dwordx2 s[2:3], s[8:9], 0x50
	v_mbcnt_hi_u32_b32 v3, -1, v3
	v_mov_b64_e32 v[8:9], 0
	v_readfirstlane_b32 s0, v3
	s_nop 1
	v_cmp_eq_u32_e64 s[0:1], s0, v3
	s_and_saveexec_b64 s[4:5], s[0:1]
	s_cbranch_execz .LBB1_94
; %bb.89:
	v_mov_b32_e32 v0, 0
	s_waitcnt lgkmcnt(0)
	global_load_dwordx2 v[6:7], v0, s[2:3] offset:24 sc0 sc1
	s_waitcnt vmcnt(0)
	buffer_inv sc0 sc1
	global_load_dwordx2 v[4:5], v0, s[2:3] offset:40
	global_load_dwordx2 v[8:9], v0, s[2:3]
	s_waitcnt vmcnt(1)
	v_and_b32_e32 v4, v4, v6
	v_and_b32_e32 v5, v5, v7
	v_mul_lo_u32 v5, v5, 24
	v_mul_hi_u32 v10, v4, 24
	v_add_u32_e32 v5, v10, v5
	v_mul_lo_u32 v4, v4, 24
	s_waitcnt vmcnt(0)
	v_lshl_add_u64 v[4:5], v[8:9], 0, v[4:5]
	global_load_dwordx2 v[4:5], v[4:5], off sc0 sc1
	s_waitcnt vmcnt(0)
	global_atomic_cmpswap_x2 v[8:9], v0, v[4:7], s[2:3] offset:24 sc0 sc1
	s_waitcnt vmcnt(0)
	buffer_inv sc0 sc1
	v_cmp_ne_u64_e32 vcc, v[8:9], v[6:7]
	s_and_saveexec_b64 s[6:7], vcc
	s_cbranch_execz .LBB1_93
; %bb.90:
	s_mov_b64 s[8:9], 0
.LBB1_91:                               ; =>This Inner Loop Header: Depth=1
	s_sleep 1
	global_load_dwordx2 v[4:5], v0, s[2:3] offset:40
	global_load_dwordx2 v[10:11], v0, s[2:3]
	v_mov_b64_e32 v[6:7], v[8:9]
	s_waitcnt vmcnt(1)
	v_and_b32_e32 v4, v4, v6
	v_and_b32_e32 v9, v5, v7
	s_waitcnt vmcnt(0)
	v_mad_u64_u32 v[4:5], s[10:11], v4, 24, v[10:11]
	v_mov_b32_e32 v8, v5
	v_mad_u64_u32 v[8:9], s[10:11], v9, 24, v[8:9]
	v_mov_b32_e32 v5, v8
	global_load_dwordx2 v[4:5], v[4:5], off sc0 sc1
	s_waitcnt vmcnt(0)
	global_atomic_cmpswap_x2 v[8:9], v0, v[4:7], s[2:3] offset:24 sc0 sc1
	s_waitcnt vmcnt(0)
	buffer_inv sc0 sc1
	v_cmp_eq_u64_e32 vcc, v[8:9], v[6:7]
	s_or_b64 s[8:9], vcc, s[8:9]
	s_andn2_b64 exec, exec, s[8:9]
	s_cbranch_execnz .LBB1_91
; %bb.92:
	s_or_b64 exec, exec, s[8:9]
.LBB1_93:
	s_or_b64 exec, exec, s[6:7]
.LBB1_94:
	s_or_b64 exec, exec, s[4:5]
	v_mov_b32_e32 v11, 0
	s_waitcnt lgkmcnt(0)
	global_load_dwordx2 v[12:13], v11, s[2:3] offset:40
	global_load_dwordx4 v[4:7], v11, s[2:3]
	v_readfirstlane_b32 s5, v9
	v_readfirstlane_b32 s4, v8
	s_mov_b64 s[6:7], exec
	s_waitcnt vmcnt(1)
	v_readfirstlane_b32 s8, v12
	v_readfirstlane_b32 s9, v13
	s_and_b64 s[8:9], s[8:9], s[4:5]
	s_mul_i32 s10, s9, 24
	s_mul_hi_u32 s11, s8, 24
	s_add_i32 s11, s11, s10
	s_mul_i32 s10, s8, 24
	s_waitcnt vmcnt(0)
	v_lshl_add_u64 v[8:9], v[4:5], 0, s[10:11]
	s_and_saveexec_b64 s[10:11], s[0:1]
	s_cbranch_execz .LBB1_96
; %bb.95:
	v_mov_b64_e32 v[12:13], s[6:7]
	v_mov_b32_e32 v14, 2
	v_mov_b32_e32 v15, 1
	global_store_dwordx4 v[8:9], v[12:15], off offset:8
.LBB1_96:
	s_or_b64 exec, exec, s[10:11]
	s_lshl_b64 s[6:7], s[8:9], 12
	v_lshl_add_u64 v[6:7], v[6:7], 0, s[6:7]
	s_movk_i32 s6, 0xff1f
	s_mov_b32 s8, 0
	v_and_or_b32 v0, v2, s6, 32
	v_lshlrev_b32_e32 v10, 6, v3
	v_mov_b32_e32 v2, v11
	v_mov_b32_e32 v3, v11
	v_readfirstlane_b32 s6, v6
	v_readfirstlane_b32 s7, v7
	s_mov_b32 s9, s8
	s_mov_b32 s10, s8
	;; [unrolled: 1-line block ×3, first 2 shown]
	s_nop 1
	global_store_dwordx4 v10, v[0:3], s[6:7]
	s_nop 1
	v_mov_b64_e32 v[0:1], s[8:9]
	v_mov_b64_e32 v[2:3], s[10:11]
	global_store_dwordx4 v10, v[0:3], s[6:7] offset:16
	global_store_dwordx4 v10, v[0:3], s[6:7] offset:32
	;; [unrolled: 1-line block ×3, first 2 shown]
	s_and_saveexec_b64 s[6:7], s[0:1]
	s_cbranch_execz .LBB1_104
; %bb.97:
	v_mov_b32_e32 v12, 0
	global_load_dwordx2 v[16:17], v12, s[2:3] offset:32 sc0 sc1
	global_load_dwordx2 v[0:1], v12, s[2:3] offset:40
	v_mov_b32_e32 v14, s4
	v_mov_b32_e32 v15, s5
	s_waitcnt vmcnt(0)
	v_and_b32_e32 v0, s4, v0
	v_and_b32_e32 v1, s5, v1
	v_mul_lo_u32 v1, v1, 24
	v_mul_hi_u32 v2, v0, 24
	v_mul_lo_u32 v0, v0, 24
	v_add_u32_e32 v1, v2, v1
	v_lshl_add_u64 v[4:5], v[4:5], 0, v[0:1]
	global_store_dwordx2 v[4:5], v[16:17], off
	buffer_wbl2 sc0 sc1
	s_waitcnt vmcnt(0)
	global_atomic_cmpswap_x2 v[2:3], v12, v[14:17], s[2:3] offset:32 sc0 sc1
	s_waitcnt vmcnt(0)
	v_cmp_ne_u64_e32 vcc, v[2:3], v[16:17]
	s_and_saveexec_b64 s[8:9], vcc
	s_cbranch_execz .LBB1_100
; %bb.98:
	s_mov_b64 s[10:11], 0
.LBB1_99:                               ; =>This Inner Loop Header: Depth=1
	s_sleep 1
	global_store_dwordx2 v[4:5], v[2:3], off
	v_mov_b32_e32 v0, s4
	v_mov_b32_e32 v1, s5
	buffer_wbl2 sc0 sc1
	s_waitcnt vmcnt(0)
	global_atomic_cmpswap_x2 v[0:1], v12, v[0:3], s[2:3] offset:32 sc0 sc1
	s_waitcnt vmcnt(0)
	v_cmp_eq_u64_e32 vcc, v[0:1], v[2:3]
	s_or_b64 s[10:11], vcc, s[10:11]
	v_mov_b64_e32 v[2:3], v[0:1]
	s_andn2_b64 exec, exec, s[10:11]
	s_cbranch_execnz .LBB1_99
.LBB1_100:
	s_or_b64 exec, exec, s[8:9]
	v_mov_b32_e32 v3, 0
	global_load_dwordx2 v[0:1], v3, s[2:3] offset:16
	s_mov_b64 s[8:9], exec
	v_mbcnt_lo_u32_b32 v2, s8, 0
	v_mbcnt_hi_u32_b32 v2, s9, v2
	v_cmp_eq_u32_e32 vcc, 0, v2
	s_and_saveexec_b64 s[10:11], vcc
	s_cbranch_execz .LBB1_102
; %bb.101:
	s_bcnt1_i32_b64 s8, s[8:9]
	v_mov_b32_e32 v2, s8
	buffer_wbl2 sc0 sc1
	s_waitcnt vmcnt(0)
	global_atomic_add_x2 v[0:1], v[2:3], off offset:8 sc1
.LBB1_102:
	s_or_b64 exec, exec, s[10:11]
	s_waitcnt vmcnt(0)
	global_load_dwordx2 v[2:3], v[0:1], off offset:16
	s_waitcnt vmcnt(0)
	v_cmp_eq_u64_e32 vcc, 0, v[2:3]
	s_cbranch_vccnz .LBB1_104
; %bb.103:
	global_load_dword v0, v[0:1], off offset:24
	v_mov_b32_e32 v1, 0
	s_waitcnt vmcnt(0)
	v_readfirstlane_b32 s8, v0
	s_and_b32 m0, s8, 0xffffff
	buffer_wbl2 sc0 sc1
	global_store_dwordx2 v[2:3], v[0:1], off sc0 sc1
	s_sendmsg sendmsg(MSG_INTERRUPT)
.LBB1_104:
	s_or_b64 exec, exec, s[6:7]
	v_lshl_add_u64 v[0:1], v[6:7], 0, v[10:11]
	s_branch .LBB1_108
.LBB1_105:                              ;   in Loop: Header=BB1_108 Depth=1
	s_or_b64 exec, exec, s[6:7]
	v_readfirstlane_b32 s6, v2
	s_cmp_eq_u32 s6, 0
	s_cbranch_scc1 .LBB1_107
; %bb.106:                              ;   in Loop: Header=BB1_108 Depth=1
	s_sleep 1
	s_cbranch_execnz .LBB1_108
	s_branch .LBB1_110
.LBB1_107:
	s_branch .LBB1_110
.LBB1_108:                              ; =>This Inner Loop Header: Depth=1
	v_mov_b32_e32 v2, 1
	s_and_saveexec_b64 s[6:7], s[0:1]
	s_cbranch_execz .LBB1_105
; %bb.109:                              ;   in Loop: Header=BB1_108 Depth=1
	global_load_dword v2, v[8:9], off offset:20 sc0 sc1
	s_waitcnt vmcnt(0)
	buffer_inv sc0 sc1
	v_and_b32_e32 v2, 1, v2
	s_branch .LBB1_105
.LBB1_110:
	global_load_dwordx2 v[6:7], v[0:1], off
	s_and_saveexec_b64 s[6:7], s[0:1]
	s_cbranch_execz .LBB1_113
; %bb.111:
	v_mov_b32_e32 v8, 0
	global_load_dwordx2 v[0:1], v8, s[2:3] offset:40
	global_load_dwordx2 v[12:13], v8, s[2:3] offset:24 sc0 sc1
	global_load_dwordx2 v[2:3], v8, s[2:3]
	s_waitcnt vmcnt(2)
	v_readfirstlane_b32 s8, v0
	v_readfirstlane_b32 s9, v1
	s_add_u32 s10, s8, 1
	s_addc_u32 s11, s9, 0
	s_add_u32 s0, s10, s4
	s_addc_u32 s1, s11, s5
	s_cmp_eq_u64 s[0:1], 0
	s_cselect_b32 s1, s11, s1
	s_cselect_b32 s0, s10, s0
	s_and_b64 s[4:5], s[0:1], s[8:9]
	s_mul_i32 s5, s5, 24
	s_mul_hi_u32 s8, s4, 24
	s_mul_i32 s4, s4, 24
	s_add_i32 s5, s8, s5
	s_waitcnt vmcnt(0)
	v_lshl_add_u64 v[4:5], v[2:3], 0, s[4:5]
	v_mov_b32_e32 v10, s0
	global_store_dwordx2 v[4:5], v[12:13], off
	v_mov_b32_e32 v11, s1
	buffer_wbl2 sc0 sc1
	s_waitcnt vmcnt(0)
	global_atomic_cmpswap_x2 v[2:3], v8, v[10:13], s[2:3] offset:24 sc0 sc1
	s_mov_b64 s[4:5], 0
	s_waitcnt vmcnt(0)
	v_cmp_ne_u64_e32 vcc, v[2:3], v[12:13]
	s_and_b64 exec, exec, vcc
	s_cbranch_execz .LBB1_113
.LBB1_112:                              ; =>This Inner Loop Header: Depth=1
	s_sleep 1
	global_store_dwordx2 v[4:5], v[2:3], off
	v_mov_b32_e32 v0, s0
	v_mov_b32_e32 v1, s1
	buffer_wbl2 sc0 sc1
	s_waitcnt vmcnt(0)
	global_atomic_cmpswap_x2 v[0:1], v8, v[0:3], s[2:3] offset:24 sc0 sc1
	s_waitcnt vmcnt(0)
	v_cmp_eq_u64_e32 vcc, v[0:1], v[2:3]
	s_or_b64 s[4:5], vcc, s[4:5]
	v_mov_b64_e32 v[2:3], v[0:1]
	s_andn2_b64 exec, exec, s[4:5]
	s_cbranch_execnz .LBB1_112
.LBB1_113:
	s_or_b64 exec, exec, s[6:7]
	s_waitcnt vmcnt(0)
	v_mov_b32_e32 v0, v6
	v_mov_b32_e32 v1, v7
	s_waitcnt lgkmcnt(0)
	s_setpc_b64 s[30:31]
.Lfunc_end1:
	.size	__ockl_printf_append_string_n, .Lfunc_end1-__ockl_printf_append_string_n
                                        ; -- End function
	.set .L__ockl_printf_append_string_n.num_vgpr, 52
	.set .L__ockl_printf_append_string_n.num_agpr, 0
	.set .L__ockl_printf_append_string_n.numbered_sgpr, 32
	.set .L__ockl_printf_append_string_n.num_named_barrier, 0
	.set .L__ockl_printf_append_string_n.private_seg_size, 0
	.set .L__ockl_printf_append_string_n.uses_vcc, 1
	.set .L__ockl_printf_append_string_n.uses_flat_scratch, 0
	.set .L__ockl_printf_append_string_n.has_dyn_sized_stack, 0
	.set .L__ockl_printf_append_string_n.has_recursion, 0
	.set .L__ockl_printf_append_string_n.has_indirect_call, 0
	.section	.AMDGPU.csdata,"",@progbits
; Function info:
; codeLenInByte = 3812
; TotalNumSgprs: 38
; NumVgprs: 52
; NumAgprs: 0
; TotalNumVgprs: 52
; ScratchSize: 0
; MemoryBound: 0
	.text
	.p2align	2                               ; -- Begin function __ockl_printf_append_args
	.type	__ockl_printf_append_args,@function
__ockl_printf_append_args:              ; @__ockl_printf_append_args
; %bb.0:
	s_waitcnt vmcnt(0) expcnt(0) lgkmcnt(0)
	s_load_dwordx2 s[2:3], s[8:9], 0x50
	v_mbcnt_lo_u32_b32 v5, -1, 0
	v_mbcnt_hi_u32_b32 v5, -1, v5
	v_mov_b64_e32 v[10:11], 0
	v_readfirstlane_b32 s0, v5
	s_nop 1
	v_cmp_eq_u32_e64 s[0:1], s0, v5
	s_and_saveexec_b64 s[4:5], s[0:1]
	s_cbranch_execz .LBB2_6
; %bb.1:
	v_mov_b32_e32 v6, 0
	s_waitcnt lgkmcnt(0)
	global_load_dwordx2 v[12:13], v6, s[2:3] offset:24 sc0 sc1
	s_waitcnt vmcnt(0)
	buffer_inv sc0 sc1
	global_load_dwordx2 v[8:9], v6, s[2:3] offset:40
	global_load_dwordx2 v[10:11], v6, s[2:3]
	s_waitcnt vmcnt(1)
	v_and_b32_e32 v7, v8, v12
	v_and_b32_e32 v8, v9, v13
	v_mul_lo_u32 v8, v8, 24
	v_mul_hi_u32 v9, v7, 24
	v_add_u32_e32 v9, v9, v8
	v_mul_lo_u32 v8, v7, 24
	s_waitcnt vmcnt(0)
	v_lshl_add_u64 v[8:9], v[10:11], 0, v[8:9]
	global_load_dwordx2 v[10:11], v[8:9], off sc0 sc1
	s_waitcnt vmcnt(0)
	global_atomic_cmpswap_x2 v[10:11], v6, v[10:13], s[2:3] offset:24 sc0 sc1
	s_waitcnt vmcnt(0)
	buffer_inv sc0 sc1
	v_cmp_ne_u64_e32 vcc, v[10:11], v[12:13]
	s_and_saveexec_b64 s[6:7], vcc
	s_cbranch_execz .LBB2_5
; %bb.2:
	s_mov_b64 s[8:9], 0
.LBB2_3:                                ; =>This Inner Loop Header: Depth=1
	s_sleep 1
	global_load_dwordx2 v[8:9], v6, s[2:3] offset:40
	global_load_dwordx2 v[14:15], v6, s[2:3]
	v_mov_b64_e32 v[12:13], v[10:11]
	s_waitcnt vmcnt(1)
	v_and_b32_e32 v8, v8, v12
	v_and_b32_e32 v7, v9, v13
	s_waitcnt vmcnt(0)
	v_mad_u64_u32 v[8:9], s[10:11], v8, 24, v[14:15]
	v_mov_b32_e32 v10, v9
	v_mad_u64_u32 v[10:11], s[10:11], v7, 24, v[10:11]
	v_mov_b32_e32 v9, v10
	global_load_dwordx2 v[10:11], v[8:9], off sc0 sc1
	s_waitcnt vmcnt(0)
	global_atomic_cmpswap_x2 v[10:11], v6, v[10:13], s[2:3] offset:24 sc0 sc1
	s_waitcnt vmcnt(0)
	buffer_inv sc0 sc1
	v_cmp_eq_u64_e32 vcc, v[10:11], v[12:13]
	s_or_b64 s[8:9], vcc, s[8:9]
	s_andn2_b64 exec, exec, s[8:9]
	s_cbranch_execnz .LBB2_3
; %bb.4:
	s_or_b64 exec, exec, s[8:9]
.LBB2_5:
	s_or_b64 exec, exec, s[6:7]
.LBB2_6:
	s_or_b64 exec, exec, s[4:5]
	v_mov_b32_e32 v14, 0
	s_waitcnt lgkmcnt(0)
	global_load_dwordx2 v[12:13], v14, s[2:3] offset:40
	global_load_dwordx4 v[6:9], v14, s[2:3]
	v_readfirstlane_b32 s5, v11
	v_readfirstlane_b32 s4, v10
	s_mov_b64 s[6:7], exec
	s_waitcnt vmcnt(1)
	v_readfirstlane_b32 s8, v12
	v_readfirstlane_b32 s9, v13
	s_and_b64 s[8:9], s[8:9], s[4:5]
	s_mul_i32 s10, s9, 24
	s_mul_hi_u32 s11, s8, 24
	s_add_i32 s11, s11, s10
	s_mul_i32 s10, s8, 24
	s_waitcnt vmcnt(0)
	v_lshl_add_u64 v[10:11], v[6:7], 0, s[10:11]
	s_and_saveexec_b64 s[10:11], s[0:1]
	s_cbranch_execz .LBB2_8
; %bb.7:
	v_mov_b64_e32 v[12:13], s[6:7]
	v_mov_b32_e32 v14, 2
	v_mov_b32_e32 v15, 1
	global_store_dwordx4 v[10:11], v[12:15], off offset:8
.LBB2_8:
	s_or_b64 exec, exec, s[10:11]
	s_lshl_b64 s[6:7], s[8:9], 12
	v_or_b32_e32 v12, 2, v0
	v_cmp_eq_u32_e32 vcc, 0, v4
	v_lshl_add_u64 v[8:9], v[8:9], 0, s[6:7]
	s_mov_b32 s8, 0
	v_cndmask_b32_e32 v0, v12, v0, vcc
	s_movk_i32 s6, 0xff1f
	v_and_or_b32 v0, v0, s6, 32
	v_lshlrev_b32_e32 v4, 6, v5
	v_readfirstlane_b32 s6, v8
	v_readfirstlane_b32 s7, v9
	s_mov_b32 s9, s8
	s_mov_b32 s10, s8
	;; [unrolled: 1-line block ×3, first 2 shown]
	s_nop 1
	global_store_dwordx4 v4, v[0:3], s[6:7]
	s_nop 1
	v_mov_b64_e32 v[0:1], s[8:9]
	v_mov_b64_e32 v[2:3], s[10:11]
	global_store_dwordx4 v4, v[0:3], s[6:7] offset:16
	global_store_dwordx4 v4, v[0:3], s[6:7] offset:32
	;; [unrolled: 1-line block ×3, first 2 shown]
	s_and_saveexec_b64 s[6:7], s[0:1]
	s_cbranch_execz .LBB2_16
; %bb.9:
	v_mov_b32_e32 v8, 0
	global_load_dwordx2 v[14:15], v8, s[2:3] offset:32 sc0 sc1
	global_load_dwordx2 v[0:1], v8, s[2:3] offset:40
	v_mov_b32_e32 v12, s4
	v_mov_b32_e32 v13, s5
	s_waitcnt vmcnt(0)
	v_and_b32_e32 v0, s4, v0
	v_and_b32_e32 v1, s5, v1
	v_mul_lo_u32 v1, v1, 24
	v_mul_hi_u32 v2, v0, 24
	v_mul_lo_u32 v0, v0, 24
	v_add_u32_e32 v1, v2, v1
	v_lshl_add_u64 v[4:5], v[6:7], 0, v[0:1]
	global_store_dwordx2 v[4:5], v[14:15], off
	buffer_wbl2 sc0 sc1
	s_waitcnt vmcnt(0)
	global_atomic_cmpswap_x2 v[2:3], v8, v[12:15], s[2:3] offset:32 sc0 sc1
	s_waitcnt vmcnt(0)
	v_cmp_ne_u64_e32 vcc, v[2:3], v[14:15]
	s_and_saveexec_b64 s[8:9], vcc
	s_cbranch_execz .LBB2_12
; %bb.10:
	s_mov_b64 s[10:11], 0
.LBB2_11:                               ; =>This Inner Loop Header: Depth=1
	s_sleep 1
	global_store_dwordx2 v[4:5], v[2:3], off
	v_mov_b32_e32 v0, s4
	v_mov_b32_e32 v1, s5
	buffer_wbl2 sc0 sc1
	s_waitcnt vmcnt(0)
	global_atomic_cmpswap_x2 v[0:1], v8, v[0:3], s[2:3] offset:32 sc0 sc1
	s_waitcnt vmcnt(0)
	v_cmp_eq_u64_e32 vcc, v[0:1], v[2:3]
	s_or_b64 s[10:11], vcc, s[10:11]
	v_mov_b64_e32 v[2:3], v[0:1]
	s_andn2_b64 exec, exec, s[10:11]
	s_cbranch_execnz .LBB2_11
.LBB2_12:
	s_or_b64 exec, exec, s[8:9]
	v_mov_b32_e32 v3, 0
	global_load_dwordx2 v[0:1], v3, s[2:3] offset:16
	s_mov_b64 s[8:9], exec
	v_mbcnt_lo_u32_b32 v2, s8, 0
	v_mbcnt_hi_u32_b32 v2, s9, v2
	v_cmp_eq_u32_e32 vcc, 0, v2
	s_and_saveexec_b64 s[10:11], vcc
	s_cbranch_execz .LBB2_14
; %bb.13:
	s_bcnt1_i32_b64 s8, s[8:9]
	v_mov_b32_e32 v2, s8
	buffer_wbl2 sc0 sc1
	s_waitcnt vmcnt(0)
	global_atomic_add_x2 v[0:1], v[2:3], off offset:8 sc1
.LBB2_14:
	s_or_b64 exec, exec, s[10:11]
	s_waitcnt vmcnt(0)
	global_load_dwordx2 v[2:3], v[0:1], off offset:16
	s_waitcnt vmcnt(0)
	v_cmp_eq_u64_e32 vcc, 0, v[2:3]
	s_cbranch_vccnz .LBB2_16
; %bb.15:
	global_load_dword v0, v[0:1], off offset:24
	v_mov_b32_e32 v1, 0
	s_waitcnt vmcnt(0)
	v_readfirstlane_b32 s8, v0
	s_and_b32 m0, s8, 0xffffff
	buffer_wbl2 sc0 sc1
	global_store_dwordx2 v[2:3], v[0:1], off sc0 sc1
	s_sendmsg sendmsg(MSG_INTERRUPT)
.LBB2_16:
	s_or_b64 exec, exec, s[6:7]
	s_branch .LBB2_20
.LBB2_17:                               ;   in Loop: Header=BB2_20 Depth=1
	s_or_b64 exec, exec, s[6:7]
	v_readfirstlane_b32 s6, v0
	s_cmp_eq_u32 s6, 0
	s_cbranch_scc1 .LBB2_19
; %bb.18:                               ;   in Loop: Header=BB2_20 Depth=1
	s_sleep 1
	s_cbranch_execnz .LBB2_20
	s_branch .LBB2_22
.LBB2_19:
	s_branch .LBB2_22
.LBB2_20:                               ; =>This Inner Loop Header: Depth=1
	v_mov_b32_e32 v0, 1
	s_and_saveexec_b64 s[6:7], s[0:1]
	s_cbranch_execz .LBB2_17
; %bb.21:                               ;   in Loop: Header=BB2_20 Depth=1
	global_load_dword v0, v[10:11], off offset:20 sc0 sc1
	s_waitcnt vmcnt(0)
	buffer_inv sc0 sc1
	v_and_b32_e32 v0, 1, v0
	s_branch .LBB2_17
.LBB2_22:
	s_and_saveexec_b64 s[6:7], s[0:1]
	s_cbranch_execz .LBB2_25
; %bb.23:
	v_mov_b32_e32 v6, 0
	global_load_dwordx2 v[0:1], v6, s[2:3] offset:40
	global_load_dwordx2 v[10:11], v6, s[2:3] offset:24 sc0 sc1
	global_load_dwordx2 v[2:3], v6, s[2:3]
	s_waitcnt vmcnt(2)
	v_readfirstlane_b32 s8, v0
	v_readfirstlane_b32 s9, v1
	s_add_u32 s10, s8, 1
	s_addc_u32 s11, s9, 0
	s_add_u32 s0, s10, s4
	s_addc_u32 s1, s11, s5
	s_cmp_eq_u64 s[0:1], 0
	s_cselect_b32 s1, s11, s1
	s_cselect_b32 s0, s10, s0
	s_and_b64 s[4:5], s[0:1], s[8:9]
	s_mul_i32 s5, s5, 24
	s_mul_hi_u32 s8, s4, 24
	s_mul_i32 s4, s4, 24
	s_add_i32 s5, s8, s5
	s_waitcnt vmcnt(0)
	v_lshl_add_u64 v[4:5], v[2:3], 0, s[4:5]
	v_mov_b32_e32 v8, s0
	global_store_dwordx2 v[4:5], v[10:11], off
	v_mov_b32_e32 v9, s1
	buffer_wbl2 sc0 sc1
	s_waitcnt vmcnt(0)
	global_atomic_cmpswap_x2 v[2:3], v6, v[8:11], s[2:3] offset:24 sc0 sc1
	s_mov_b64 s[4:5], 0
	s_waitcnt vmcnt(0)
	v_cmp_ne_u64_e32 vcc, v[2:3], v[10:11]
	s_and_b64 exec, exec, vcc
	s_cbranch_execz .LBB2_25
.LBB2_24:                               ; =>This Inner Loop Header: Depth=1
	s_sleep 1
	global_store_dwordx2 v[4:5], v[2:3], off
	v_mov_b32_e32 v0, s0
	v_mov_b32_e32 v1, s1
	buffer_wbl2 sc0 sc1
	s_waitcnt vmcnt(0)
	global_atomic_cmpswap_x2 v[0:1], v6, v[0:3], s[2:3] offset:24 sc0 sc1
	s_waitcnt vmcnt(0)
	v_cmp_eq_u64_e32 vcc, v[0:1], v[2:3]
	s_or_b64 s[4:5], vcc, s[4:5]
	v_mov_b64_e32 v[2:3], v[0:1]
	s_andn2_b64 exec, exec, s[4:5]
	s_cbranch_execnz .LBB2_24
.LBB2_25:
	s_or_b64 exec, exec, s[6:7]
	s_waitcnt vmcnt(0) lgkmcnt(0)
	s_setpc_b64 s[30:31]
.Lfunc_end2:
	.size	__ockl_printf_append_args, .Lfunc_end2-__ockl_printf_append_args
                                        ; -- End function
	.set .L__ockl_printf_append_args.num_vgpr, 16
	.set .L__ockl_printf_append_args.num_agpr, 0
	.set .L__ockl_printf_append_args.numbered_sgpr, 32
	.set .L__ockl_printf_append_args.num_named_barrier, 0
	.set .L__ockl_printf_append_args.private_seg_size, 0
	.set .L__ockl_printf_append_args.uses_vcc, 1
	.set .L__ockl_printf_append_args.uses_flat_scratch, 0
	.set .L__ockl_printf_append_args.has_dyn_sized_stack, 0
	.set .L__ockl_printf_append_args.has_recursion, 0
	.set .L__ockl_printf_append_args.has_indirect_call, 0
	.section	.AMDGPU.csdata,"",@progbits
; Function info:
; codeLenInByte = 1216
; TotalNumSgprs: 38
; NumVgprs: 16
; NumAgprs: 0
; TotalNumVgprs: 16
; ScratchSize: 0
; MemoryBound: 0
	.text
	.p2align	2                               ; -- Begin function _ZL14no_device_codePKciS0_iS0_
	.type	_ZL14no_device_codePKciS0_iS0_,@function
_ZL14no_device_codePKciS0_iS0_:         ; @_ZL14no_device_codePKciS0_iS0_
; %bb.0:
	s_waitcnt vmcnt(0) expcnt(0) lgkmcnt(0)
	s_mov_b32 s20, s33
	s_mov_b32 s33, s32
	s_or_saveexec_b64 s[0:1], -1
	scratch_store_dword off, v40, s33       ; 4-byte Folded Spill
	s_mov_b64 exec, s[0:1]
	v_writelane_b32 v40, s30, 0
	s_add_i32 s32, s32, 16
	s_nop 0
	v_writelane_b32 v40, s31, 1
	s_load_dwordx2 s[2:3], s[8:9], 0x50
	v_mbcnt_lo_u32_b32 v1, -1, 0
	v_mbcnt_hi_u32_b32 v1, -1, v1
	v_mov_b64_e32 v[6:7], 0
	v_readfirstlane_b32 s0, v1
	s_nop 1
	v_cmp_eq_u32_e64 s[0:1], s0, v1
	s_and_saveexec_b64 s[4:5], s[0:1]
	s_cbranch_execz .LBB3_6
; %bb.1:
	v_mov_b32_e32 v2, 0
	s_waitcnt lgkmcnt(0)
	global_load_dwordx2 v[8:9], v2, s[2:3] offset:24 sc0 sc1
	s_waitcnt vmcnt(0)
	buffer_inv sc0 sc1
	global_load_dwordx2 v[4:5], v2, s[2:3] offset:40
	global_load_dwordx2 v[6:7], v2, s[2:3]
	s_waitcnt vmcnt(1)
	v_and_b32_e32 v3, v4, v8
	v_and_b32_e32 v4, v5, v9
	v_mul_lo_u32 v4, v4, 24
	v_mul_hi_u32 v5, v3, 24
	v_add_u32_e32 v5, v5, v4
	v_mul_lo_u32 v4, v3, 24
	s_waitcnt vmcnt(0)
	v_lshl_add_u64 v[4:5], v[6:7], 0, v[4:5]
	global_load_dwordx2 v[6:7], v[4:5], off sc0 sc1
	s_waitcnt vmcnt(0)
	global_atomic_cmpswap_x2 v[6:7], v2, v[6:9], s[2:3] offset:24 sc0 sc1
	s_waitcnt vmcnt(0)
	buffer_inv sc0 sc1
	v_cmp_ne_u64_e32 vcc, v[6:7], v[8:9]
	s_and_saveexec_b64 s[6:7], vcc
	s_cbranch_execz .LBB3_5
; %bb.2:
	s_mov_b64 s[10:11], 0
.LBB3_3:                                ; =>This Inner Loop Header: Depth=1
	s_sleep 1
	global_load_dwordx2 v[4:5], v2, s[2:3] offset:40
	global_load_dwordx2 v[10:11], v2, s[2:3]
	v_mov_b64_e32 v[8:9], v[6:7]
	s_waitcnt vmcnt(1)
	v_and_b32_e32 v4, v4, v8
	v_and_b32_e32 v3, v5, v9
	s_waitcnt vmcnt(0)
	v_mad_u64_u32 v[4:5], s[12:13], v4, 24, v[10:11]
	v_mov_b32_e32 v6, v5
	v_mad_u64_u32 v[6:7], s[12:13], v3, 24, v[6:7]
	v_mov_b32_e32 v5, v6
	global_load_dwordx2 v[6:7], v[4:5], off sc0 sc1
	s_waitcnt vmcnt(0)
	global_atomic_cmpswap_x2 v[6:7], v2, v[6:9], s[2:3] offset:24 sc0 sc1
	s_waitcnt vmcnt(0)
	buffer_inv sc0 sc1
	v_cmp_eq_u64_e32 vcc, v[6:7], v[8:9]
	s_or_b64 s[10:11], vcc, s[10:11]
	s_andn2_b64 exec, exec, s[10:11]
	s_cbranch_execnz .LBB3_3
; %bb.4:
	s_or_b64 exec, exec, s[10:11]
.LBB3_5:
	s_or_b64 exec, exec, s[6:7]
.LBB3_6:
	s_or_b64 exec, exec, s[4:5]
	v_mov_b32_e32 v25, 0
	s_waitcnt lgkmcnt(0)
	global_load_dwordx2 v[8:9], v25, s[2:3] offset:40
	global_load_dwordx4 v[2:5], v25, s[2:3]
	v_readfirstlane_b32 s5, v7
	v_readfirstlane_b32 s4, v6
	s_mov_b64 s[6:7], exec
	s_waitcnt vmcnt(1)
	v_readfirstlane_b32 s10, v8
	v_readfirstlane_b32 s11, v9
	s_and_b64 s[10:11], s[10:11], s[4:5]
	s_mul_i32 s12, s11, 24
	s_mul_hi_u32 s13, s10, 24
	s_add_i32 s13, s13, s12
	s_mul_i32 s12, s10, 24
	s_waitcnt vmcnt(0)
	v_lshl_add_u64 v[6:7], v[2:3], 0, s[12:13]
	s_and_saveexec_b64 s[12:13], s[0:1]
	s_cbranch_execz .LBB3_8
; %bb.7:
	v_mov_b64_e32 v[8:9], s[6:7]
	v_mov_b32_e32 v10, 2
	v_mov_b32_e32 v11, 1
	global_store_dwordx4 v[6:7], v[8:11], off offset:8
.LBB3_8:
	s_or_b64 exec, exec, s[12:13]
	s_lshl_b64 s[6:7], s[10:11], 12
	v_lshl_add_u64 v[8:9], v[4:5], 0, s[6:7]
	s_mov_b32 s12, 0
	v_lshlrev_b32_e32 v24, 6, v1
	v_mov_b32_e32 v10, 33
	v_mov_b32_e32 v11, v25
	;; [unrolled: 1-line block ×4, first 2 shown]
	v_readfirstlane_b32 s6, v8
	v_readfirstlane_b32 s7, v9
	s_mov_b32 s13, s12
	s_mov_b32 s14, s12
	s_mov_b32 s15, s12
	s_nop 1
	global_store_dwordx4 v24, v[10:13], s[6:7]
	s_nop 1
	v_mov_b64_e32 v[10:11], s[12:13]
	v_mov_b64_e32 v[12:13], s[14:15]
	global_store_dwordx4 v24, v[10:13], s[6:7] offset:16
	global_store_dwordx4 v24, v[10:13], s[6:7] offset:32
	global_store_dwordx4 v24, v[10:13], s[6:7] offset:48
	s_and_saveexec_b64 s[6:7], s[0:1]
	s_cbranch_execz .LBB3_16
; %bb.9:
	v_mov_b32_e32 v12, 0
	global_load_dwordx2 v[16:17], v12, s[2:3] offset:32 sc0 sc1
	global_load_dwordx2 v[4:5], v12, s[2:3] offset:40
	v_mov_b32_e32 v14, s4
	v_mov_b32_e32 v15, s5
	s_waitcnt vmcnt(0)
	v_and_b32_e32 v4, s4, v4
	v_and_b32_e32 v5, s5, v5
	v_mul_lo_u32 v5, v5, 24
	v_mul_hi_u32 v10, v4, 24
	v_mul_lo_u32 v4, v4, 24
	v_add_u32_e32 v5, v10, v5
	v_lshl_add_u64 v[10:11], v[2:3], 0, v[4:5]
	global_store_dwordx2 v[10:11], v[16:17], off
	buffer_wbl2 sc0 sc1
	s_waitcnt vmcnt(0)
	global_atomic_cmpswap_x2 v[4:5], v12, v[14:17], s[2:3] offset:32 sc0 sc1
	s_waitcnt vmcnt(0)
	v_cmp_ne_u64_e32 vcc, v[4:5], v[16:17]
	s_and_saveexec_b64 s[10:11], vcc
	s_cbranch_execz .LBB3_12
; %bb.10:
	s_mov_b64 s[12:13], 0
.LBB3_11:                               ; =>This Inner Loop Header: Depth=1
	s_sleep 1
	global_store_dwordx2 v[10:11], v[4:5], off
	v_mov_b32_e32 v2, s4
	v_mov_b32_e32 v3, s5
	buffer_wbl2 sc0 sc1
	s_waitcnt vmcnt(0)
	global_atomic_cmpswap_x2 v[2:3], v12, v[2:5], s[2:3] offset:32 sc0 sc1
	s_waitcnt vmcnt(0)
	v_cmp_eq_u64_e32 vcc, v[2:3], v[4:5]
	s_or_b64 s[12:13], vcc, s[12:13]
	v_mov_b64_e32 v[4:5], v[2:3]
	s_andn2_b64 exec, exec, s[12:13]
	s_cbranch_execnz .LBB3_11
.LBB3_12:
	s_or_b64 exec, exec, s[10:11]
	v_mov_b32_e32 v5, 0
	global_load_dwordx2 v[2:3], v5, s[2:3] offset:16
	s_mov_b64 s[10:11], exec
	v_mbcnt_lo_u32_b32 v4, s10, 0
	v_mbcnt_hi_u32_b32 v4, s11, v4
	v_cmp_eq_u32_e32 vcc, 0, v4
	s_and_saveexec_b64 s[12:13], vcc
	s_cbranch_execz .LBB3_14
; %bb.13:
	s_bcnt1_i32_b64 s10, s[10:11]
	v_mov_b32_e32 v4, s10
	buffer_wbl2 sc0 sc1
	s_waitcnt vmcnt(0)
	global_atomic_add_x2 v[2:3], v[4:5], off offset:8 sc1
.LBB3_14:
	s_or_b64 exec, exec, s[12:13]
	s_waitcnt vmcnt(0)
	global_load_dwordx2 v[4:5], v[2:3], off offset:16
	s_waitcnt vmcnt(0)
	v_cmp_eq_u64_e32 vcc, 0, v[4:5]
	s_cbranch_vccnz .LBB3_16
; %bb.15:
	global_load_dword v2, v[2:3], off offset:24
	v_mov_b32_e32 v3, 0
	s_waitcnt vmcnt(0)
	v_readfirstlane_b32 s10, v2
	s_and_b32 m0, s10, 0xffffff
	buffer_wbl2 sc0 sc1
	global_store_dwordx2 v[4:5], v[2:3], off sc0 sc1
	s_sendmsg sendmsg(MSG_INTERRUPT)
.LBB3_16:
	s_or_b64 exec, exec, s[6:7]
	v_lshl_add_u64 v[2:3], v[8:9], 0, v[24:25]
	s_branch .LBB3_20
.LBB3_17:                               ;   in Loop: Header=BB3_20 Depth=1
	s_or_b64 exec, exec, s[6:7]
	v_readfirstlane_b32 s6, v4
	s_cmp_eq_u32 s6, 0
	s_cbranch_scc1 .LBB3_19
; %bb.18:                               ;   in Loop: Header=BB3_20 Depth=1
	s_sleep 1
	s_cbranch_execnz .LBB3_20
	s_branch .LBB3_22
.LBB3_19:
	s_branch .LBB3_22
.LBB3_20:                               ; =>This Inner Loop Header: Depth=1
	v_mov_b32_e32 v4, 1
	s_and_saveexec_b64 s[6:7], s[0:1]
	s_cbranch_execz .LBB3_17
; %bb.21:                               ;   in Loop: Header=BB3_20 Depth=1
	global_load_dword v4, v[6:7], off offset:20 sc0 sc1
	s_waitcnt vmcnt(0)
	buffer_inv sc0 sc1
	v_and_b32_e32 v4, 1, v4
	s_branch .LBB3_17
.LBB3_22:
	global_load_dwordx2 v[6:7], v[2:3], off
	s_and_saveexec_b64 s[6:7], s[0:1]
	s_cbranch_execz .LBB3_25
; %bb.23:
	v_mov_b32_e32 v10, 0
	global_load_dwordx2 v[2:3], v10, s[2:3] offset:40
	global_load_dwordx2 v[14:15], v10, s[2:3] offset:24 sc0 sc1
	global_load_dwordx2 v[4:5], v10, s[2:3]
	s_waitcnt vmcnt(2)
	v_readfirstlane_b32 s10, v2
	v_readfirstlane_b32 s11, v3
	s_add_u32 s12, s10, 1
	s_addc_u32 s13, s11, 0
	s_add_u32 s0, s12, s4
	s_addc_u32 s1, s13, s5
	s_cmp_eq_u64 s[0:1], 0
	s_cselect_b32 s1, s13, s1
	s_cselect_b32 s0, s12, s0
	s_and_b64 s[4:5], s[0:1], s[10:11]
	s_mul_i32 s5, s5, 24
	s_mul_hi_u32 s10, s4, 24
	s_mul_i32 s4, s4, 24
	s_add_i32 s5, s10, s5
	s_waitcnt vmcnt(0)
	v_lshl_add_u64 v[8:9], v[4:5], 0, s[4:5]
	v_mov_b32_e32 v12, s0
	global_store_dwordx2 v[8:9], v[14:15], off
	v_mov_b32_e32 v13, s1
	buffer_wbl2 sc0 sc1
	s_waitcnt vmcnt(0)
	global_atomic_cmpswap_x2 v[4:5], v10, v[12:15], s[2:3] offset:24 sc0 sc1
	s_mov_b64 s[4:5], 0
	s_waitcnt vmcnt(0)
	v_cmp_ne_u64_e32 vcc, v[4:5], v[14:15]
	s_and_b64 exec, exec, vcc
	s_cbranch_execz .LBB3_25
.LBB3_24:                               ; =>This Inner Loop Header: Depth=1
	s_sleep 1
	global_store_dwordx2 v[8:9], v[4:5], off
	v_mov_b32_e32 v2, s0
	v_mov_b32_e32 v3, s1
	buffer_wbl2 sc0 sc1
	s_waitcnt vmcnt(0)
	global_atomic_cmpswap_x2 v[2:3], v10, v[2:5], s[2:3] offset:24 sc0 sc1
	s_waitcnt vmcnt(0)
	v_cmp_eq_u64_e32 vcc, v[2:3], v[4:5]
	s_or_b64 s[4:5], vcc, s[4:5]
	v_mov_b64_e32 v[4:5], v[2:3]
	s_andn2_b64 exec, exec, s[4:5]
	s_cbranch_execnz .LBB3_24
.LBB3_25:
	s_or_b64 exec, exec, s[6:7]
	s_getpc_b64 s[4:5]
	s_add_u32 s4, s4, .str.5@rel32@lo+4
	s_addc_u32 s5, s5, .str.5@rel32@hi+12
	s_cmp_lg_u64 s[4:5], 0
	s_cbranch_scc0 .LBB3_110
; %bb.26:
	s_waitcnt vmcnt(0)
	v_and_b32_e32 v26, 2, v6
	v_mov_b32_e32 v29, 0
	v_and_b32_e32 v2, -3, v6
	v_mov_b32_e32 v3, v7
	s_mov_b64 s[6:7], 0x4d
	v_mov_b32_e32 v34, 2
	v_mov_b32_e32 v35, 1
	s_branch .LBB3_28
.LBB3_27:                               ;   in Loop: Header=BB3_28 Depth=1
	s_or_b64 exec, exec, s[14:15]
	s_sub_u32 s6, s6, s10
	s_subb_u32 s7, s7, s11
	s_add_u32 s4, s4, s10
	s_addc_u32 s5, s5, s11
	s_cmp_lg_u64 s[6:7], 0
	s_cbranch_scc0 .LBB3_111
.LBB3_28:                               ; =>This Loop Header: Depth=1
                                        ;     Child Loop BB3_31 Depth 2
                                        ;     Child Loop BB3_39 Depth 2
	;; [unrolled: 1-line block ×11, first 2 shown]
	v_cmp_lt_u64_e64 s[0:1], s[6:7], 56
	s_and_b64 s[0:1], s[0:1], exec
	s_cselect_b32 s11, s7, 0
	s_cselect_b32 s10, s6, 56
	v_cmp_gt_u64_e64 s[12:13], s[6:7], 7
	s_add_u32 s0, s4, 8
	s_addc_u32 s1, s5, 0
	s_and_b64 vcc, exec, s[12:13]
	s_cbranch_vccnz .LBB3_32
; %bb.29:                               ;   in Loop: Header=BB3_28 Depth=1
	s_cmp_eq_u64 s[6:7], 0
	s_cbranch_scc1 .LBB3_33
; %bb.30:                               ;   in Loop: Header=BB3_28 Depth=1
	s_lshl_b64 s[0:1], s[10:11], 3
	s_mov_b64 s[12:13], 0
	v_mov_b64_e32 v[4:5], 0
	s_mov_b64 s[14:15], s[4:5]
.LBB3_31:                               ;   Parent Loop BB3_28 Depth=1
                                        ; =>  This Inner Loop Header: Depth=2
	global_load_ubyte v8, v29, s[14:15]
	s_waitcnt vmcnt(0)
	v_and_b32_e32 v28, 0xffff, v8
	v_lshlrev_b64 v[8:9], s12, v[28:29]
	s_add_u32 s12, s12, 8
	s_addc_u32 s13, s13, 0
	s_add_u32 s14, s14, 1
	s_addc_u32 s15, s15, 0
	v_or_b32_e32 v4, v8, v4
	s_cmp_lg_u32 s0, s12
	v_or_b32_e32 v5, v9, v5
	s_cbranch_scc1 .LBB3_31
	s_branch .LBB3_34
.LBB3_32:                               ;   in Loop: Header=BB3_28 Depth=1
	s_mov_b32 s16, 0
	s_branch .LBB3_35
.LBB3_33:                               ;   in Loop: Header=BB3_28 Depth=1
	v_mov_b64_e32 v[4:5], 0
.LBB3_34:                               ;   in Loop: Header=BB3_28 Depth=1
	s_mov_b64 s[0:1], s[4:5]
	s_mov_b32 s16, 0
	s_cbranch_execnz .LBB3_36
.LBB3_35:                               ;   in Loop: Header=BB3_28 Depth=1
	global_load_dwordx2 v[4:5], v29, s[4:5]
	s_add_i32 s16, s10, -8
.LBB3_36:                               ;   in Loop: Header=BB3_28 Depth=1
	s_add_u32 s12, s0, 8
	s_addc_u32 s13, s1, 0
	s_cmp_gt_u32 s16, 7
	s_cbranch_scc1 .LBB3_40
; %bb.37:                               ;   in Loop: Header=BB3_28 Depth=1
	s_cmp_eq_u32 s16, 0
	s_cbranch_scc1 .LBB3_41
; %bb.38:                               ;   in Loop: Header=BB3_28 Depth=1
	s_mov_b64 s[12:13], 0
	v_mov_b64_e32 v[8:9], 0
	s_mov_b64 s[14:15], 0
.LBB3_39:                               ;   Parent Loop BB3_28 Depth=1
                                        ; =>  This Inner Loop Header: Depth=2
	s_add_u32 s18, s0, s14
	s_addc_u32 s19, s1, s15
	global_load_ubyte v10, v29, s[18:19]
	s_add_u32 s14, s14, 1
	s_addc_u32 s15, s15, 0
	s_waitcnt vmcnt(0)
	v_and_b32_e32 v28, 0xffff, v10
	v_lshlrev_b64 v[10:11], s12, v[28:29]
	s_add_u32 s12, s12, 8
	s_addc_u32 s13, s13, 0
	v_or_b32_e32 v8, v10, v8
	s_cmp_lg_u32 s16, s14
	v_or_b32_e32 v9, v11, v9
	s_cbranch_scc1 .LBB3_39
	s_branch .LBB3_42
.LBB3_40:                               ;   in Loop: Header=BB3_28 Depth=1
                                        ; implicit-def: $vgpr8_vgpr9
	s_mov_b32 s17, 0
	s_branch .LBB3_43
.LBB3_41:                               ;   in Loop: Header=BB3_28 Depth=1
	v_mov_b64_e32 v[8:9], 0
.LBB3_42:                               ;   in Loop: Header=BB3_28 Depth=1
	s_mov_b64 s[12:13], s[0:1]
	s_mov_b32 s17, 0
	s_cbranch_execnz .LBB3_44
.LBB3_43:                               ;   in Loop: Header=BB3_28 Depth=1
	global_load_dwordx2 v[8:9], v29, s[0:1]
	s_add_i32 s17, s16, -8
.LBB3_44:                               ;   in Loop: Header=BB3_28 Depth=1
	s_add_u32 s0, s12, 8
	s_addc_u32 s1, s13, 0
	s_cmp_gt_u32 s17, 7
	s_cbranch_scc1 .LBB3_48
; %bb.45:                               ;   in Loop: Header=BB3_28 Depth=1
	s_cmp_eq_u32 s17, 0
	s_cbranch_scc1 .LBB3_49
; %bb.46:                               ;   in Loop: Header=BB3_28 Depth=1
	s_mov_b64 s[0:1], 0
	v_mov_b64_e32 v[10:11], 0
	s_mov_b64 s[14:15], 0
.LBB3_47:                               ;   Parent Loop BB3_28 Depth=1
                                        ; =>  This Inner Loop Header: Depth=2
	s_add_u32 s18, s12, s14
	s_addc_u32 s19, s13, s15
	global_load_ubyte v12, v29, s[18:19]
	s_add_u32 s14, s14, 1
	s_addc_u32 s15, s15, 0
	s_waitcnt vmcnt(0)
	v_and_b32_e32 v28, 0xffff, v12
	v_lshlrev_b64 v[12:13], s0, v[28:29]
	s_add_u32 s0, s0, 8
	s_addc_u32 s1, s1, 0
	v_or_b32_e32 v10, v12, v10
	s_cmp_lg_u32 s17, s14
	v_or_b32_e32 v11, v13, v11
	s_cbranch_scc1 .LBB3_47
	s_branch .LBB3_50
.LBB3_48:                               ;   in Loop: Header=BB3_28 Depth=1
	s_mov_b32 s16, 0
	s_branch .LBB3_51
.LBB3_49:                               ;   in Loop: Header=BB3_28 Depth=1
	v_mov_b64_e32 v[10:11], 0
.LBB3_50:                               ;   in Loop: Header=BB3_28 Depth=1
	s_mov_b64 s[0:1], s[12:13]
	s_mov_b32 s16, 0
	s_cbranch_execnz .LBB3_52
.LBB3_51:                               ;   in Loop: Header=BB3_28 Depth=1
	global_load_dwordx2 v[10:11], v29, s[12:13]
	s_add_i32 s16, s17, -8
.LBB3_52:                               ;   in Loop: Header=BB3_28 Depth=1
	s_add_u32 s12, s0, 8
	s_addc_u32 s13, s1, 0
	s_cmp_gt_u32 s16, 7
	s_cbranch_scc1 .LBB3_56
; %bb.53:                               ;   in Loop: Header=BB3_28 Depth=1
	s_cmp_eq_u32 s16, 0
	s_cbranch_scc1 .LBB3_57
; %bb.54:                               ;   in Loop: Header=BB3_28 Depth=1
	s_mov_b64 s[12:13], 0
	v_mov_b64_e32 v[12:13], 0
	s_mov_b64 s[14:15], 0
.LBB3_55:                               ;   Parent Loop BB3_28 Depth=1
                                        ; =>  This Inner Loop Header: Depth=2
	s_add_u32 s18, s0, s14
	s_addc_u32 s19, s1, s15
	global_load_ubyte v14, v29, s[18:19]
	s_add_u32 s14, s14, 1
	s_addc_u32 s15, s15, 0
	s_waitcnt vmcnt(0)
	v_and_b32_e32 v28, 0xffff, v14
	v_lshlrev_b64 v[14:15], s12, v[28:29]
	s_add_u32 s12, s12, 8
	s_addc_u32 s13, s13, 0
	v_or_b32_e32 v12, v14, v12
	s_cmp_lg_u32 s16, s14
	v_or_b32_e32 v13, v15, v13
	s_cbranch_scc1 .LBB3_55
	s_branch .LBB3_58
.LBB3_56:                               ;   in Loop: Header=BB3_28 Depth=1
                                        ; implicit-def: $vgpr12_vgpr13
	s_mov_b32 s17, 0
	s_branch .LBB3_59
.LBB3_57:                               ;   in Loop: Header=BB3_28 Depth=1
	v_mov_b64_e32 v[12:13], 0
.LBB3_58:                               ;   in Loop: Header=BB3_28 Depth=1
	s_mov_b64 s[12:13], s[0:1]
	s_mov_b32 s17, 0
	s_cbranch_execnz .LBB3_60
.LBB3_59:                               ;   in Loop: Header=BB3_28 Depth=1
	global_load_dwordx2 v[12:13], v29, s[0:1]
	s_add_i32 s17, s16, -8
.LBB3_60:                               ;   in Loop: Header=BB3_28 Depth=1
	s_add_u32 s0, s12, 8
	s_addc_u32 s1, s13, 0
	s_cmp_gt_u32 s17, 7
	s_cbranch_scc1 .LBB3_64
; %bb.61:                               ;   in Loop: Header=BB3_28 Depth=1
	s_cmp_eq_u32 s17, 0
	s_cbranch_scc1 .LBB3_65
; %bb.62:                               ;   in Loop: Header=BB3_28 Depth=1
	s_mov_b64 s[0:1], 0
	v_mov_b64_e32 v[14:15], 0
	s_mov_b64 s[14:15], 0
.LBB3_63:                               ;   Parent Loop BB3_28 Depth=1
                                        ; =>  This Inner Loop Header: Depth=2
	s_add_u32 s18, s12, s14
	s_addc_u32 s19, s13, s15
	global_load_ubyte v16, v29, s[18:19]
	s_add_u32 s14, s14, 1
	s_addc_u32 s15, s15, 0
	s_waitcnt vmcnt(0)
	v_and_b32_e32 v28, 0xffff, v16
	v_lshlrev_b64 v[16:17], s0, v[28:29]
	s_add_u32 s0, s0, 8
	s_addc_u32 s1, s1, 0
	v_or_b32_e32 v14, v16, v14
	s_cmp_lg_u32 s17, s14
	v_or_b32_e32 v15, v17, v15
	s_cbranch_scc1 .LBB3_63
	s_branch .LBB3_66
.LBB3_64:                               ;   in Loop: Header=BB3_28 Depth=1
	s_mov_b32 s16, 0
	s_branch .LBB3_67
.LBB3_65:                               ;   in Loop: Header=BB3_28 Depth=1
	v_mov_b64_e32 v[14:15], 0
.LBB3_66:                               ;   in Loop: Header=BB3_28 Depth=1
	s_mov_b64 s[0:1], s[12:13]
	s_mov_b32 s16, 0
	s_cbranch_execnz .LBB3_68
.LBB3_67:                               ;   in Loop: Header=BB3_28 Depth=1
	global_load_dwordx2 v[14:15], v29, s[12:13]
	s_add_i32 s16, s17, -8
.LBB3_68:                               ;   in Loop: Header=BB3_28 Depth=1
	s_add_u32 s12, s0, 8
	s_addc_u32 s13, s1, 0
	s_cmp_gt_u32 s16, 7
	s_cbranch_scc1 .LBB3_72
; %bb.69:                               ;   in Loop: Header=BB3_28 Depth=1
	s_cmp_eq_u32 s16, 0
	s_cbranch_scc1 .LBB3_73
; %bb.70:                               ;   in Loop: Header=BB3_28 Depth=1
	s_mov_b64 s[12:13], 0
	v_mov_b64_e32 v[16:17], 0
	s_mov_b64 s[14:15], 0
.LBB3_71:                               ;   Parent Loop BB3_28 Depth=1
                                        ; =>  This Inner Loop Header: Depth=2
	s_add_u32 s18, s0, s14
	s_addc_u32 s19, s1, s15
	global_load_ubyte v18, v29, s[18:19]
	s_add_u32 s14, s14, 1
	s_addc_u32 s15, s15, 0
	s_waitcnt vmcnt(0)
	v_and_b32_e32 v28, 0xffff, v18
	v_lshlrev_b64 v[18:19], s12, v[28:29]
	s_add_u32 s12, s12, 8
	s_addc_u32 s13, s13, 0
	v_or_b32_e32 v16, v18, v16
	s_cmp_lg_u32 s16, s14
	v_or_b32_e32 v17, v19, v17
	s_cbranch_scc1 .LBB3_71
	s_branch .LBB3_74
.LBB3_72:                               ;   in Loop: Header=BB3_28 Depth=1
                                        ; implicit-def: $vgpr16_vgpr17
	s_mov_b32 s17, 0
	s_branch .LBB3_75
.LBB3_73:                               ;   in Loop: Header=BB3_28 Depth=1
	v_mov_b64_e32 v[16:17], 0
.LBB3_74:                               ;   in Loop: Header=BB3_28 Depth=1
	s_mov_b64 s[12:13], s[0:1]
	s_mov_b32 s17, 0
	s_cbranch_execnz .LBB3_76
.LBB3_75:                               ;   in Loop: Header=BB3_28 Depth=1
	global_load_dwordx2 v[16:17], v29, s[0:1]
	s_add_i32 s17, s16, -8
.LBB3_76:                               ;   in Loop: Header=BB3_28 Depth=1
	s_cmp_gt_u32 s17, 7
	s_cbranch_scc1 .LBB3_80
; %bb.77:                               ;   in Loop: Header=BB3_28 Depth=1
	s_cmp_eq_u32 s17, 0
	s_cbranch_scc1 .LBB3_81
; %bb.78:                               ;   in Loop: Header=BB3_28 Depth=1
	s_mov_b64 s[0:1], 0
	v_mov_b64_e32 v[18:19], 0
	s_mov_b64 s[14:15], s[12:13]
.LBB3_79:                               ;   Parent Loop BB3_28 Depth=1
                                        ; =>  This Inner Loop Header: Depth=2
	global_load_ubyte v20, v29, s[14:15]
	s_add_i32 s17, s17, -1
	s_waitcnt vmcnt(0)
	v_and_b32_e32 v28, 0xffff, v20
	v_lshlrev_b64 v[20:21], s0, v[28:29]
	s_add_u32 s0, s0, 8
	s_addc_u32 s1, s1, 0
	s_add_u32 s14, s14, 1
	s_addc_u32 s15, s15, 0
	v_or_b32_e32 v18, v20, v18
	s_cmp_lg_u32 s17, 0
	v_or_b32_e32 v19, v21, v19
	s_cbranch_scc1 .LBB3_79
	s_branch .LBB3_82
.LBB3_80:                               ;   in Loop: Header=BB3_28 Depth=1
	s_branch .LBB3_83
.LBB3_81:                               ;   in Loop: Header=BB3_28 Depth=1
	v_mov_b64_e32 v[18:19], 0
.LBB3_82:                               ;   in Loop: Header=BB3_28 Depth=1
	s_cbranch_execnz .LBB3_84
.LBB3_83:                               ;   in Loop: Header=BB3_28 Depth=1
	global_load_dwordx2 v[18:19], v29, s[12:13]
.LBB3_84:                               ;   in Loop: Header=BB3_28 Depth=1
	v_readfirstlane_b32 s0, v1
	v_mov_b64_e32 v[30:31], 0
	s_nop 0
	v_cmp_eq_u32_e64 s[0:1], s0, v1
	s_and_saveexec_b64 s[12:13], s[0:1]
	s_cbranch_execz .LBB3_90
; %bb.85:                               ;   in Loop: Header=BB3_28 Depth=1
	global_load_dwordx2 v[22:23], v29, s[2:3] offset:24 sc0 sc1
	s_waitcnt vmcnt(0)
	buffer_inv sc0 sc1
	global_load_dwordx2 v[20:21], v29, s[2:3] offset:40
	global_load_dwordx2 v[30:31], v29, s[2:3]
	s_waitcnt vmcnt(1)
	v_and_b32_e32 v20, v20, v22
	v_and_b32_e32 v21, v21, v23
	v_mul_lo_u32 v21, v21, 24
	v_mul_hi_u32 v25, v20, 24
	v_add_u32_e32 v21, v25, v21
	v_mul_lo_u32 v20, v20, 24
	s_waitcnt vmcnt(0)
	v_lshl_add_u64 v[20:21], v[30:31], 0, v[20:21]
	global_load_dwordx2 v[20:21], v[20:21], off sc0 sc1
	s_waitcnt vmcnt(0)
	global_atomic_cmpswap_x2 v[30:31], v29, v[20:23], s[2:3] offset:24 sc0 sc1
	s_waitcnt vmcnt(0)
	buffer_inv sc0 sc1
	v_cmp_ne_u64_e32 vcc, v[30:31], v[22:23]
	s_and_saveexec_b64 s[14:15], vcc
	s_cbranch_execz .LBB3_89
; %bb.86:                               ;   in Loop: Header=BB3_28 Depth=1
	s_mov_b64 s[16:17], 0
.LBB3_87:                               ;   Parent Loop BB3_28 Depth=1
                                        ; =>  This Inner Loop Header: Depth=2
	s_sleep 1
	global_load_dwordx2 v[20:21], v29, s[2:3] offset:40
	global_load_dwordx2 v[32:33], v29, s[2:3]
	v_mov_b64_e32 v[22:23], v[30:31]
	s_waitcnt vmcnt(1)
	v_and_b32_e32 v20, v20, v22
	v_and_b32_e32 v25, v21, v23
	s_waitcnt vmcnt(0)
	v_mad_u64_u32 v[20:21], s[18:19], v20, 24, v[32:33]
	v_mov_b32_e32 v28, v21
	v_mad_u64_u32 v[30:31], s[18:19], v25, 24, v[28:29]
	v_mov_b32_e32 v21, v30
	global_load_dwordx2 v[20:21], v[20:21], off sc0 sc1
	s_waitcnt vmcnt(0)
	global_atomic_cmpswap_x2 v[30:31], v29, v[20:23], s[2:3] offset:24 sc0 sc1
	s_waitcnt vmcnt(0)
	buffer_inv sc0 sc1
	v_cmp_eq_u64_e32 vcc, v[30:31], v[22:23]
	s_or_b64 s[16:17], vcc, s[16:17]
	s_andn2_b64 exec, exec, s[16:17]
	s_cbranch_execnz .LBB3_87
; %bb.88:                               ;   in Loop: Header=BB3_28 Depth=1
	s_or_b64 exec, exec, s[16:17]
.LBB3_89:                               ;   in Loop: Header=BB3_28 Depth=1
	s_or_b64 exec, exec, s[14:15]
.LBB3_90:                               ;   in Loop: Header=BB3_28 Depth=1
	s_or_b64 exec, exec, s[12:13]
	global_load_dwordx2 v[32:33], v29, s[2:3] offset:40
	global_load_dwordx4 v[20:23], v29, s[2:3]
	v_readfirstlane_b32 s13, v31
	v_readfirstlane_b32 s12, v30
	s_mov_b64 s[14:15], exec
	s_waitcnt vmcnt(1)
	v_readfirstlane_b32 s16, v32
	v_readfirstlane_b32 s17, v33
	s_and_b64 s[16:17], s[16:17], s[12:13]
	s_mul_i32 s18, s17, 24
	s_mul_hi_u32 s19, s16, 24
	s_add_i32 s19, s19, s18
	s_mul_i32 s18, s16, 24
	s_waitcnt vmcnt(0)
	v_lshl_add_u64 v[30:31], v[20:21], 0, s[18:19]
	s_and_saveexec_b64 s[18:19], s[0:1]
	s_cbranch_execz .LBB3_92
; %bb.91:                               ;   in Loop: Header=BB3_28 Depth=1
	v_mov_b64_e32 v[32:33], s[14:15]
	global_store_dwordx4 v[30:31], v[32:35], off offset:8
.LBB3_92:                               ;   in Loop: Header=BB3_28 Depth=1
	s_or_b64 exec, exec, s[18:19]
	s_lshl_b64 s[14:15], s[16:17], 12
	v_lshl_add_u64 v[22:23], v[22:23], 0, s[14:15]
	v_cmp_lt_u64_e64 vcc, s[6:7], 57
	s_lshl_b32 s14, s10, 2
	s_add_i32 s14, s14, 28
	v_cndmask_b32_e32 v25, 0, v26, vcc
	v_and_b32_e32 v2, 0xffffff1f, v2
	s_and_b32 s14, s14, 0x1e0
	v_or_b32_e32 v2, v2, v25
	v_or_b32_e32 v2, s14, v2
	v_readfirstlane_b32 s14, v22
	v_readfirstlane_b32 s15, v23
	s_nop 4
	global_store_dwordx4 v24, v[2:5], s[14:15]
	global_store_dwordx4 v24, v[8:11], s[14:15] offset:16
	global_store_dwordx4 v24, v[12:15], s[14:15] offset:32
	;; [unrolled: 1-line block ×3, first 2 shown]
	s_and_saveexec_b64 s[14:15], s[0:1]
	s_cbranch_execz .LBB3_100
; %bb.93:                               ;   in Loop: Header=BB3_28 Depth=1
	global_load_dwordx2 v[12:13], v29, s[2:3] offset:32 sc0 sc1
	global_load_dwordx2 v[2:3], v29, s[2:3] offset:40
	v_mov_b32_e32 v10, s12
	v_mov_b32_e32 v11, s13
	s_waitcnt vmcnt(0)
	v_readfirstlane_b32 s16, v2
	v_readfirstlane_b32 s17, v3
	s_and_b64 s[16:17], s[16:17], s[12:13]
	s_mul_i32 s17, s17, 24
	s_mul_hi_u32 s18, s16, 24
	s_mul_i32 s16, s16, 24
	s_add_i32 s17, s18, s17
	v_lshl_add_u64 v[8:9], v[20:21], 0, s[16:17]
	global_store_dwordx2 v[8:9], v[12:13], off
	buffer_wbl2 sc0 sc1
	s_waitcnt vmcnt(0)
	global_atomic_cmpswap_x2 v[4:5], v29, v[10:13], s[2:3] offset:32 sc0 sc1
	s_waitcnt vmcnt(0)
	v_cmp_ne_u64_e32 vcc, v[4:5], v[12:13]
	s_and_saveexec_b64 s[16:17], vcc
	s_cbranch_execz .LBB3_96
; %bb.94:                               ;   in Loop: Header=BB3_28 Depth=1
	s_mov_b64 s[18:19], 0
.LBB3_95:                               ;   Parent Loop BB3_28 Depth=1
                                        ; =>  This Inner Loop Header: Depth=2
	s_sleep 1
	global_store_dwordx2 v[8:9], v[4:5], off
	v_mov_b32_e32 v2, s12
	v_mov_b32_e32 v3, s13
	buffer_wbl2 sc0 sc1
	s_waitcnt vmcnt(0)
	global_atomic_cmpswap_x2 v[2:3], v29, v[2:5], s[2:3] offset:32 sc0 sc1
	s_waitcnt vmcnt(0)
	v_cmp_eq_u64_e32 vcc, v[2:3], v[4:5]
	s_or_b64 s[18:19], vcc, s[18:19]
	v_mov_b64_e32 v[4:5], v[2:3]
	s_andn2_b64 exec, exec, s[18:19]
	s_cbranch_execnz .LBB3_95
.LBB3_96:                               ;   in Loop: Header=BB3_28 Depth=1
	s_or_b64 exec, exec, s[16:17]
	global_load_dwordx2 v[2:3], v29, s[2:3] offset:16
	s_mov_b64 s[18:19], exec
	v_mbcnt_lo_u32_b32 v4, s18, 0
	v_mbcnt_hi_u32_b32 v4, s19, v4
	v_cmp_eq_u32_e32 vcc, 0, v4
	s_and_saveexec_b64 s[16:17], vcc
	s_cbranch_execz .LBB3_98
; %bb.97:                               ;   in Loop: Header=BB3_28 Depth=1
	s_bcnt1_i32_b64 s18, s[18:19]
	v_mov_b32_e32 v28, s18
	buffer_wbl2 sc0 sc1
	s_waitcnt vmcnt(0)
	global_atomic_add_x2 v[2:3], v[28:29], off offset:8 sc1
.LBB3_98:                               ;   in Loop: Header=BB3_28 Depth=1
	s_or_b64 exec, exec, s[16:17]
	s_waitcnt vmcnt(0)
	global_load_dwordx2 v[4:5], v[2:3], off offset:16
	s_waitcnt vmcnt(0)
	v_cmp_eq_u64_e32 vcc, 0, v[4:5]
	s_cbranch_vccnz .LBB3_100
; %bb.99:                               ;   in Loop: Header=BB3_28 Depth=1
	global_load_dword v28, v[2:3], off offset:24
	s_waitcnt vmcnt(0)
	v_readfirstlane_b32 s16, v28
	s_and_b32 m0, s16, 0xffffff
	buffer_wbl2 sc0 sc1
	global_store_dwordx2 v[4:5], v[28:29], off sc0 sc1
	s_sendmsg sendmsg(MSG_INTERRUPT)
.LBB3_100:                              ;   in Loop: Header=BB3_28 Depth=1
	s_or_b64 exec, exec, s[14:15]
	v_mov_b32_e32 v25, v29
	v_lshl_add_u64 v[2:3], v[22:23], 0, v[24:25]
	s_branch .LBB3_104
.LBB3_101:                              ;   in Loop: Header=BB3_104 Depth=2
	s_or_b64 exec, exec, s[14:15]
	v_readfirstlane_b32 s14, v4
	s_cmp_eq_u32 s14, 0
	s_cbranch_scc1 .LBB3_103
; %bb.102:                              ;   in Loop: Header=BB3_104 Depth=2
	s_sleep 1
	s_cbranch_execnz .LBB3_104
	s_branch .LBB3_106
.LBB3_103:                              ;   in Loop: Header=BB3_28 Depth=1
	s_branch .LBB3_106
.LBB3_104:                              ;   Parent Loop BB3_28 Depth=1
                                        ; =>  This Inner Loop Header: Depth=2
	v_mov_b32_e32 v4, 1
	s_and_saveexec_b64 s[14:15], s[0:1]
	s_cbranch_execz .LBB3_101
; %bb.105:                              ;   in Loop: Header=BB3_104 Depth=2
	global_load_dword v4, v[30:31], off offset:20 sc0 sc1
	s_waitcnt vmcnt(0)
	buffer_inv sc0 sc1
	v_and_b32_e32 v4, 1, v4
	s_branch .LBB3_101
.LBB3_106:                              ;   in Loop: Header=BB3_28 Depth=1
	global_load_dwordx2 v[2:3], v[2:3], off
	s_and_saveexec_b64 s[14:15], s[0:1]
	s_cbranch_execz .LBB3_27
; %bb.107:                              ;   in Loop: Header=BB3_28 Depth=1
	global_load_dwordx2 v[4:5], v29, s[2:3] offset:40
	global_load_dwordx2 v[12:13], v29, s[2:3] offset:24 sc0 sc1
	global_load_dwordx2 v[8:9], v29, s[2:3]
	s_waitcnt vmcnt(2)
	v_readfirstlane_b32 s16, v4
	v_readfirstlane_b32 s17, v5
	s_add_u32 s18, s16, 1
	s_addc_u32 s19, s17, 0
	s_add_u32 s0, s18, s12
	s_addc_u32 s1, s19, s13
	s_cmp_eq_u64 s[0:1], 0
	s_cselect_b32 s1, s19, s1
	s_cselect_b32 s0, s18, s0
	s_and_b64 s[12:13], s[0:1], s[16:17]
	s_mul_i32 s13, s13, 24
	s_mul_hi_u32 s16, s12, 24
	s_mul_i32 s12, s12, 24
	s_add_i32 s13, s16, s13
	s_waitcnt vmcnt(0)
	v_lshl_add_u64 v[4:5], v[8:9], 0, s[12:13]
	v_mov_b32_e32 v10, s0
	global_store_dwordx2 v[4:5], v[12:13], off
	v_mov_b32_e32 v11, s1
	buffer_wbl2 sc0 sc1
	s_waitcnt vmcnt(0)
	global_atomic_cmpswap_x2 v[10:11], v29, v[10:13], s[2:3] offset:24 sc0 sc1
	s_waitcnt vmcnt(0)
	v_cmp_ne_u64_e32 vcc, v[10:11], v[12:13]
	s_and_b64 exec, exec, vcc
	s_cbranch_execz .LBB3_27
; %bb.108:                              ;   in Loop: Header=BB3_28 Depth=1
	s_mov_b64 s[12:13], 0
.LBB3_109:                              ;   Parent Loop BB3_28 Depth=1
                                        ; =>  This Inner Loop Header: Depth=2
	s_sleep 1
	global_store_dwordx2 v[4:5], v[10:11], off
	v_mov_b32_e32 v8, s0
	v_mov_b32_e32 v9, s1
	buffer_wbl2 sc0 sc1
	s_waitcnt vmcnt(0)
	global_atomic_cmpswap_x2 v[8:9], v29, v[8:11], s[2:3] offset:24 sc0 sc1
	s_waitcnt vmcnt(0)
	v_cmp_eq_u64_e32 vcc, v[8:9], v[10:11]
	s_or_b64 s[12:13], vcc, s[12:13]
	v_mov_b64_e32 v[10:11], v[8:9]
	s_andn2_b64 exec, exec, s[12:13]
	s_cbranch_execnz .LBB3_109
	s_branch .LBB3_27
.LBB3_110:
                                        ; implicit-def: $vgpr2_vgpr3
	s_cbranch_execnz .LBB3_112
	s_branch .LBB3_138
.LBB3_111:
	s_branch .LBB3_138
.LBB3_112:
	v_readfirstlane_b32 s0, v1
	v_mov_b64_e32 v[8:9], 0
	s_nop 0
	v_cmp_eq_u32_e64 s[0:1], s0, v1
	s_and_saveexec_b64 s[4:5], s[0:1]
	s_cbranch_execz .LBB3_118
; %bb.113:
	s_waitcnt vmcnt(0)
	v_mov_b32_e32 v2, 0
	global_load_dwordx2 v[10:11], v2, s[2:3] offset:24 sc0 sc1
	s_waitcnt vmcnt(0)
	buffer_inv sc0 sc1
	global_load_dwordx2 v[4:5], v2, s[2:3] offset:40
	global_load_dwordx2 v[8:9], v2, s[2:3]
	s_waitcnt vmcnt(1)
	v_and_b32_e32 v3, v4, v10
	v_and_b32_e32 v4, v5, v11
	v_mul_lo_u32 v4, v4, 24
	v_mul_hi_u32 v5, v3, 24
	v_add_u32_e32 v5, v5, v4
	v_mul_lo_u32 v4, v3, 24
	s_waitcnt vmcnt(0)
	v_lshl_add_u64 v[4:5], v[8:9], 0, v[4:5]
	global_load_dwordx2 v[8:9], v[4:5], off sc0 sc1
	s_waitcnt vmcnt(0)
	global_atomic_cmpswap_x2 v[8:9], v2, v[8:11], s[2:3] offset:24 sc0 sc1
	s_waitcnt vmcnt(0)
	buffer_inv sc0 sc1
	v_cmp_ne_u64_e32 vcc, v[8:9], v[10:11]
	s_and_saveexec_b64 s[6:7], vcc
	s_cbranch_execz .LBB3_117
; %bb.114:
	s_mov_b64 s[10:11], 0
.LBB3_115:                              ; =>This Inner Loop Header: Depth=1
	s_sleep 1
	global_load_dwordx2 v[4:5], v2, s[2:3] offset:40
	global_load_dwordx2 v[12:13], v2, s[2:3]
	v_mov_b64_e32 v[10:11], v[8:9]
	s_waitcnt vmcnt(1)
	v_and_b32_e32 v4, v4, v10
	v_and_b32_e32 v3, v5, v11
	s_waitcnt vmcnt(0)
	v_mad_u64_u32 v[4:5], s[12:13], v4, 24, v[12:13]
	v_mov_b32_e32 v8, v5
	v_mad_u64_u32 v[8:9], s[12:13], v3, 24, v[8:9]
	v_mov_b32_e32 v5, v8
	global_load_dwordx2 v[8:9], v[4:5], off sc0 sc1
	s_waitcnt vmcnt(0)
	global_atomic_cmpswap_x2 v[8:9], v2, v[8:11], s[2:3] offset:24 sc0 sc1
	s_waitcnt vmcnt(0)
	buffer_inv sc0 sc1
	v_cmp_eq_u64_e32 vcc, v[8:9], v[10:11]
	s_or_b64 s[10:11], vcc, s[10:11]
	s_andn2_b64 exec, exec, s[10:11]
	s_cbranch_execnz .LBB3_115
; %bb.116:
	s_or_b64 exec, exec, s[10:11]
.LBB3_117:
	s_or_b64 exec, exec, s[6:7]
.LBB3_118:
	s_or_b64 exec, exec, s[4:5]
	v_mov_b32_e32 v25, 0
	global_load_dwordx2 v[10:11], v25, s[2:3] offset:40
	global_load_dwordx4 v[2:5], v25, s[2:3]
	v_readfirstlane_b32 s5, v9
	v_readfirstlane_b32 s4, v8
	s_mov_b64 s[6:7], exec
	s_waitcnt vmcnt(1)
	v_readfirstlane_b32 s10, v10
	v_readfirstlane_b32 s11, v11
	s_and_b64 s[10:11], s[10:11], s[4:5]
	s_mul_i32 s12, s11, 24
	s_mul_hi_u32 s13, s10, 24
	s_add_i32 s13, s13, s12
	s_mul_i32 s12, s10, 24
	s_waitcnt vmcnt(0)
	v_lshl_add_u64 v[10:11], v[2:3], 0, s[12:13]
	s_and_saveexec_b64 s[12:13], s[0:1]
	s_cbranch_execz .LBB3_120
; %bb.119:
	v_mov_b64_e32 v[12:13], s[6:7]
	v_mov_b32_e32 v14, 2
	v_mov_b32_e32 v15, 1
	global_store_dwordx4 v[10:11], v[12:15], off offset:8
.LBB3_120:
	s_or_b64 exec, exec, s[12:13]
	s_lshl_b64 s[6:7], s[10:11], 12
	v_lshl_add_u64 v[12:13], v[4:5], 0, s[6:7]
	s_movk_i32 s6, 0xff1f
	s_mov_b32 s12, 0
	v_and_or_b32 v6, v6, s6, 32
	v_mov_b32_e32 v8, v25
	v_mov_b32_e32 v9, v25
	v_readfirstlane_b32 s6, v12
	v_readfirstlane_b32 s7, v13
	s_mov_b32 s13, s12
	s_mov_b32 s14, s12
	;; [unrolled: 1-line block ×3, first 2 shown]
	s_nop 1
	global_store_dwordx4 v24, v[6:9], s[6:7]
	v_mov_b64_e32 v[4:5], s[12:13]
	s_nop 0
	v_mov_b64_e32 v[6:7], s[14:15]
	global_store_dwordx4 v24, v[4:7], s[6:7] offset:16
	global_store_dwordx4 v24, v[4:7], s[6:7] offset:32
	;; [unrolled: 1-line block ×3, first 2 shown]
	s_and_saveexec_b64 s[6:7], s[0:1]
	s_cbranch_execz .LBB3_128
; %bb.121:
	v_mov_b32_e32 v8, 0
	global_load_dwordx2 v[16:17], v8, s[2:3] offset:32 sc0 sc1
	global_load_dwordx2 v[4:5], v8, s[2:3] offset:40
	v_mov_b32_e32 v14, s4
	v_mov_b32_e32 v15, s5
	s_waitcnt vmcnt(0)
	v_readfirstlane_b32 s10, v4
	v_readfirstlane_b32 s11, v5
	s_and_b64 s[10:11], s[10:11], s[4:5]
	s_mul_i32 s11, s11, 24
	s_mul_hi_u32 s12, s10, 24
	s_mul_i32 s10, s10, 24
	s_add_i32 s11, s12, s11
	v_lshl_add_u64 v[6:7], v[2:3], 0, s[10:11]
	global_store_dwordx2 v[6:7], v[16:17], off
	buffer_wbl2 sc0 sc1
	s_waitcnt vmcnt(0)
	global_atomic_cmpswap_x2 v[4:5], v8, v[14:17], s[2:3] offset:32 sc0 sc1
	s_waitcnt vmcnt(0)
	v_cmp_ne_u64_e32 vcc, v[4:5], v[16:17]
	s_and_saveexec_b64 s[10:11], vcc
	s_cbranch_execz .LBB3_124
; %bb.122:
	s_mov_b64 s[12:13], 0
.LBB3_123:                              ; =>This Inner Loop Header: Depth=1
	s_sleep 1
	global_store_dwordx2 v[6:7], v[4:5], off
	v_mov_b32_e32 v2, s4
	v_mov_b32_e32 v3, s5
	buffer_wbl2 sc0 sc1
	s_waitcnt vmcnt(0)
	global_atomic_cmpswap_x2 v[2:3], v8, v[2:5], s[2:3] offset:32 sc0 sc1
	s_waitcnt vmcnt(0)
	v_cmp_eq_u64_e32 vcc, v[2:3], v[4:5]
	s_or_b64 s[12:13], vcc, s[12:13]
	v_mov_b64_e32 v[4:5], v[2:3]
	s_andn2_b64 exec, exec, s[12:13]
	s_cbranch_execnz .LBB3_123
.LBB3_124:
	s_or_b64 exec, exec, s[10:11]
	v_mov_b32_e32 v5, 0
	global_load_dwordx2 v[2:3], v5, s[2:3] offset:16
	s_mov_b64 s[10:11], exec
	v_mbcnt_lo_u32_b32 v4, s10, 0
	v_mbcnt_hi_u32_b32 v4, s11, v4
	v_cmp_eq_u32_e32 vcc, 0, v4
	s_and_saveexec_b64 s[12:13], vcc
	s_cbranch_execz .LBB3_126
; %bb.125:
	s_bcnt1_i32_b64 s10, s[10:11]
	v_mov_b32_e32 v4, s10
	buffer_wbl2 sc0 sc1
	s_waitcnt vmcnt(0)
	global_atomic_add_x2 v[2:3], v[4:5], off offset:8 sc1
.LBB3_126:
	s_or_b64 exec, exec, s[12:13]
	s_waitcnt vmcnt(0)
	global_load_dwordx2 v[4:5], v[2:3], off offset:16
	s_waitcnt vmcnt(0)
	v_cmp_eq_u64_e32 vcc, 0, v[4:5]
	s_cbranch_vccnz .LBB3_128
; %bb.127:
	global_load_dword v2, v[2:3], off offset:24
	v_mov_b32_e32 v3, 0
	s_waitcnt vmcnt(0)
	v_readfirstlane_b32 s10, v2
	s_and_b32 m0, s10, 0xffffff
	buffer_wbl2 sc0 sc1
	global_store_dwordx2 v[4:5], v[2:3], off sc0 sc1
	s_sendmsg sendmsg(MSG_INTERRUPT)
.LBB3_128:
	s_or_b64 exec, exec, s[6:7]
	v_lshl_add_u64 v[2:3], v[12:13], 0, v[24:25]
	s_branch .LBB3_132
.LBB3_129:                              ;   in Loop: Header=BB3_132 Depth=1
	s_or_b64 exec, exec, s[6:7]
	v_readfirstlane_b32 s6, v4
	s_cmp_eq_u32 s6, 0
	s_cbranch_scc1 .LBB3_131
; %bb.130:                              ;   in Loop: Header=BB3_132 Depth=1
	s_sleep 1
	s_cbranch_execnz .LBB3_132
	s_branch .LBB3_134
.LBB3_131:
	s_branch .LBB3_134
.LBB3_132:                              ; =>This Inner Loop Header: Depth=1
	v_mov_b32_e32 v4, 1
	s_and_saveexec_b64 s[6:7], s[0:1]
	s_cbranch_execz .LBB3_129
; %bb.133:                              ;   in Loop: Header=BB3_132 Depth=1
	global_load_dword v4, v[10:11], off offset:20 sc0 sc1
	s_waitcnt vmcnt(0)
	buffer_inv sc0 sc1
	v_and_b32_e32 v4, 1, v4
	s_branch .LBB3_129
.LBB3_134:
	global_load_dwordx2 v[2:3], v[2:3], off
	s_and_saveexec_b64 s[6:7], s[0:1]
	s_cbranch_execz .LBB3_137
; %bb.135:
	v_mov_b32_e32 v10, 0
	global_load_dwordx2 v[4:5], v10, s[2:3] offset:40
	global_load_dwordx2 v[14:15], v10, s[2:3] offset:24 sc0 sc1
	global_load_dwordx2 v[6:7], v10, s[2:3]
	s_waitcnt vmcnt(2)
	v_readfirstlane_b32 s10, v4
	v_readfirstlane_b32 s11, v5
	s_add_u32 s12, s10, 1
	s_addc_u32 s13, s11, 0
	s_add_u32 s0, s12, s4
	s_addc_u32 s1, s13, s5
	s_cmp_eq_u64 s[0:1], 0
	s_cselect_b32 s1, s13, s1
	s_cselect_b32 s0, s12, s0
	s_and_b64 s[4:5], s[0:1], s[10:11]
	s_mul_i32 s5, s5, 24
	s_mul_hi_u32 s10, s4, 24
	s_mul_i32 s4, s4, 24
	s_add_i32 s5, s10, s5
	s_waitcnt vmcnt(0)
	v_lshl_add_u64 v[8:9], v[6:7], 0, s[4:5]
	v_mov_b32_e32 v12, s0
	global_store_dwordx2 v[8:9], v[14:15], off
	v_mov_b32_e32 v13, s1
	buffer_wbl2 sc0 sc1
	s_waitcnt vmcnt(0)
	global_atomic_cmpswap_x2 v[6:7], v10, v[12:15], s[2:3] offset:24 sc0 sc1
	s_mov_b64 s[4:5], 0
	s_waitcnt vmcnt(0)
	v_cmp_ne_u64_e32 vcc, v[6:7], v[14:15]
	s_and_b64 exec, exec, vcc
	s_cbranch_execz .LBB3_137
.LBB3_136:                              ; =>This Inner Loop Header: Depth=1
	s_sleep 1
	global_store_dwordx2 v[8:9], v[6:7], off
	v_mov_b32_e32 v4, s0
	v_mov_b32_e32 v5, s1
	buffer_wbl2 sc0 sc1
	s_waitcnt vmcnt(0)
	global_atomic_cmpswap_x2 v[4:5], v10, v[4:7], s[2:3] offset:24 sc0 sc1
	s_waitcnt vmcnt(0)
	v_cmp_eq_u64_e32 vcc, v[4:5], v[6:7]
	s_or_b64 s[4:5], vcc, s[4:5]
	v_mov_b64_e32 v[6:7], v[4:5]
	s_andn2_b64 exec, exec, s[4:5]
	s_cbranch_execnz .LBB3_136
.LBB3_137:
	s_or_b64 exec, exec, s[6:7]
.LBB3_138:
	s_getpc_b64 s[4:5]
	s_add_u32 s4, s4, .str.3@rel32@lo+4
	s_addc_u32 s5, s5, .str.3@rel32@hi+12
	s_cmp_lg_u64 s[4:5], 0
	s_cselect_b64 s[0:1], -1, 0
	s_cmp_eq_u64 s[4:5], 0
	s_mov_b64 s[4:5], 0
	s_cbranch_scc1 .LBB3_142
; %bb.139:
	v_mov_b32_e32 v4, 0
	s_getpc_b64 s[4:5]
	s_add_u32 s4, s4, .str.3@rel32@lo+3
	s_addc_u32 s5, s5, .str.3@rel32@hi+11
.LBB3_140:                              ; =>This Inner Loop Header: Depth=1
	global_load_ubyte v5, v4, s[4:5] offset:1
	s_add_u32 s6, s4, 1
	s_addc_u32 s7, s5, 0
	s_mov_b64 s[4:5], s[6:7]
	s_waitcnt vmcnt(0)
	v_cmp_ne_u32_e32 vcc, 0, v5
	s_cbranch_vccnz .LBB3_140
; %bb.141:
	s_getpc_b64 s[4:5]
	s_add_u32 s4, s4, .str.3@rel32@lo+4
	s_addc_u32 s5, s5, .str.3@rel32@hi+12
	s_sub_u32 s4, s6, s4
	s_subb_u32 s5, s7, s5
	s_add_u32 s4, s4, 1
	s_addc_u32 s5, s5, 0
.LBB3_142:
	s_and_b64 vcc, exec, s[0:1]
	s_cbranch_vccz .LBB3_227
; %bb.143:
	s_waitcnt vmcnt(0)
	v_and_b32_e32 v26, 2, v2
	v_mov_b32_e32 v29, 0
	v_and_b32_e32 v4, -3, v2
	v_mov_b32_e32 v5, v3
	v_mov_b32_e32 v34, 2
	;; [unrolled: 1-line block ×3, first 2 shown]
	s_getpc_b64 s[6:7]
	s_add_u32 s6, s6, .str.3@rel32@lo+4
	s_addc_u32 s7, s7, .str.3@rel32@hi+12
	s_branch .LBB3_145
.LBB3_144:                              ;   in Loop: Header=BB3_145 Depth=1
	s_or_b64 exec, exec, s[14:15]
	s_sub_u32 s4, s4, s10
	s_subb_u32 s5, s5, s11
	s_add_u32 s6, s6, s10
	s_addc_u32 s7, s7, s11
	s_cmp_lg_u64 s[4:5], 0
	s_cbranch_scc0 .LBB3_228
.LBB3_145:                              ; =>This Loop Header: Depth=1
                                        ;     Child Loop BB3_148 Depth 2
                                        ;     Child Loop BB3_156 Depth 2
	;; [unrolled: 1-line block ×11, first 2 shown]
	v_cmp_lt_u64_e64 s[0:1], s[4:5], 56
	s_and_b64 s[0:1], s[0:1], exec
	s_cselect_b32 s11, s5, 0
	s_cselect_b32 s10, s4, 56
	v_cmp_gt_u64_e64 s[12:13], s[4:5], 7
	s_add_u32 s0, s6, 8
	s_addc_u32 s1, s7, 0
	s_and_b64 vcc, exec, s[12:13]
	s_cbranch_vccnz .LBB3_149
; %bb.146:                              ;   in Loop: Header=BB3_145 Depth=1
	s_cmp_eq_u64 s[4:5], 0
	s_cbranch_scc1 .LBB3_150
; %bb.147:                              ;   in Loop: Header=BB3_145 Depth=1
	s_lshl_b64 s[0:1], s[10:11], 3
	s_mov_b64 s[12:13], 0
	v_mov_b64_e32 v[6:7], 0
	s_mov_b64 s[14:15], s[6:7]
.LBB3_148:                              ;   Parent Loop BB3_145 Depth=1
                                        ; =>  This Inner Loop Header: Depth=2
	global_load_ubyte v8, v29, s[14:15]
	s_waitcnt vmcnt(0)
	v_and_b32_e32 v28, 0xffff, v8
	v_lshlrev_b64 v[8:9], s12, v[28:29]
	s_add_u32 s12, s12, 8
	s_addc_u32 s13, s13, 0
	s_add_u32 s14, s14, 1
	s_addc_u32 s15, s15, 0
	v_or_b32_e32 v6, v8, v6
	s_cmp_lg_u32 s0, s12
	v_or_b32_e32 v7, v9, v7
	s_cbranch_scc1 .LBB3_148
	s_branch .LBB3_151
.LBB3_149:                              ;   in Loop: Header=BB3_145 Depth=1
	s_mov_b32 s16, 0
	s_branch .LBB3_152
.LBB3_150:                              ;   in Loop: Header=BB3_145 Depth=1
	v_mov_b64_e32 v[6:7], 0
.LBB3_151:                              ;   in Loop: Header=BB3_145 Depth=1
	s_mov_b64 s[0:1], s[6:7]
	s_mov_b32 s16, 0
	s_cbranch_execnz .LBB3_153
.LBB3_152:                              ;   in Loop: Header=BB3_145 Depth=1
	global_load_dwordx2 v[6:7], v29, s[6:7]
	s_add_i32 s16, s10, -8
.LBB3_153:                              ;   in Loop: Header=BB3_145 Depth=1
	s_add_u32 s12, s0, 8
	s_addc_u32 s13, s1, 0
	s_cmp_gt_u32 s16, 7
	s_cbranch_scc1 .LBB3_157
; %bb.154:                              ;   in Loop: Header=BB3_145 Depth=1
	s_cmp_eq_u32 s16, 0
	s_cbranch_scc1 .LBB3_158
; %bb.155:                              ;   in Loop: Header=BB3_145 Depth=1
	s_mov_b64 s[12:13], 0
	v_mov_b64_e32 v[8:9], 0
	s_mov_b64 s[14:15], 0
.LBB3_156:                              ;   Parent Loop BB3_145 Depth=1
                                        ; =>  This Inner Loop Header: Depth=2
	s_add_u32 s18, s0, s14
	s_addc_u32 s19, s1, s15
	global_load_ubyte v10, v29, s[18:19]
	s_add_u32 s14, s14, 1
	s_addc_u32 s15, s15, 0
	s_waitcnt vmcnt(0)
	v_and_b32_e32 v28, 0xffff, v10
	v_lshlrev_b64 v[10:11], s12, v[28:29]
	s_add_u32 s12, s12, 8
	s_addc_u32 s13, s13, 0
	v_or_b32_e32 v8, v10, v8
	s_cmp_lg_u32 s16, s14
	v_or_b32_e32 v9, v11, v9
	s_cbranch_scc1 .LBB3_156
	s_branch .LBB3_159
.LBB3_157:                              ;   in Loop: Header=BB3_145 Depth=1
                                        ; implicit-def: $vgpr8_vgpr9
	s_mov_b32 s17, 0
	s_branch .LBB3_160
.LBB3_158:                              ;   in Loop: Header=BB3_145 Depth=1
	v_mov_b64_e32 v[8:9], 0
.LBB3_159:                              ;   in Loop: Header=BB3_145 Depth=1
	s_mov_b64 s[12:13], s[0:1]
	s_mov_b32 s17, 0
	s_cbranch_execnz .LBB3_161
.LBB3_160:                              ;   in Loop: Header=BB3_145 Depth=1
	global_load_dwordx2 v[8:9], v29, s[0:1]
	s_add_i32 s17, s16, -8
.LBB3_161:                              ;   in Loop: Header=BB3_145 Depth=1
	s_add_u32 s0, s12, 8
	s_addc_u32 s1, s13, 0
	s_cmp_gt_u32 s17, 7
	s_cbranch_scc1 .LBB3_165
; %bb.162:                              ;   in Loop: Header=BB3_145 Depth=1
	s_cmp_eq_u32 s17, 0
	s_cbranch_scc1 .LBB3_166
; %bb.163:                              ;   in Loop: Header=BB3_145 Depth=1
	s_mov_b64 s[0:1], 0
	v_mov_b64_e32 v[10:11], 0
	s_mov_b64 s[14:15], 0
.LBB3_164:                              ;   Parent Loop BB3_145 Depth=1
                                        ; =>  This Inner Loop Header: Depth=2
	s_add_u32 s18, s12, s14
	s_addc_u32 s19, s13, s15
	global_load_ubyte v12, v29, s[18:19]
	s_add_u32 s14, s14, 1
	s_addc_u32 s15, s15, 0
	s_waitcnt vmcnt(0)
	v_and_b32_e32 v28, 0xffff, v12
	v_lshlrev_b64 v[12:13], s0, v[28:29]
	s_add_u32 s0, s0, 8
	s_addc_u32 s1, s1, 0
	v_or_b32_e32 v10, v12, v10
	s_cmp_lg_u32 s17, s14
	v_or_b32_e32 v11, v13, v11
	s_cbranch_scc1 .LBB3_164
	s_branch .LBB3_167
.LBB3_165:                              ;   in Loop: Header=BB3_145 Depth=1
	s_mov_b32 s16, 0
	s_branch .LBB3_168
.LBB3_166:                              ;   in Loop: Header=BB3_145 Depth=1
	v_mov_b64_e32 v[10:11], 0
.LBB3_167:                              ;   in Loop: Header=BB3_145 Depth=1
	s_mov_b64 s[0:1], s[12:13]
	s_mov_b32 s16, 0
	s_cbranch_execnz .LBB3_169
.LBB3_168:                              ;   in Loop: Header=BB3_145 Depth=1
	global_load_dwordx2 v[10:11], v29, s[12:13]
	s_add_i32 s16, s17, -8
.LBB3_169:                              ;   in Loop: Header=BB3_145 Depth=1
	s_add_u32 s12, s0, 8
	s_addc_u32 s13, s1, 0
	s_cmp_gt_u32 s16, 7
	s_cbranch_scc1 .LBB3_173
; %bb.170:                              ;   in Loop: Header=BB3_145 Depth=1
	s_cmp_eq_u32 s16, 0
	s_cbranch_scc1 .LBB3_174
; %bb.171:                              ;   in Loop: Header=BB3_145 Depth=1
	s_mov_b64 s[12:13], 0
	v_mov_b64_e32 v[12:13], 0
	s_mov_b64 s[14:15], 0
.LBB3_172:                              ;   Parent Loop BB3_145 Depth=1
                                        ; =>  This Inner Loop Header: Depth=2
	s_add_u32 s18, s0, s14
	s_addc_u32 s19, s1, s15
	global_load_ubyte v14, v29, s[18:19]
	s_add_u32 s14, s14, 1
	s_addc_u32 s15, s15, 0
	s_waitcnt vmcnt(0)
	v_and_b32_e32 v28, 0xffff, v14
	v_lshlrev_b64 v[14:15], s12, v[28:29]
	s_add_u32 s12, s12, 8
	s_addc_u32 s13, s13, 0
	v_or_b32_e32 v12, v14, v12
	s_cmp_lg_u32 s16, s14
	v_or_b32_e32 v13, v15, v13
	s_cbranch_scc1 .LBB3_172
	s_branch .LBB3_175
.LBB3_173:                              ;   in Loop: Header=BB3_145 Depth=1
                                        ; implicit-def: $vgpr12_vgpr13
	s_mov_b32 s17, 0
	s_branch .LBB3_176
.LBB3_174:                              ;   in Loop: Header=BB3_145 Depth=1
	v_mov_b64_e32 v[12:13], 0
.LBB3_175:                              ;   in Loop: Header=BB3_145 Depth=1
	s_mov_b64 s[12:13], s[0:1]
	s_mov_b32 s17, 0
	s_cbranch_execnz .LBB3_177
.LBB3_176:                              ;   in Loop: Header=BB3_145 Depth=1
	global_load_dwordx2 v[12:13], v29, s[0:1]
	s_add_i32 s17, s16, -8
.LBB3_177:                              ;   in Loop: Header=BB3_145 Depth=1
	s_add_u32 s0, s12, 8
	s_addc_u32 s1, s13, 0
	s_cmp_gt_u32 s17, 7
	s_cbranch_scc1 .LBB3_181
; %bb.178:                              ;   in Loop: Header=BB3_145 Depth=1
	s_cmp_eq_u32 s17, 0
	s_cbranch_scc1 .LBB3_182
; %bb.179:                              ;   in Loop: Header=BB3_145 Depth=1
	s_mov_b64 s[0:1], 0
	v_mov_b64_e32 v[14:15], 0
	s_mov_b64 s[14:15], 0
.LBB3_180:                              ;   Parent Loop BB3_145 Depth=1
                                        ; =>  This Inner Loop Header: Depth=2
	s_add_u32 s18, s12, s14
	s_addc_u32 s19, s13, s15
	global_load_ubyte v16, v29, s[18:19]
	s_add_u32 s14, s14, 1
	s_addc_u32 s15, s15, 0
	s_waitcnt vmcnt(0)
	v_and_b32_e32 v28, 0xffff, v16
	v_lshlrev_b64 v[16:17], s0, v[28:29]
	s_add_u32 s0, s0, 8
	s_addc_u32 s1, s1, 0
	v_or_b32_e32 v14, v16, v14
	s_cmp_lg_u32 s17, s14
	v_or_b32_e32 v15, v17, v15
	s_cbranch_scc1 .LBB3_180
	s_branch .LBB3_183
.LBB3_181:                              ;   in Loop: Header=BB3_145 Depth=1
	s_mov_b32 s16, 0
	s_branch .LBB3_184
.LBB3_182:                              ;   in Loop: Header=BB3_145 Depth=1
	v_mov_b64_e32 v[14:15], 0
.LBB3_183:                              ;   in Loop: Header=BB3_145 Depth=1
	s_mov_b64 s[0:1], s[12:13]
	s_mov_b32 s16, 0
	s_cbranch_execnz .LBB3_185
.LBB3_184:                              ;   in Loop: Header=BB3_145 Depth=1
	global_load_dwordx2 v[14:15], v29, s[12:13]
	s_add_i32 s16, s17, -8
.LBB3_185:                              ;   in Loop: Header=BB3_145 Depth=1
	s_add_u32 s12, s0, 8
	s_addc_u32 s13, s1, 0
	s_cmp_gt_u32 s16, 7
	s_cbranch_scc1 .LBB3_189
; %bb.186:                              ;   in Loop: Header=BB3_145 Depth=1
	s_cmp_eq_u32 s16, 0
	s_cbranch_scc1 .LBB3_190
; %bb.187:                              ;   in Loop: Header=BB3_145 Depth=1
	s_mov_b64 s[12:13], 0
	v_mov_b64_e32 v[16:17], 0
	s_mov_b64 s[14:15], 0
.LBB3_188:                              ;   Parent Loop BB3_145 Depth=1
                                        ; =>  This Inner Loop Header: Depth=2
	s_add_u32 s18, s0, s14
	s_addc_u32 s19, s1, s15
	global_load_ubyte v18, v29, s[18:19]
	s_add_u32 s14, s14, 1
	s_addc_u32 s15, s15, 0
	s_waitcnt vmcnt(0)
	v_and_b32_e32 v28, 0xffff, v18
	v_lshlrev_b64 v[18:19], s12, v[28:29]
	s_add_u32 s12, s12, 8
	s_addc_u32 s13, s13, 0
	v_or_b32_e32 v16, v18, v16
	s_cmp_lg_u32 s16, s14
	v_or_b32_e32 v17, v19, v17
	s_cbranch_scc1 .LBB3_188
	s_branch .LBB3_191
.LBB3_189:                              ;   in Loop: Header=BB3_145 Depth=1
                                        ; implicit-def: $vgpr16_vgpr17
	s_mov_b32 s17, 0
	s_branch .LBB3_192
.LBB3_190:                              ;   in Loop: Header=BB3_145 Depth=1
	v_mov_b64_e32 v[16:17], 0
.LBB3_191:                              ;   in Loop: Header=BB3_145 Depth=1
	s_mov_b64 s[12:13], s[0:1]
	s_mov_b32 s17, 0
	s_cbranch_execnz .LBB3_193
.LBB3_192:                              ;   in Loop: Header=BB3_145 Depth=1
	global_load_dwordx2 v[16:17], v29, s[0:1]
	s_add_i32 s17, s16, -8
.LBB3_193:                              ;   in Loop: Header=BB3_145 Depth=1
	s_cmp_gt_u32 s17, 7
	s_cbranch_scc1 .LBB3_197
; %bb.194:                              ;   in Loop: Header=BB3_145 Depth=1
	s_cmp_eq_u32 s17, 0
	s_cbranch_scc1 .LBB3_198
; %bb.195:                              ;   in Loop: Header=BB3_145 Depth=1
	s_mov_b64 s[0:1], 0
	v_mov_b64_e32 v[18:19], 0
	s_mov_b64 s[14:15], s[12:13]
.LBB3_196:                              ;   Parent Loop BB3_145 Depth=1
                                        ; =>  This Inner Loop Header: Depth=2
	global_load_ubyte v20, v29, s[14:15]
	s_add_i32 s17, s17, -1
	s_waitcnt vmcnt(0)
	v_and_b32_e32 v28, 0xffff, v20
	v_lshlrev_b64 v[20:21], s0, v[28:29]
	s_add_u32 s0, s0, 8
	s_addc_u32 s1, s1, 0
	s_add_u32 s14, s14, 1
	s_addc_u32 s15, s15, 0
	v_or_b32_e32 v18, v20, v18
	s_cmp_lg_u32 s17, 0
	v_or_b32_e32 v19, v21, v19
	s_cbranch_scc1 .LBB3_196
	s_branch .LBB3_199
.LBB3_197:                              ;   in Loop: Header=BB3_145 Depth=1
	s_branch .LBB3_200
.LBB3_198:                              ;   in Loop: Header=BB3_145 Depth=1
	v_mov_b64_e32 v[18:19], 0
.LBB3_199:                              ;   in Loop: Header=BB3_145 Depth=1
	s_cbranch_execnz .LBB3_201
.LBB3_200:                              ;   in Loop: Header=BB3_145 Depth=1
	global_load_dwordx2 v[18:19], v29, s[12:13]
.LBB3_201:                              ;   in Loop: Header=BB3_145 Depth=1
	v_readfirstlane_b32 s0, v1
	v_mov_b64_e32 v[30:31], 0
	s_nop 0
	v_cmp_eq_u32_e64 s[0:1], s0, v1
	s_and_saveexec_b64 s[12:13], s[0:1]
	s_cbranch_execz .LBB3_207
; %bb.202:                              ;   in Loop: Header=BB3_145 Depth=1
	global_load_dwordx2 v[22:23], v29, s[2:3] offset:24 sc0 sc1
	s_waitcnt vmcnt(0)
	buffer_inv sc0 sc1
	global_load_dwordx2 v[20:21], v29, s[2:3] offset:40
	global_load_dwordx2 v[30:31], v29, s[2:3]
	s_waitcnt vmcnt(1)
	v_and_b32_e32 v20, v20, v22
	v_and_b32_e32 v21, v21, v23
	v_mul_lo_u32 v21, v21, 24
	v_mul_hi_u32 v25, v20, 24
	v_add_u32_e32 v21, v25, v21
	v_mul_lo_u32 v20, v20, 24
	s_waitcnt vmcnt(0)
	v_lshl_add_u64 v[20:21], v[30:31], 0, v[20:21]
	global_load_dwordx2 v[20:21], v[20:21], off sc0 sc1
	s_waitcnt vmcnt(0)
	global_atomic_cmpswap_x2 v[30:31], v29, v[20:23], s[2:3] offset:24 sc0 sc1
	s_waitcnt vmcnt(0)
	buffer_inv sc0 sc1
	v_cmp_ne_u64_e32 vcc, v[30:31], v[22:23]
	s_and_saveexec_b64 s[14:15], vcc
	s_cbranch_execz .LBB3_206
; %bb.203:                              ;   in Loop: Header=BB3_145 Depth=1
	s_mov_b64 s[16:17], 0
.LBB3_204:                              ;   Parent Loop BB3_145 Depth=1
                                        ; =>  This Inner Loop Header: Depth=2
	s_sleep 1
	global_load_dwordx2 v[20:21], v29, s[2:3] offset:40
	global_load_dwordx2 v[32:33], v29, s[2:3]
	v_mov_b64_e32 v[22:23], v[30:31]
	s_waitcnt vmcnt(1)
	v_and_b32_e32 v20, v20, v22
	v_and_b32_e32 v25, v21, v23
	s_waitcnt vmcnt(0)
	v_mad_u64_u32 v[20:21], s[18:19], v20, 24, v[32:33]
	v_mov_b32_e32 v28, v21
	v_mad_u64_u32 v[30:31], s[18:19], v25, 24, v[28:29]
	v_mov_b32_e32 v21, v30
	global_load_dwordx2 v[20:21], v[20:21], off sc0 sc1
	s_waitcnt vmcnt(0)
	global_atomic_cmpswap_x2 v[30:31], v29, v[20:23], s[2:3] offset:24 sc0 sc1
	s_waitcnt vmcnt(0)
	buffer_inv sc0 sc1
	v_cmp_eq_u64_e32 vcc, v[30:31], v[22:23]
	s_or_b64 s[16:17], vcc, s[16:17]
	s_andn2_b64 exec, exec, s[16:17]
	s_cbranch_execnz .LBB3_204
; %bb.205:                              ;   in Loop: Header=BB3_145 Depth=1
	s_or_b64 exec, exec, s[16:17]
.LBB3_206:                              ;   in Loop: Header=BB3_145 Depth=1
	s_or_b64 exec, exec, s[14:15]
.LBB3_207:                              ;   in Loop: Header=BB3_145 Depth=1
	s_or_b64 exec, exec, s[12:13]
	global_load_dwordx2 v[32:33], v29, s[2:3] offset:40
	global_load_dwordx4 v[20:23], v29, s[2:3]
	v_readfirstlane_b32 s13, v31
	v_readfirstlane_b32 s12, v30
	s_mov_b64 s[14:15], exec
	s_waitcnt vmcnt(1)
	v_readfirstlane_b32 s16, v32
	v_readfirstlane_b32 s17, v33
	s_and_b64 s[16:17], s[16:17], s[12:13]
	s_mul_i32 s18, s17, 24
	s_mul_hi_u32 s19, s16, 24
	s_add_i32 s19, s19, s18
	s_mul_i32 s18, s16, 24
	s_waitcnt vmcnt(0)
	v_lshl_add_u64 v[30:31], v[20:21], 0, s[18:19]
	s_and_saveexec_b64 s[18:19], s[0:1]
	s_cbranch_execz .LBB3_209
; %bb.208:                              ;   in Loop: Header=BB3_145 Depth=1
	v_mov_b64_e32 v[32:33], s[14:15]
	global_store_dwordx4 v[30:31], v[32:35], off offset:8
.LBB3_209:                              ;   in Loop: Header=BB3_145 Depth=1
	s_or_b64 exec, exec, s[18:19]
	s_lshl_b64 s[14:15], s[16:17], 12
	v_lshl_add_u64 v[22:23], v[22:23], 0, s[14:15]
	v_cmp_lt_u64_e64 vcc, s[4:5], 57
	s_lshl_b32 s14, s10, 2
	s_add_i32 s14, s14, 28
	v_cndmask_b32_e32 v25, 0, v26, vcc
	v_and_b32_e32 v4, 0xffffff1f, v4
	s_and_b32 s14, s14, 0x1e0
	v_or_b32_e32 v4, v4, v25
	v_or_b32_e32 v4, s14, v4
	v_readfirstlane_b32 s14, v22
	v_readfirstlane_b32 s15, v23
	s_nop 4
	global_store_dwordx4 v24, v[4:7], s[14:15]
	global_store_dwordx4 v24, v[8:11], s[14:15] offset:16
	global_store_dwordx4 v24, v[12:15], s[14:15] offset:32
	;; [unrolled: 1-line block ×3, first 2 shown]
	s_and_saveexec_b64 s[14:15], s[0:1]
	s_cbranch_execz .LBB3_217
; %bb.210:                              ;   in Loop: Header=BB3_145 Depth=1
	global_load_dwordx2 v[12:13], v29, s[2:3] offset:32 sc0 sc1
	global_load_dwordx2 v[4:5], v29, s[2:3] offset:40
	v_mov_b32_e32 v10, s12
	v_mov_b32_e32 v11, s13
	s_waitcnt vmcnt(0)
	v_readfirstlane_b32 s16, v4
	v_readfirstlane_b32 s17, v5
	s_and_b64 s[16:17], s[16:17], s[12:13]
	s_mul_i32 s17, s17, 24
	s_mul_hi_u32 s18, s16, 24
	s_mul_i32 s16, s16, 24
	s_add_i32 s17, s18, s17
	v_lshl_add_u64 v[8:9], v[20:21], 0, s[16:17]
	global_store_dwordx2 v[8:9], v[12:13], off
	buffer_wbl2 sc0 sc1
	s_waitcnt vmcnt(0)
	global_atomic_cmpswap_x2 v[6:7], v29, v[10:13], s[2:3] offset:32 sc0 sc1
	s_waitcnt vmcnt(0)
	v_cmp_ne_u64_e32 vcc, v[6:7], v[12:13]
	s_and_saveexec_b64 s[16:17], vcc
	s_cbranch_execz .LBB3_213
; %bb.211:                              ;   in Loop: Header=BB3_145 Depth=1
	s_mov_b64 s[18:19], 0
.LBB3_212:                              ;   Parent Loop BB3_145 Depth=1
                                        ; =>  This Inner Loop Header: Depth=2
	s_sleep 1
	global_store_dwordx2 v[8:9], v[6:7], off
	v_mov_b32_e32 v4, s12
	v_mov_b32_e32 v5, s13
	buffer_wbl2 sc0 sc1
	s_waitcnt vmcnt(0)
	global_atomic_cmpswap_x2 v[4:5], v29, v[4:7], s[2:3] offset:32 sc0 sc1
	s_waitcnt vmcnt(0)
	v_cmp_eq_u64_e32 vcc, v[4:5], v[6:7]
	s_or_b64 s[18:19], vcc, s[18:19]
	v_mov_b64_e32 v[6:7], v[4:5]
	s_andn2_b64 exec, exec, s[18:19]
	s_cbranch_execnz .LBB3_212
.LBB3_213:                              ;   in Loop: Header=BB3_145 Depth=1
	s_or_b64 exec, exec, s[16:17]
	global_load_dwordx2 v[4:5], v29, s[2:3] offset:16
	s_mov_b64 s[18:19], exec
	v_mbcnt_lo_u32_b32 v6, s18, 0
	v_mbcnt_hi_u32_b32 v6, s19, v6
	v_cmp_eq_u32_e32 vcc, 0, v6
	s_and_saveexec_b64 s[16:17], vcc
	s_cbranch_execz .LBB3_215
; %bb.214:                              ;   in Loop: Header=BB3_145 Depth=1
	s_bcnt1_i32_b64 s18, s[18:19]
	v_mov_b32_e32 v28, s18
	buffer_wbl2 sc0 sc1
	s_waitcnt vmcnt(0)
	global_atomic_add_x2 v[4:5], v[28:29], off offset:8 sc1
.LBB3_215:                              ;   in Loop: Header=BB3_145 Depth=1
	s_or_b64 exec, exec, s[16:17]
	s_waitcnt vmcnt(0)
	global_load_dwordx2 v[6:7], v[4:5], off offset:16
	s_waitcnt vmcnt(0)
	v_cmp_eq_u64_e32 vcc, 0, v[6:7]
	s_cbranch_vccnz .LBB3_217
; %bb.216:                              ;   in Loop: Header=BB3_145 Depth=1
	global_load_dword v28, v[4:5], off offset:24
	s_waitcnt vmcnt(0)
	v_readfirstlane_b32 s16, v28
	s_and_b32 m0, s16, 0xffffff
	buffer_wbl2 sc0 sc1
	global_store_dwordx2 v[6:7], v[28:29], off sc0 sc1
	s_sendmsg sendmsg(MSG_INTERRUPT)
.LBB3_217:                              ;   in Loop: Header=BB3_145 Depth=1
	s_or_b64 exec, exec, s[14:15]
	v_mov_b32_e32 v25, v29
	v_lshl_add_u64 v[4:5], v[22:23], 0, v[24:25]
	s_branch .LBB3_221
.LBB3_218:                              ;   in Loop: Header=BB3_221 Depth=2
	s_or_b64 exec, exec, s[14:15]
	v_readfirstlane_b32 s14, v6
	s_cmp_eq_u32 s14, 0
	s_cbranch_scc1 .LBB3_220
; %bb.219:                              ;   in Loop: Header=BB3_221 Depth=2
	s_sleep 1
	s_cbranch_execnz .LBB3_221
	s_branch .LBB3_223
.LBB3_220:                              ;   in Loop: Header=BB3_145 Depth=1
	s_branch .LBB3_223
.LBB3_221:                              ;   Parent Loop BB3_145 Depth=1
                                        ; =>  This Inner Loop Header: Depth=2
	v_mov_b32_e32 v6, 1
	s_and_saveexec_b64 s[14:15], s[0:1]
	s_cbranch_execz .LBB3_218
; %bb.222:                              ;   in Loop: Header=BB3_221 Depth=2
	global_load_dword v6, v[30:31], off offset:20 sc0 sc1
	s_waitcnt vmcnt(0)
	buffer_inv sc0 sc1
	v_and_b32_e32 v6, 1, v6
	s_branch .LBB3_218
.LBB3_223:                              ;   in Loop: Header=BB3_145 Depth=1
	global_load_dwordx2 v[4:5], v[4:5], off
	s_and_saveexec_b64 s[14:15], s[0:1]
	s_cbranch_execz .LBB3_144
; %bb.224:                              ;   in Loop: Header=BB3_145 Depth=1
	global_load_dwordx2 v[6:7], v29, s[2:3] offset:40
	global_load_dwordx2 v[14:15], v29, s[2:3] offset:24 sc0 sc1
	global_load_dwordx2 v[8:9], v29, s[2:3]
	s_waitcnt vmcnt(2)
	v_readfirstlane_b32 s16, v6
	v_readfirstlane_b32 s17, v7
	s_add_u32 s18, s16, 1
	s_addc_u32 s19, s17, 0
	s_add_u32 s0, s18, s12
	s_addc_u32 s1, s19, s13
	s_cmp_eq_u64 s[0:1], 0
	s_cselect_b32 s1, s19, s1
	s_cselect_b32 s0, s18, s0
	s_and_b64 s[12:13], s[0:1], s[16:17]
	s_mul_i32 s13, s13, 24
	s_mul_hi_u32 s16, s12, 24
	s_mul_i32 s12, s12, 24
	s_add_i32 s13, s16, s13
	s_waitcnt vmcnt(0)
	v_lshl_add_u64 v[10:11], v[8:9], 0, s[12:13]
	v_mov_b32_e32 v12, s0
	global_store_dwordx2 v[10:11], v[14:15], off
	v_mov_b32_e32 v13, s1
	buffer_wbl2 sc0 sc1
	s_waitcnt vmcnt(0)
	global_atomic_cmpswap_x2 v[8:9], v29, v[12:15], s[2:3] offset:24 sc0 sc1
	s_waitcnt vmcnt(0)
	v_cmp_ne_u64_e32 vcc, v[8:9], v[14:15]
	s_and_b64 exec, exec, vcc
	s_cbranch_execz .LBB3_144
; %bb.225:                              ;   in Loop: Header=BB3_145 Depth=1
	s_mov_b64 s[12:13], 0
.LBB3_226:                              ;   Parent Loop BB3_145 Depth=1
                                        ; =>  This Inner Loop Header: Depth=2
	s_sleep 1
	global_store_dwordx2 v[10:11], v[8:9], off
	v_mov_b32_e32 v6, s0
	v_mov_b32_e32 v7, s1
	buffer_wbl2 sc0 sc1
	s_waitcnt vmcnt(0)
	global_atomic_cmpswap_x2 v[6:7], v29, v[6:9], s[2:3] offset:24 sc0 sc1
	s_waitcnt vmcnt(0)
	v_cmp_eq_u64_e32 vcc, v[6:7], v[8:9]
	s_or_b64 s[12:13], vcc, s[12:13]
	v_mov_b64_e32 v[8:9], v[6:7]
	s_andn2_b64 exec, exec, s[12:13]
	s_cbranch_execnz .LBB3_226
	s_branch .LBB3_144
.LBB3_227:
                                        ; implicit-def: $vgpr4_vgpr5
	s_cbranch_execnz .LBB3_229
	s_branch .LBB3_255
.LBB3_228:
	s_branch .LBB3_255
.LBB3_229:
	v_readfirstlane_b32 s0, v1
	s_waitcnt vmcnt(0)
	v_mov_b64_e32 v[4:5], 0
	v_cmp_eq_u32_e64 s[0:1], s0, v1
	s_and_saveexec_b64 s[4:5], s[0:1]
	s_cbranch_execz .LBB3_235
; %bb.230:
	v_mov_b32_e32 v6, 0
	global_load_dwordx2 v[10:11], v6, s[2:3] offset:24 sc0 sc1
	s_waitcnt vmcnt(0)
	buffer_inv sc0 sc1
	global_load_dwordx2 v[4:5], v6, s[2:3] offset:40
	global_load_dwordx2 v[8:9], v6, s[2:3]
	s_waitcnt vmcnt(1)
	v_and_b32_e32 v4, v4, v10
	v_and_b32_e32 v5, v5, v11
	v_mul_lo_u32 v5, v5, 24
	v_mul_hi_u32 v7, v4, 24
	v_add_u32_e32 v5, v7, v5
	v_mul_lo_u32 v4, v4, 24
	s_waitcnt vmcnt(0)
	v_lshl_add_u64 v[4:5], v[8:9], 0, v[4:5]
	global_load_dwordx2 v[8:9], v[4:5], off sc0 sc1
	s_waitcnt vmcnt(0)
	global_atomic_cmpswap_x2 v[4:5], v6, v[8:11], s[2:3] offset:24 sc0 sc1
	s_waitcnt vmcnt(0)
	buffer_inv sc0 sc1
	v_cmp_ne_u64_e32 vcc, v[4:5], v[10:11]
	s_and_saveexec_b64 s[6:7], vcc
	s_cbranch_execz .LBB3_234
; %bb.231:
	s_mov_b64 s[10:11], 0
.LBB3_232:                              ; =>This Inner Loop Header: Depth=1
	s_sleep 1
	global_load_dwordx2 v[8:9], v6, s[2:3] offset:40
	global_load_dwordx2 v[12:13], v6, s[2:3]
	v_mov_b64_e32 v[10:11], v[4:5]
	s_waitcnt vmcnt(1)
	v_and_b32_e32 v4, v8, v10
	s_waitcnt vmcnt(0)
	v_mad_u64_u32 v[4:5], s[12:13], v4, 24, v[12:13]
	v_and_b32_e32 v7, v9, v11
	v_mov_b32_e32 v8, v5
	v_mad_u64_u32 v[8:9], s[12:13], v7, 24, v[8:9]
	v_mov_b32_e32 v5, v8
	global_load_dwordx2 v[8:9], v[4:5], off sc0 sc1
	s_waitcnt vmcnt(0)
	global_atomic_cmpswap_x2 v[4:5], v6, v[8:11], s[2:3] offset:24 sc0 sc1
	s_waitcnt vmcnt(0)
	buffer_inv sc0 sc1
	v_cmp_eq_u64_e32 vcc, v[4:5], v[10:11]
	s_or_b64 s[10:11], vcc, s[10:11]
	s_andn2_b64 exec, exec, s[10:11]
	s_cbranch_execnz .LBB3_232
; %bb.233:
	s_or_b64 exec, exec, s[10:11]
.LBB3_234:
	s_or_b64 exec, exec, s[6:7]
.LBB3_235:
	s_or_b64 exec, exec, s[4:5]
	v_mov_b32_e32 v25, 0
	global_load_dwordx2 v[10:11], v25, s[2:3] offset:40
	global_load_dwordx4 v[6:9], v25, s[2:3]
	v_readfirstlane_b32 s5, v5
	v_readfirstlane_b32 s4, v4
	s_mov_b64 s[6:7], exec
	s_waitcnt vmcnt(1)
	v_readfirstlane_b32 s10, v10
	v_readfirstlane_b32 s11, v11
	s_and_b64 s[10:11], s[10:11], s[4:5]
	s_mul_i32 s12, s11, 24
	s_mul_hi_u32 s13, s10, 24
	s_add_i32 s13, s13, s12
	s_mul_i32 s12, s10, 24
	s_waitcnt vmcnt(0)
	v_lshl_add_u64 v[10:11], v[6:7], 0, s[12:13]
	s_and_saveexec_b64 s[12:13], s[0:1]
	s_cbranch_execz .LBB3_237
; %bb.236:
	v_mov_b64_e32 v[12:13], s[6:7]
	v_mov_b32_e32 v14, 2
	v_mov_b32_e32 v15, 1
	global_store_dwordx4 v[10:11], v[12:15], off offset:8
.LBB3_237:
	s_or_b64 exec, exec, s[12:13]
	s_lshl_b64 s[6:7], s[10:11], 12
	v_lshl_add_u64 v[8:9], v[8:9], 0, s[6:7]
	s_movk_i32 s6, 0xff1f
	s_mov_b32 s12, 0
	v_and_or_b32 v2, v2, s6, 32
	v_mov_b32_e32 v4, v25
	v_mov_b32_e32 v5, v25
	v_readfirstlane_b32 s6, v8
	v_readfirstlane_b32 s7, v9
	s_mov_b32 s13, s12
	s_mov_b32 s14, s12
	;; [unrolled: 1-line block ×3, first 2 shown]
	s_nop 1
	global_store_dwordx4 v24, v[2:5], s[6:7]
	s_nop 1
	v_mov_b64_e32 v[2:3], s[12:13]
	v_mov_b64_e32 v[4:5], s[14:15]
	global_store_dwordx4 v24, v[2:5], s[6:7] offset:16
	global_store_dwordx4 v24, v[2:5], s[6:7] offset:32
	;; [unrolled: 1-line block ×3, first 2 shown]
	s_and_saveexec_b64 s[6:7], s[0:1]
	s_cbranch_execz .LBB3_245
; %bb.238:
	v_mov_b32_e32 v12, 0
	global_load_dwordx2 v[16:17], v12, s[2:3] offset:32 sc0 sc1
	global_load_dwordx2 v[2:3], v12, s[2:3] offset:40
	v_mov_b32_e32 v14, s4
	v_mov_b32_e32 v15, s5
	s_waitcnt vmcnt(0)
	v_readfirstlane_b32 s10, v2
	v_readfirstlane_b32 s11, v3
	s_and_b64 s[10:11], s[10:11], s[4:5]
	s_mul_i32 s11, s11, 24
	s_mul_hi_u32 s12, s10, 24
	s_mul_i32 s10, s10, 24
	s_add_i32 s11, s12, s11
	v_lshl_add_u64 v[6:7], v[6:7], 0, s[10:11]
	global_store_dwordx2 v[6:7], v[16:17], off
	buffer_wbl2 sc0 sc1
	s_waitcnt vmcnt(0)
	global_atomic_cmpswap_x2 v[4:5], v12, v[14:17], s[2:3] offset:32 sc0 sc1
	s_waitcnt vmcnt(0)
	v_cmp_ne_u64_e32 vcc, v[4:5], v[16:17]
	s_and_saveexec_b64 s[10:11], vcc
	s_cbranch_execz .LBB3_241
; %bb.239:
	s_mov_b64 s[12:13], 0
.LBB3_240:                              ; =>This Inner Loop Header: Depth=1
	s_sleep 1
	global_store_dwordx2 v[6:7], v[4:5], off
	v_mov_b32_e32 v2, s4
	v_mov_b32_e32 v3, s5
	buffer_wbl2 sc0 sc1
	s_waitcnt vmcnt(0)
	global_atomic_cmpswap_x2 v[2:3], v12, v[2:5], s[2:3] offset:32 sc0 sc1
	s_waitcnt vmcnt(0)
	v_cmp_eq_u64_e32 vcc, v[2:3], v[4:5]
	s_or_b64 s[12:13], vcc, s[12:13]
	v_mov_b64_e32 v[4:5], v[2:3]
	s_andn2_b64 exec, exec, s[12:13]
	s_cbranch_execnz .LBB3_240
.LBB3_241:
	s_or_b64 exec, exec, s[10:11]
	v_mov_b32_e32 v5, 0
	global_load_dwordx2 v[2:3], v5, s[2:3] offset:16
	s_mov_b64 s[10:11], exec
	v_mbcnt_lo_u32_b32 v4, s10, 0
	v_mbcnt_hi_u32_b32 v4, s11, v4
	v_cmp_eq_u32_e32 vcc, 0, v4
	s_and_saveexec_b64 s[12:13], vcc
	s_cbranch_execz .LBB3_243
; %bb.242:
	s_bcnt1_i32_b64 s10, s[10:11]
	v_mov_b32_e32 v4, s10
	buffer_wbl2 sc0 sc1
	s_waitcnt vmcnt(0)
	global_atomic_add_x2 v[2:3], v[4:5], off offset:8 sc1
.LBB3_243:
	s_or_b64 exec, exec, s[12:13]
	s_waitcnt vmcnt(0)
	global_load_dwordx2 v[4:5], v[2:3], off offset:16
	s_waitcnt vmcnt(0)
	v_cmp_eq_u64_e32 vcc, 0, v[4:5]
	s_cbranch_vccnz .LBB3_245
; %bb.244:
	global_load_dword v2, v[2:3], off offset:24
	v_mov_b32_e32 v3, 0
	s_waitcnt vmcnt(0)
	v_readfirstlane_b32 s10, v2
	s_and_b32 m0, s10, 0xffffff
	buffer_wbl2 sc0 sc1
	global_store_dwordx2 v[4:5], v[2:3], off sc0 sc1
	s_sendmsg sendmsg(MSG_INTERRUPT)
.LBB3_245:
	s_or_b64 exec, exec, s[6:7]
	v_lshl_add_u64 v[2:3], v[8:9], 0, v[24:25]
	s_branch .LBB3_249
.LBB3_246:                              ;   in Loop: Header=BB3_249 Depth=1
	s_or_b64 exec, exec, s[6:7]
	v_readfirstlane_b32 s6, v4
	s_cmp_eq_u32 s6, 0
	s_cbranch_scc1 .LBB3_248
; %bb.247:                              ;   in Loop: Header=BB3_249 Depth=1
	s_sleep 1
	s_cbranch_execnz .LBB3_249
	s_branch .LBB3_251
.LBB3_248:
	s_branch .LBB3_251
.LBB3_249:                              ; =>This Inner Loop Header: Depth=1
	v_mov_b32_e32 v4, 1
	s_and_saveexec_b64 s[6:7], s[0:1]
	s_cbranch_execz .LBB3_246
; %bb.250:                              ;   in Loop: Header=BB3_249 Depth=1
	global_load_dword v4, v[10:11], off offset:20 sc0 sc1
	s_waitcnt vmcnt(0)
	buffer_inv sc0 sc1
	v_and_b32_e32 v4, 1, v4
	s_branch .LBB3_246
.LBB3_251:
	global_load_dwordx2 v[4:5], v[2:3], off
	s_and_saveexec_b64 s[6:7], s[0:1]
	s_cbranch_execz .LBB3_254
; %bb.252:
	v_mov_b32_e32 v10, 0
	global_load_dwordx2 v[2:3], v10, s[2:3] offset:40
	global_load_dwordx2 v[14:15], v10, s[2:3] offset:24 sc0 sc1
	global_load_dwordx2 v[6:7], v10, s[2:3]
	s_waitcnt vmcnt(2)
	v_readfirstlane_b32 s10, v2
	v_readfirstlane_b32 s11, v3
	s_add_u32 s12, s10, 1
	s_addc_u32 s13, s11, 0
	s_add_u32 s0, s12, s4
	s_addc_u32 s1, s13, s5
	s_cmp_eq_u64 s[0:1], 0
	s_cselect_b32 s1, s13, s1
	s_cselect_b32 s0, s12, s0
	s_and_b64 s[4:5], s[0:1], s[10:11]
	s_mul_i32 s5, s5, 24
	s_mul_hi_u32 s10, s4, 24
	s_mul_i32 s4, s4, 24
	s_add_i32 s5, s10, s5
	s_waitcnt vmcnt(0)
	v_lshl_add_u64 v[2:3], v[6:7], 0, s[4:5]
	v_mov_b32_e32 v12, s0
	global_store_dwordx2 v[2:3], v[14:15], off
	v_mov_b32_e32 v13, s1
	buffer_wbl2 sc0 sc1
	s_waitcnt vmcnt(0)
	global_atomic_cmpswap_x2 v[8:9], v10, v[12:15], s[2:3] offset:24 sc0 sc1
	s_mov_b64 s[4:5], 0
	s_waitcnt vmcnt(0)
	v_cmp_ne_u64_e32 vcc, v[8:9], v[14:15]
	s_and_b64 exec, exec, vcc
	s_cbranch_execz .LBB3_254
.LBB3_253:                              ; =>This Inner Loop Header: Depth=1
	s_sleep 1
	global_store_dwordx2 v[2:3], v[8:9], off
	v_mov_b32_e32 v6, s0
	v_mov_b32_e32 v7, s1
	buffer_wbl2 sc0 sc1
	s_waitcnt vmcnt(0)
	global_atomic_cmpswap_x2 v[6:7], v10, v[6:9], s[2:3] offset:24 sc0 sc1
	s_waitcnt vmcnt(0)
	v_cmp_eq_u64_e32 vcc, v[6:7], v[8:9]
	s_or_b64 s[4:5], vcc, s[4:5]
	v_mov_b64_e32 v[8:9], v[6:7]
	s_andn2_b64 exec, exec, s[4:5]
	s_cbranch_execnz .LBB3_253
.LBB3_254:
	s_or_b64 exec, exec, s[6:7]
.LBB3_255:
	v_readfirstlane_b32 s0, v1
	s_waitcnt vmcnt(0)
	v_mov_b64_e32 v[2:3], 0
	v_cmp_eq_u32_e64 s[0:1], s0, v1
	s_and_saveexec_b64 s[4:5], s[0:1]
	s_cbranch_execz .LBB3_261
; %bb.256:
	v_mov_b32_e32 v1, 0
	global_load_dwordx2 v[8:9], v1, s[2:3] offset:24 sc0 sc1
	s_waitcnt vmcnt(0)
	buffer_inv sc0 sc1
	global_load_dwordx2 v[2:3], v1, s[2:3] offset:40
	global_load_dwordx2 v[6:7], v1, s[2:3]
	s_waitcnt vmcnt(1)
	v_and_b32_e32 v2, v2, v8
	v_and_b32_e32 v3, v3, v9
	v_mul_lo_u32 v3, v3, 24
	v_mul_hi_u32 v10, v2, 24
	v_add_u32_e32 v3, v10, v3
	v_mul_lo_u32 v2, v2, 24
	s_waitcnt vmcnt(0)
	v_lshl_add_u64 v[2:3], v[6:7], 0, v[2:3]
	global_load_dwordx2 v[6:7], v[2:3], off sc0 sc1
	s_waitcnt vmcnt(0)
	global_atomic_cmpswap_x2 v[2:3], v1, v[6:9], s[2:3] offset:24 sc0 sc1
	s_waitcnt vmcnt(0)
	buffer_inv sc0 sc1
	v_cmp_ne_u64_e32 vcc, v[2:3], v[8:9]
	s_and_saveexec_b64 s[6:7], vcc
	s_cbranch_execz .LBB3_260
; %bb.257:
	s_mov_b64 s[10:11], 0
.LBB3_258:                              ; =>This Inner Loop Header: Depth=1
	s_sleep 1
	global_load_dwordx2 v[6:7], v1, s[2:3] offset:40
	global_load_dwordx2 v[10:11], v1, s[2:3]
	v_mov_b64_e32 v[8:9], v[2:3]
	s_waitcnt vmcnt(1)
	v_and_b32_e32 v2, v6, v8
	s_waitcnt vmcnt(0)
	v_mad_u64_u32 v[2:3], s[12:13], v2, 24, v[10:11]
	v_and_b32_e32 v7, v7, v9
	v_mov_b32_e32 v6, v3
	v_mad_u64_u32 v[6:7], s[12:13], v7, 24, v[6:7]
	v_mov_b32_e32 v3, v6
	global_load_dwordx2 v[6:7], v[2:3], off sc0 sc1
	s_waitcnt vmcnt(0)
	global_atomic_cmpswap_x2 v[2:3], v1, v[6:9], s[2:3] offset:24 sc0 sc1
	s_waitcnt vmcnt(0)
	buffer_inv sc0 sc1
	v_cmp_eq_u64_e32 vcc, v[2:3], v[8:9]
	s_or_b64 s[10:11], vcc, s[10:11]
	s_andn2_b64 exec, exec, s[10:11]
	s_cbranch_execnz .LBB3_258
; %bb.259:
	s_or_b64 exec, exec, s[10:11]
.LBB3_260:
	s_or_b64 exec, exec, s[6:7]
.LBB3_261:
	s_or_b64 exec, exec, s[4:5]
	v_mov_b32_e32 v25, 0
	global_load_dwordx2 v[6:7], v25, s[2:3] offset:40
	global_load_dwordx4 v[8:11], v25, s[2:3]
	v_readfirstlane_b32 s5, v3
	v_readfirstlane_b32 s4, v2
	s_mov_b64 s[6:7], exec
	s_waitcnt vmcnt(1)
	v_readfirstlane_b32 s10, v6
	v_readfirstlane_b32 s11, v7
	s_and_b64 s[10:11], s[10:11], s[4:5]
	s_mul_i32 s12, s11, 24
	s_mul_hi_u32 s13, s10, 24
	s_add_i32 s13, s13, s12
	s_mul_i32 s12, s10, 24
	s_waitcnt vmcnt(0)
	v_lshl_add_u64 v[12:13], v[8:9], 0, s[12:13]
	s_and_saveexec_b64 s[12:13], s[0:1]
	s_cbranch_execz .LBB3_263
; %bb.262:
	v_mov_b64_e32 v[14:15], s[6:7]
	v_mov_b32_e32 v16, 2
	v_mov_b32_e32 v17, 1
	global_store_dwordx4 v[12:13], v[14:17], off offset:8
.LBB3_263:
	s_or_b64 exec, exec, s[12:13]
	s_mov_b32 s12, 0
	s_lshl_b64 s[6:7], s[10:11], 12
	s_mov_b32 s13, s12
	v_lshl_add_u64 v[10:11], v[10:11], 0, s[6:7]
	s_movk_i32 s6, 0xff1f
	v_mov_b32_e32 v6, v0
	s_mov_b32 s14, s12
	s_mov_b32 s15, s12
	v_mov_b64_e32 v[0:1], s[12:13]
	v_and_or_b32 v4, v4, s6, 32
	v_mov_b32_e32 v7, v25
	v_readfirstlane_b32 s6, v10
	v_readfirstlane_b32 s7, v11
	v_mov_b64_e32 v[2:3], s[14:15]
	s_nop 3
	global_store_dwordx4 v24, v[4:7], s[6:7]
	global_store_dwordx4 v24, v[0:3], s[6:7] offset:16
	global_store_dwordx4 v24, v[0:3], s[6:7] offset:32
	;; [unrolled: 1-line block ×3, first 2 shown]
	s_and_saveexec_b64 s[6:7], s[0:1]
	s_cbranch_execz .LBB3_271
; %bb.264:
	v_mov_b32_e32 v6, 0
	global_load_dwordx2 v[16:17], v6, s[2:3] offset:32 sc0 sc1
	global_load_dwordx2 v[0:1], v6, s[2:3] offset:40
	v_mov_b32_e32 v14, s4
	v_mov_b32_e32 v15, s5
	s_waitcnt vmcnt(0)
	v_readfirstlane_b32 s10, v0
	v_readfirstlane_b32 s11, v1
	s_and_b64 s[10:11], s[10:11], s[4:5]
	s_mul_i32 s11, s11, 24
	s_mul_hi_u32 s12, s10, 24
	s_mul_i32 s10, s10, 24
	s_add_i32 s11, s12, s11
	v_lshl_add_u64 v[4:5], v[8:9], 0, s[10:11]
	global_store_dwordx2 v[4:5], v[16:17], off
	buffer_wbl2 sc0 sc1
	s_waitcnt vmcnt(0)
	global_atomic_cmpswap_x2 v[2:3], v6, v[14:17], s[2:3] offset:32 sc0 sc1
	s_waitcnt vmcnt(0)
	v_cmp_ne_u64_e32 vcc, v[2:3], v[16:17]
	s_and_saveexec_b64 s[10:11], vcc
	s_cbranch_execz .LBB3_267
; %bb.265:
	s_mov_b64 s[12:13], 0
.LBB3_266:                              ; =>This Inner Loop Header: Depth=1
	s_sleep 1
	global_store_dwordx2 v[4:5], v[2:3], off
	v_mov_b32_e32 v0, s4
	v_mov_b32_e32 v1, s5
	buffer_wbl2 sc0 sc1
	s_waitcnt vmcnt(0)
	global_atomic_cmpswap_x2 v[0:1], v6, v[0:3], s[2:3] offset:32 sc0 sc1
	s_waitcnt vmcnt(0)
	v_cmp_eq_u64_e32 vcc, v[0:1], v[2:3]
	s_or_b64 s[12:13], vcc, s[12:13]
	v_mov_b64_e32 v[2:3], v[0:1]
	s_andn2_b64 exec, exec, s[12:13]
	s_cbranch_execnz .LBB3_266
.LBB3_267:
	s_or_b64 exec, exec, s[10:11]
	v_mov_b32_e32 v3, 0
	global_load_dwordx2 v[0:1], v3, s[2:3] offset:16
	s_mov_b64 s[10:11], exec
	v_mbcnt_lo_u32_b32 v2, s10, 0
	v_mbcnt_hi_u32_b32 v2, s11, v2
	v_cmp_eq_u32_e32 vcc, 0, v2
	s_and_saveexec_b64 s[12:13], vcc
	s_cbranch_execz .LBB3_269
; %bb.268:
	s_bcnt1_i32_b64 s10, s[10:11]
	v_mov_b32_e32 v2, s10
	buffer_wbl2 sc0 sc1
	s_waitcnt vmcnt(0)
	global_atomic_add_x2 v[0:1], v[2:3], off offset:8 sc1
.LBB3_269:
	s_or_b64 exec, exec, s[12:13]
	s_waitcnt vmcnt(0)
	global_load_dwordx2 v[2:3], v[0:1], off offset:16
	s_waitcnt vmcnt(0)
	v_cmp_eq_u64_e32 vcc, 0, v[2:3]
	s_cbranch_vccnz .LBB3_271
; %bb.270:
	global_load_dword v0, v[0:1], off offset:24
	v_mov_b32_e32 v1, 0
	s_waitcnt vmcnt(0)
	v_readfirstlane_b32 s10, v0
	s_and_b32 m0, s10, 0xffffff
	buffer_wbl2 sc0 sc1
	global_store_dwordx2 v[2:3], v[0:1], off sc0 sc1
	s_sendmsg sendmsg(MSG_INTERRUPT)
.LBB3_271:
	s_or_b64 exec, exec, s[6:7]
	v_lshl_add_u64 v[0:1], v[10:11], 0, v[24:25]
	s_branch .LBB3_275
.LBB3_272:                              ;   in Loop: Header=BB3_275 Depth=1
	s_or_b64 exec, exec, s[6:7]
	v_readfirstlane_b32 s6, v2
	s_cmp_eq_u32 s6, 0
	s_cbranch_scc1 .LBB3_274
; %bb.273:                              ;   in Loop: Header=BB3_275 Depth=1
	s_sleep 1
	s_cbranch_execnz .LBB3_275
	s_branch .LBB3_277
.LBB3_274:
	s_branch .LBB3_277
.LBB3_275:                              ; =>This Inner Loop Header: Depth=1
	v_mov_b32_e32 v2, 1
	s_and_saveexec_b64 s[6:7], s[0:1]
	s_cbranch_execz .LBB3_272
; %bb.276:                              ;   in Loop: Header=BB3_275 Depth=1
	global_load_dword v2, v[12:13], off offset:20 sc0 sc1
	s_waitcnt vmcnt(0)
	buffer_inv sc0 sc1
	v_and_b32_e32 v2, 1, v2
	s_branch .LBB3_272
.LBB3_277:
	global_load_dwordx2 v[0:1], v[0:1], off
	s_and_saveexec_b64 s[6:7], s[0:1]
	s_cbranch_execz .LBB3_280
; %bb.278:
	v_mov_b32_e32 v8, 0
	global_load_dwordx2 v[2:3], v8, s[2:3] offset:40
	global_load_dwordx2 v[12:13], v8, s[2:3] offset:24 sc0 sc1
	global_load_dwordx2 v[4:5], v8, s[2:3]
	s_waitcnt vmcnt(2)
	v_readfirstlane_b32 s10, v2
	v_readfirstlane_b32 s11, v3
	s_add_u32 s12, s10, 1
	s_addc_u32 s13, s11, 0
	s_add_u32 s0, s12, s4
	s_addc_u32 s1, s13, s5
	s_cmp_eq_u64 s[0:1], 0
	s_cselect_b32 s1, s13, s1
	s_cselect_b32 s0, s12, s0
	s_and_b64 s[4:5], s[0:1], s[10:11]
	s_mul_i32 s5, s5, 24
	s_mul_hi_u32 s10, s4, 24
	s_mul_i32 s4, s4, 24
	s_add_i32 s5, s10, s5
	s_waitcnt vmcnt(0)
	v_lshl_add_u64 v[6:7], v[4:5], 0, s[4:5]
	v_mov_b32_e32 v10, s0
	global_store_dwordx2 v[6:7], v[12:13], off
	v_mov_b32_e32 v11, s1
	buffer_wbl2 sc0 sc1
	s_waitcnt vmcnt(0)
	global_atomic_cmpswap_x2 v[4:5], v8, v[10:13], s[2:3] offset:24 sc0 sc1
	s_mov_b64 s[4:5], 0
	s_waitcnt vmcnt(0)
	v_cmp_ne_u64_e32 vcc, v[4:5], v[12:13]
	s_and_b64 exec, exec, vcc
	s_cbranch_execz .LBB3_280
.LBB3_279:                              ; =>This Inner Loop Header: Depth=1
	s_sleep 1
	global_store_dwordx2 v[6:7], v[4:5], off
	v_mov_b32_e32 v2, s0
	v_mov_b32_e32 v3, s1
	buffer_wbl2 sc0 sc1
	s_waitcnt vmcnt(0)
	global_atomic_cmpswap_x2 v[2:3], v8, v[2:5], s[2:3] offset:24 sc0 sc1
	s_waitcnt vmcnt(0)
	v_cmp_eq_u64_e32 vcc, v[2:3], v[4:5]
	s_or_b64 s[4:5], vcc, s[4:5]
	v_mov_b64_e32 v[4:5], v[2:3]
	s_andn2_b64 exec, exec, s[4:5]
	s_cbranch_execnz .LBB3_279
.LBB3_280:
	s_or_b64 exec, exec, s[6:7]
	s_getpc_b64 s[0:1]
	s_add_u32 s0, s0, __FUNCTION__._ZL18flash_attn_ext_f16ILi64ELi64ELi4ELi8ELb1ELb0EEvPKcS1_S1_S1_S1_PKiPfP15HIP_vector_typeIfLj2EEffffjfiS5_IjLj3EEiiiiiiiiiiiliiliiiiil@rel32@lo+4
	s_addc_u32 s1, s1, __FUNCTION__._ZL18flash_attn_ext_f16ILi64ELi64ELi4ELi8ELb1ELb0EEvPKcS1_S1_S1_S1_PKiPfP15HIP_vector_typeIfLj2EEffffjfiS5_IjLj3EEiiiiiiiiiiiliiliiiiil@rel32@hi+12
	s_cmp_lg_u64 s[0:1], 0
	s_cselect_b32 s4, 19, 0
	s_getpc_b64 s[2:3]
	s_add_u32 s2, s2, __ockl_printf_append_string_n@rel32@lo+4
	s_addc_u32 s3, s3, __ockl_printf_append_string_n@rel32@hi+12
	v_mov_b32_e32 v2, s0
	v_mov_b32_e32 v3, s1
	;; [unrolled: 1-line block ×4, first 2 shown]
	s_mov_b64 s[18:19], s[8:9]
	s_swappc_b64 s[30:31], s[2:3]
	s_getpc_b64 s[0:1]
	s_add_u32 s0, s0, __ockl_printf_append_args@rel32@lo+4
	s_addc_u32 s1, s1, __ockl_printf_append_args@rel32@hi+12
	s_mov_b64 s[8:9], s[18:19]
	v_mov_b32_e32 v2, 0x514
	v_mov_b32_e32 v3, 0
	;; [unrolled: 1-line block ×3, first 2 shown]
	s_swappc_b64 s[30:31], s[0:1]
	s_trap 2
.Lfunc_end3:
	.size	_ZL14no_device_codePKciS0_iS0_, .Lfunc_end3-_ZL14no_device_codePKciS0_iS0_
                                        ; -- End function
	.set .L_ZL14no_device_codePKciS0_iS0_.num_vgpr, max(41, .L__ockl_printf_append_string_n.num_vgpr, .L__ockl_printf_append_args.num_vgpr)
	.set .L_ZL14no_device_codePKciS0_iS0_.num_agpr, max(0, .L__ockl_printf_append_string_n.num_agpr, .L__ockl_printf_append_args.num_agpr)
	.set .L_ZL14no_device_codePKciS0_iS0_.numbered_sgpr, max(34, .L__ockl_printf_append_string_n.numbered_sgpr, .L__ockl_printf_append_args.numbered_sgpr)
	.set .L_ZL14no_device_codePKciS0_iS0_.num_named_barrier, max(0, .L__ockl_printf_append_string_n.num_named_barrier, .L__ockl_printf_append_args.num_named_barrier)
	.set .L_ZL14no_device_codePKciS0_iS0_.private_seg_size, 16+max(.L__ockl_printf_append_string_n.private_seg_size, .L__ockl_printf_append_args.private_seg_size)
	.set .L_ZL14no_device_codePKciS0_iS0_.uses_vcc, or(1, .L__ockl_printf_append_string_n.uses_vcc, .L__ockl_printf_append_args.uses_vcc)
	.set .L_ZL14no_device_codePKciS0_iS0_.uses_flat_scratch, or(0, .L__ockl_printf_append_string_n.uses_flat_scratch, .L__ockl_printf_append_args.uses_flat_scratch)
	.set .L_ZL14no_device_codePKciS0_iS0_.has_dyn_sized_stack, or(0, .L__ockl_printf_append_string_n.has_dyn_sized_stack, .L__ockl_printf_append_args.has_dyn_sized_stack)
	.set .L_ZL14no_device_codePKciS0_iS0_.has_recursion, or(0, .L__ockl_printf_append_string_n.has_recursion, .L__ockl_printf_append_args.has_recursion)
	.set .L_ZL14no_device_codePKciS0_iS0_.has_indirect_call, or(0, .L__ockl_printf_append_string_n.has_indirect_call, .L__ockl_printf_append_args.has_indirect_call)
	.section	.AMDGPU.csdata,"",@progbits
; Function info:
; codeLenInByte = 9528
; TotalNumSgprs: 40
; NumVgprs: 52
; NumAgprs: 0
; TotalNumVgprs: 52
; ScratchSize: 16
; MemoryBound: 0
	.section	.text._ZL18flash_attn_ext_f16ILi64ELi64ELi4ELi8ELb1ELb0EEvPKcS1_S1_S1_S1_PKiPfP15HIP_vector_typeIfLj2EEffffjfiS5_IjLj3EEiiiiiiiiiiiliiliiiiil,"axG",@progbits,_ZL18flash_attn_ext_f16ILi64ELi64ELi4ELi8ELb1ELb0EEvPKcS1_S1_S1_S1_PKiPfP15HIP_vector_typeIfLj2EEffffjfiS5_IjLj3EEiiiiiiiiiiiliiliiiiil,comdat
	.globl	_ZL18flash_attn_ext_f16ILi64ELi64ELi4ELi8ELb1ELb0EEvPKcS1_S1_S1_S1_PKiPfP15HIP_vector_typeIfLj2EEffffjfiS5_IjLj3EEiiiiiiiiiiiliiliiiiil ; -- Begin function _ZL18flash_attn_ext_f16ILi64ELi64ELi4ELi8ELb1ELb0EEvPKcS1_S1_S1_S1_PKiPfP15HIP_vector_typeIfLj2EEffffjfiS5_IjLj3EEiiiiiiiiiiiliiliiiiil
	.p2align	8
	.type	_ZL18flash_attn_ext_f16ILi64ELi64ELi4ELi8ELb1ELb0EEvPKcS1_S1_S1_S1_PKiPfP15HIP_vector_typeIfLj2EEffffjfiS5_IjLj3EEiiiiiiiiiiiliiliiiiil,@function
_ZL18flash_attn_ext_f16ILi64ELi64ELi4ELi8ELb1ELb0EEvPKcS1_S1_S1_S1_PKiPfP15HIP_vector_typeIfLj2EEffffjfiS5_IjLj3EEiiiiiiiiiiiliiliiiiil: ; @_ZL18flash_attn_ext_f16ILi64ELi64ELi4ELi8ELb1ELb0EEvPKcS1_S1_S1_S1_PKiPfP15HIP_vector_typeIfLj2EEffffjfiS5_IjLj3EEiiiiiiiiiiiliiliiiiil
; %bb.0:
	s_add_u32 s8, s0, 0xd0
	s_addc_u32 s9, s1, 0
	s_getpc_b64 s[0:1]
	s_add_u32 s0, s0, _ZL14no_device_codePKciS0_iS0_@rel32@lo+4
	s_addc_u32 s1, s1, _ZL14no_device_codePKciS0_iS0_@rel32@hi+12
	v_mov_b32_e32 v0, 0x6cc
	s_mov_b32 s32, 0
	s_swappc_b64 s[30:31], s[0:1]
	.section	.rodata,"a",@progbits
	.p2align	6, 0x0
	.amdhsa_kernel _ZL18flash_attn_ext_f16ILi64ELi64ELi4ELi8ELb1ELb0EEvPKcS1_S1_S1_S1_PKiPfP15HIP_vector_typeIfLj2EEffffjfiS5_IjLj3EEiiiiiiiiiiiliiliiiiil
		.amdhsa_group_segment_fixed_size 0
		.amdhsa_private_segment_fixed_size 16
		.amdhsa_kernarg_size 464
		.amdhsa_user_sgpr_count 2
		.amdhsa_user_sgpr_dispatch_ptr 0
		.amdhsa_user_sgpr_queue_ptr 0
		.amdhsa_user_sgpr_kernarg_segment_ptr 1
		.amdhsa_user_sgpr_dispatch_id 0
		.amdhsa_user_sgpr_kernarg_preload_length 0
		.amdhsa_user_sgpr_kernarg_preload_offset 0
		.amdhsa_user_sgpr_private_segment_size 0
		.amdhsa_uses_dynamic_stack 0
		.amdhsa_enable_private_segment 1
		.amdhsa_system_sgpr_workgroup_id_x 1
		.amdhsa_system_sgpr_workgroup_id_y 0
		.amdhsa_system_sgpr_workgroup_id_z 0
		.amdhsa_system_sgpr_workgroup_info 0
		.amdhsa_system_vgpr_workitem_id 0
		.amdhsa_next_free_vgpr 52
		.amdhsa_next_free_sgpr 34
		.amdhsa_accum_offset 52
		.amdhsa_reserve_vcc 1
		.amdhsa_float_round_mode_32 0
		.amdhsa_float_round_mode_16_64 0
		.amdhsa_float_denorm_mode_32 3
		.amdhsa_float_denorm_mode_16_64 3
		.amdhsa_dx10_clamp 1
		.amdhsa_ieee_mode 1
		.amdhsa_fp16_overflow 0
		.amdhsa_tg_split 0
		.amdhsa_exception_fp_ieee_invalid_op 0
		.amdhsa_exception_fp_denorm_src 0
		.amdhsa_exception_fp_ieee_div_zero 0
		.amdhsa_exception_fp_ieee_overflow 0
		.amdhsa_exception_fp_ieee_underflow 0
		.amdhsa_exception_fp_ieee_inexact 0
		.amdhsa_exception_int_div_zero 0
	.end_amdhsa_kernel
	.section	.text._ZL18flash_attn_ext_f16ILi64ELi64ELi4ELi8ELb1ELb0EEvPKcS1_S1_S1_S1_PKiPfP15HIP_vector_typeIfLj2EEffffjfiS5_IjLj3EEiiiiiiiiiiiliiliiiiil,"axG",@progbits,_ZL18flash_attn_ext_f16ILi64ELi64ELi4ELi8ELb1ELb0EEvPKcS1_S1_S1_S1_PKiPfP15HIP_vector_typeIfLj2EEffffjfiS5_IjLj3EEiiiiiiiiiiiliiliiiiil,comdat
.Lfunc_end4:
	.size	_ZL18flash_attn_ext_f16ILi64ELi64ELi4ELi8ELb1ELb0EEvPKcS1_S1_S1_S1_PKiPfP15HIP_vector_typeIfLj2EEffffjfiS5_IjLj3EEiiiiiiiiiiiliiliiiiil, .Lfunc_end4-_ZL18flash_attn_ext_f16ILi64ELi64ELi4ELi8ELb1ELb0EEvPKcS1_S1_S1_S1_PKiPfP15HIP_vector_typeIfLj2EEffffjfiS5_IjLj3EEiiiiiiiiiiiliiliiiiil
                                        ; -- End function
	.set _ZL18flash_attn_ext_f16ILi64ELi64ELi4ELi8ELb1ELb0EEvPKcS1_S1_S1_S1_PKiPfP15HIP_vector_typeIfLj2EEffffjfiS5_IjLj3EEiiiiiiiiiiiliiliiiiil.num_vgpr, max(1, .L_ZL14no_device_codePKciS0_iS0_.num_vgpr)
	.set _ZL18flash_attn_ext_f16ILi64ELi64ELi4ELi8ELb1ELb0EEvPKcS1_S1_S1_S1_PKiPfP15HIP_vector_typeIfLj2EEffffjfiS5_IjLj3EEiiiiiiiiiiiliiliiiiil.num_agpr, max(0, .L_ZL14no_device_codePKciS0_iS0_.num_agpr)
	.set _ZL18flash_attn_ext_f16ILi64ELi64ELi4ELi8ELb1ELb0EEvPKcS1_S1_S1_S1_PKiPfP15HIP_vector_typeIfLj2EEffffjfiS5_IjLj3EEiiiiiiiiiiiliiliiiiil.numbered_sgpr, max(33, .L_ZL14no_device_codePKciS0_iS0_.numbered_sgpr)
	.set _ZL18flash_attn_ext_f16ILi64ELi64ELi4ELi8ELb1ELb0EEvPKcS1_S1_S1_S1_PKiPfP15HIP_vector_typeIfLj2EEffffjfiS5_IjLj3EEiiiiiiiiiiiliiliiiiil.num_named_barrier, max(0, .L_ZL14no_device_codePKciS0_iS0_.num_named_barrier)
	.set _ZL18flash_attn_ext_f16ILi64ELi64ELi4ELi8ELb1ELb0EEvPKcS1_S1_S1_S1_PKiPfP15HIP_vector_typeIfLj2EEffffjfiS5_IjLj3EEiiiiiiiiiiiliiliiiiil.private_seg_size, 0+max(.L_ZL14no_device_codePKciS0_iS0_.private_seg_size)
	.set _ZL18flash_attn_ext_f16ILi64ELi64ELi4ELi8ELb1ELb0EEvPKcS1_S1_S1_S1_PKiPfP15HIP_vector_typeIfLj2EEffffjfiS5_IjLj3EEiiiiiiiiiiiliiliiiiil.uses_vcc, or(1, .L_ZL14no_device_codePKciS0_iS0_.uses_vcc)
	.set _ZL18flash_attn_ext_f16ILi64ELi64ELi4ELi8ELb1ELb0EEvPKcS1_S1_S1_S1_PKiPfP15HIP_vector_typeIfLj2EEffffjfiS5_IjLj3EEiiiiiiiiiiiliiliiiiil.uses_flat_scratch, or(0, .L_ZL14no_device_codePKciS0_iS0_.uses_flat_scratch)
	.set _ZL18flash_attn_ext_f16ILi64ELi64ELi4ELi8ELb1ELb0EEvPKcS1_S1_S1_S1_PKiPfP15HIP_vector_typeIfLj2EEffffjfiS5_IjLj3EEiiiiiiiiiiiliiliiiiil.has_dyn_sized_stack, or(0, .L_ZL14no_device_codePKciS0_iS0_.has_dyn_sized_stack)
	.set _ZL18flash_attn_ext_f16ILi64ELi64ELi4ELi8ELb1ELb0EEvPKcS1_S1_S1_S1_PKiPfP15HIP_vector_typeIfLj2EEffffjfiS5_IjLj3EEiiiiiiiiiiiliiliiiiil.has_recursion, or(0, .L_ZL14no_device_codePKciS0_iS0_.has_recursion)
	.set _ZL18flash_attn_ext_f16ILi64ELi64ELi4ELi8ELb1ELb0EEvPKcS1_S1_S1_S1_PKiPfP15HIP_vector_typeIfLj2EEffffjfiS5_IjLj3EEiiiiiiiiiiiliiliiiiil.has_indirect_call, or(0, .L_ZL14no_device_codePKciS0_iS0_.has_indirect_call)
	.section	.AMDGPU.csdata,"",@progbits
; Kernel info:
; codeLenInByte = 48
; TotalNumSgprs: 40
; NumVgprs: 52
; NumAgprs: 0
; TotalNumVgprs: 52
; ScratchSize: 16
; MemoryBound: 0
; FloatMode: 240
; IeeeMode: 1
; LDSByteSize: 0 bytes/workgroup (compile time only)
; SGPRBlocks: 4
; VGPRBlocks: 6
; NumSGPRsForWavesPerEU: 40
; NumVGPRsForWavesPerEU: 52
; AccumOffset: 52
; Occupancy: 8
; WaveLimiterHint : 1
; COMPUTE_PGM_RSRC2:SCRATCH_EN: 1
; COMPUTE_PGM_RSRC2:USER_SGPR: 2
; COMPUTE_PGM_RSRC2:TRAP_HANDLER: 0
; COMPUTE_PGM_RSRC2:TGID_X_EN: 1
; COMPUTE_PGM_RSRC2:TGID_Y_EN: 0
; COMPUTE_PGM_RSRC2:TGID_Z_EN: 0
; COMPUTE_PGM_RSRC2:TIDIG_COMP_CNT: 0
; COMPUTE_PGM_RSRC3_GFX90A:ACCUM_OFFSET: 12
; COMPUTE_PGM_RSRC3_GFX90A:TG_SPLIT: 0
	.section	.text._ZL25flash_attn_mask_to_KV_maxILi4EEvPK7__half2Piiii,"axG",@progbits,_ZL25flash_attn_mask_to_KV_maxILi4EEvPK7__half2Piiii,comdat
	.globl	_ZL25flash_attn_mask_to_KV_maxILi4EEvPK7__half2Piiii ; -- Begin function _ZL25flash_attn_mask_to_KV_maxILi4EEvPK7__half2Piiii
	.p2align	8
	.type	_ZL25flash_attn_mask_to_KV_maxILi4EEvPK7__half2Piiii,@function
_ZL25flash_attn_mask_to_KV_maxILi4EEvPK7__half2Piiii: ; @_ZL25flash_attn_mask_to_KV_maxILi4EEvPK7__half2Piiii
; %bb.0:
	s_load_dwordx4 s[4:7], s[0:1], 0x0
	v_cmp_gt_u32_e32 vcc, 32, v0
	s_and_saveexec_b64 s[8:9], vcc
; %bb.1:
	v_lshlrev_b32_e32 v1, 2, v0
	v_mov_b32_e32 v2, 1
	ds_write_b32 v1, v2
; %bb.2:
	s_or_b64 exec, exec, s[8:9]
	s_load_dwordx4 s[8:11], s[0:1], 0x10
	s_load_dword s24, s[0:1], 0x20
	v_and_b32_e32 v2, 31, v0
	v_lshlrev_b32_e32 v6, 2, v2
	v_lshrrev_b32_e32 v1, 3, v0
	s_waitcnt lgkmcnt(0)
	s_mul_i32 s1, s2, s9
	s_mul_i32 s0, s10, s3
	s_lshl_b32 s1, s1, 2
	s_add_i32 s0, s0, s1
	s_ashr_i32 s1, s0, 31
	s_lshl_b64 s[0:1], s[0:1], 2
	s_add_u32 s10, s4, s0
	s_addc_u32 s11, s5, s1
	v_cmp_eq_u32_e64 s[0:1], 0, v2
	v_mbcnt_lo_u32_b32 v2, -1, 0
	v_mbcnt_hi_u32_b32 v7, -1, v2
	v_and_b32_e32 v2, 0x60, v7
	s_lshl_b32 s8, s8, 8
	s_mov_b64 s[12:13], 0
	v_mov_b32_e32 v3, 0
	s_movk_i32 s25, 0x204
	v_add_u32_e32 v8, 32, v2
	v_xor_b32_e32 v9, 16, v7
	v_xor_b32_e32 v10, 8, v7
	;; [unrolled: 1-line block ×5, first 2 shown]
	s_barrier
                                        ; implicit-def: $sgpr4_sgpr5
	s_branch .LBB5_5
.LBB5_3:                                ;   in Loop: Header=BB5_5 Depth=1
	s_or_b64 exec, exec, s[14:15]
	s_waitcnt lgkmcnt(0)
	s_barrier
	ds_read_b32 v16, v6
	s_waitcnt lgkmcnt(0)
	s_barrier
	ds_bpermute_b32 v2, v2, v16
	v_cmp_ne_u32_e32 vcc, 0, v16
	s_waitcnt lgkmcnt(0)
	v_cmp_ne_u32_e64 s[4:5], 0, v2
	s_and_b64 s[4:5], vcc, s[4:5]
	s_nop 0
	v_cndmask_b32_e64 v2, 0, 1, s[4:5]
	ds_bpermute_b32 v2, v4, v2
	s_waitcnt lgkmcnt(0)
	v_cmp_ne_u32_e32 vcc, 0, v2
	s_and_b64 s[4:5], vcc, s[4:5]
	v_cndmask_b32_e64 v2, 0, 1, s[4:5]
	ds_bpermute_b32 v2, v5, v2
	s_waitcnt lgkmcnt(0)
	v_cmp_ne_u32_e32 vcc, 0, v2
	s_and_b64 s[4:5], vcc, s[4:5]
	;; [unrolled: 5-line block ×3, first 2 shown]
	v_cndmask_b32_e64 v2, 0, 1, s[4:5]
	ds_bpermute_b32 v2, v15, v2
	s_xor_b64 s[4:5], s[4:5], -1
	s_waitcnt lgkmcnt(0)
	v_cmp_eq_u32_e32 vcc, 0, v2
	s_or_b64 s[4:5], vcc, s[4:5]
.LBB5_4:                                ;   in Loop: Header=BB5_5 Depth=1
	s_and_b64 s[14:15], exec, s[4:5]
	s_or_b64 s[12:13], s[14:15], s[12:13]
	v_mov_b32_e32 v2, s8
	s_mov_b32 s8, s26
	s_andn2_b64 exec, exec, s[12:13]
	s_cbranch_execz .LBB5_20
.LBB5_5:                                ; =>This Inner Loop Header: Depth=1
	s_add_i32 s26, s8, 0xffffff00
	s_or_b64 s[4:5], s[4:5], exec
	s_cmp_lt_i32 s26, 0
	s_cbranch_scc1 .LBB5_4
; %bb.6:                                ;   in Loop: Header=BB5_5 Depth=1
	s_lshr_b32 s4, s26, 1
	v_add_u32_e32 v2, s4, v0
	v_lshl_add_u64 v[4:5], v[2:3], 2, s[10:11]
	global_load_dword v4, v[4:5], off
	v_mov_b32_e32 v5, 0
	s_waitcnt vmcnt(0)
	v_cmp_class_f16_e64 s[4:5], v4, s25
	v_cmp_class_f16_sdwa s[14:15], v4, s25 src0_sel:WORD_1 src1_sel:DWORD
	s_and_b64 s[14:15], s[4:5], s[14:15]
	s_and_saveexec_b64 s[4:5], s[14:15]
	s_cbranch_execz .LBB5_18
; %bb.7:                                ;   in Loop: Header=BB5_5 Depth=1
	v_add_u32_e32 v4, s9, v2
	v_ashrrev_i32_e32 v5, 31, v4
	v_lshl_add_u64 v[14:15], v[4:5], 2, s[10:11]
	global_load_dword v2, v[14:15], off
	v_mov_b32_e32 v5, 0
	s_waitcnt vmcnt(0)
	v_cmp_class_f16_e64 s[16:17], v2, s25
	s_and_saveexec_b64 s[14:15], s[16:17]
	s_cbranch_execz .LBB5_17
; %bb.8:                                ;   in Loop: Header=BB5_5 Depth=1
	v_cmp_class_f16_sdwa s[18:19], v2, s25 src0_sel:WORD_1 src1_sel:DWORD
	v_mov_b32_e32 v5, 0
	s_and_saveexec_b64 s[16:17], s[18:19]
	s_cbranch_execz .LBB5_16
; %bb.9:                                ;   in Loop: Header=BB5_5 Depth=1
	v_add_u32_e32 v4, s9, v4
	v_ashrrev_i32_e32 v5, 31, v4
	v_lshl_add_u64 v[14:15], v[4:5], 2, s[10:11]
	global_load_dword v2, v[14:15], off
	v_mov_b32_e32 v5, 0
	s_waitcnt vmcnt(0)
	v_cmp_class_f16_e64 s[20:21], v2, s25
	s_and_saveexec_b64 s[18:19], s[20:21]
	s_cbranch_execz .LBB5_15
; %bb.10:                               ;   in Loop: Header=BB5_5 Depth=1
	v_cmp_class_f16_sdwa s[22:23], v2, s25 src0_sel:WORD_1 src1_sel:DWORD
	v_mov_b32_e32 v5, 0
	s_and_saveexec_b64 s[20:21], s[22:23]
	s_cbranch_execz .LBB5_14
; %bb.11:                               ;   in Loop: Header=BB5_5 Depth=1
	v_add_u32_e32 v4, s9, v4
	v_ashrrev_i32_e32 v5, 31, v4
	v_lshl_add_u64 v[4:5], v[4:5], 2, s[10:11]
	global_load_dword v2, v[4:5], off
	v_mov_b32_e32 v5, 0
	s_waitcnt vmcnt(0)
	v_cmp_class_f16_e64 s[28:29], v2, s25
	s_and_saveexec_b64 s[22:23], s[28:29]
; %bb.12:                               ;   in Loop: Header=BB5_5 Depth=1
	v_cmp_class_f16_sdwa s[28:29], v2, s25 src0_sel:WORD_1 src1_sel:DWORD
	s_nop 1
	v_cndmask_b32_e64 v5, 0, 1, s[28:29]
; %bb.13:                               ;   in Loop: Header=BB5_5 Depth=1
	s_or_b64 exec, exec, s[22:23]
.LBB5_14:                               ;   in Loop: Header=BB5_5 Depth=1
	s_or_b64 exec, exec, s[20:21]
.LBB5_15:                               ;   in Loop: Header=BB5_5 Depth=1
	s_or_b64 exec, exec, s[18:19]
.LBB5_16:                               ;   in Loop: Header=BB5_5 Depth=1
	s_or_b64 exec, exec, s[16:17]
.LBB5_17:                               ;   in Loop: Header=BB5_5 Depth=1
	s_or_b64 exec, exec, s[14:15]
.LBB5_18:                               ;   in Loop: Header=BB5_5 Depth=1
	s_or_b64 exec, exec, s[4:5]
	v_cmp_lt_i32_e32 vcc, v9, v8
	s_nop 1
	v_cndmask_b32_e32 v2, v7, v9, vcc
	v_lshlrev_b32_e32 v2, 2, v2
	ds_bpermute_b32 v4, v2, v5
	v_cmp_ne_u32_e32 vcc, 0, v5
	s_waitcnt lgkmcnt(0)
	v_cmp_ne_u32_e64 s[4:5], 0, v4
	s_and_b64 s[4:5], vcc, s[4:5]
	v_cmp_lt_i32_e32 vcc, v10, v8
	v_cndmask_b32_e64 v5, 0, 1, s[4:5]
	s_nop 0
	v_cndmask_b32_e32 v4, v7, v10, vcc
	v_lshlrev_b32_e32 v4, 2, v4
	ds_bpermute_b32 v5, v4, v5
	s_waitcnt lgkmcnt(0)
	v_cmp_ne_u32_e32 vcc, 0, v5
	s_and_b64 s[4:5], vcc, s[4:5]
	v_cmp_lt_i32_e32 vcc, v11, v8
	v_cndmask_b32_e64 v14, 0, 1, s[4:5]
	s_nop 0
	v_cndmask_b32_e32 v5, v7, v11, vcc
	v_lshlrev_b32_e32 v5, 2, v5
	ds_bpermute_b32 v14, v5, v14
	s_waitcnt lgkmcnt(0)
	v_cmp_ne_u32_e32 vcc, 0, v14
	;; [unrolled: 9-line block ×3, first 2 shown]
	s_and_b64 s[4:5], vcc, s[4:5]
	v_cmp_lt_i32_e32 vcc, v13, v8
	v_cndmask_b32_e64 v16, 0, 1, s[4:5]
	s_nop 0
	v_cndmask_b32_e32 v15, v7, v13, vcc
	v_lshlrev_b32_e32 v15, 2, v15
	ds_bpermute_b32 v16, v15, v16
	s_and_saveexec_b64 s[14:15], s[0:1]
	s_cbranch_execz .LBB5_3
; %bb.19:                               ;   in Loop: Header=BB5_5 Depth=1
	s_waitcnt lgkmcnt(0)
	v_cmp_ne_u32_e32 vcc, 0, v16
	s_and_b64 s[4:5], vcc, s[4:5]
	v_cndmask_b32_e64 v16, 0, 1, s[4:5]
	ds_write_b32 v1, v16
	s_branch .LBB5_3
.LBB5_20:
	s_or_b64 exec, exec, s[12:13]
	v_cmp_eq_u32_e32 vcc, 0, v0
	s_and_saveexec_b64 s[0:1], vcc
	s_cbranch_execz .LBB5_22
; %bb.21:
	s_mul_i32 s0, s24, s3
	s_add_i32 s0, s0, s2
	s_ashr_i32 s1, s0, 31
	s_lshl_b64 s[0:1], s[0:1], 2
	s_add_u32 s0, s6, s0
	s_addc_u32 s1, s7, s1
	v_mov_b32_e32 v0, 0
	global_store_dword v0, v2, s[0:1]
.LBB5_22:
	s_endpgm
	.section	.rodata,"a",@progbits
	.p2align	6, 0x0
	.amdhsa_kernel _ZL25flash_attn_mask_to_KV_maxILi4EEvPK7__half2Piiii
		.amdhsa_group_segment_fixed_size 128
		.amdhsa_private_segment_fixed_size 0
		.amdhsa_kernarg_size 288
		.amdhsa_user_sgpr_count 2
		.amdhsa_user_sgpr_dispatch_ptr 0
		.amdhsa_user_sgpr_queue_ptr 0
		.amdhsa_user_sgpr_kernarg_segment_ptr 1
		.amdhsa_user_sgpr_dispatch_id 0
		.amdhsa_user_sgpr_kernarg_preload_length 0
		.amdhsa_user_sgpr_kernarg_preload_offset 0
		.amdhsa_user_sgpr_private_segment_size 0
		.amdhsa_uses_dynamic_stack 0
		.amdhsa_enable_private_segment 0
		.amdhsa_system_sgpr_workgroup_id_x 1
		.amdhsa_system_sgpr_workgroup_id_y 1
		.amdhsa_system_sgpr_workgroup_id_z 0
		.amdhsa_system_sgpr_workgroup_info 0
		.amdhsa_system_vgpr_workitem_id 0
		.amdhsa_next_free_vgpr 17
		.amdhsa_next_free_sgpr 30
		.amdhsa_accum_offset 20
		.amdhsa_reserve_vcc 1
		.amdhsa_float_round_mode_32 0
		.amdhsa_float_round_mode_16_64 0
		.amdhsa_float_denorm_mode_32 3
		.amdhsa_float_denorm_mode_16_64 3
		.amdhsa_dx10_clamp 1
		.amdhsa_ieee_mode 1
		.amdhsa_fp16_overflow 0
		.amdhsa_tg_split 0
		.amdhsa_exception_fp_ieee_invalid_op 0
		.amdhsa_exception_fp_denorm_src 0
		.amdhsa_exception_fp_ieee_div_zero 0
		.amdhsa_exception_fp_ieee_overflow 0
		.amdhsa_exception_fp_ieee_underflow 0
		.amdhsa_exception_fp_ieee_inexact 0
		.amdhsa_exception_int_div_zero 0
	.end_amdhsa_kernel
	.section	.text._ZL25flash_attn_mask_to_KV_maxILi4EEvPK7__half2Piiii,"axG",@progbits,_ZL25flash_attn_mask_to_KV_maxILi4EEvPK7__half2Piiii,comdat
.Lfunc_end5:
	.size	_ZL25flash_attn_mask_to_KV_maxILi4EEvPK7__half2Piiii, .Lfunc_end5-_ZL25flash_attn_mask_to_KV_maxILi4EEvPK7__half2Piiii
                                        ; -- End function
	.set _ZL25flash_attn_mask_to_KV_maxILi4EEvPK7__half2Piiii.num_vgpr, 17
	.set _ZL25flash_attn_mask_to_KV_maxILi4EEvPK7__half2Piiii.num_agpr, 0
	.set _ZL25flash_attn_mask_to_KV_maxILi4EEvPK7__half2Piiii.numbered_sgpr, 30
	.set _ZL25flash_attn_mask_to_KV_maxILi4EEvPK7__half2Piiii.num_named_barrier, 0
	.set _ZL25flash_attn_mask_to_KV_maxILi4EEvPK7__half2Piiii.private_seg_size, 0
	.set _ZL25flash_attn_mask_to_KV_maxILi4EEvPK7__half2Piiii.uses_vcc, 1
	.set _ZL25flash_attn_mask_to_KV_maxILi4EEvPK7__half2Piiii.uses_flat_scratch, 0
	.set _ZL25flash_attn_mask_to_KV_maxILi4EEvPK7__half2Piiii.has_dyn_sized_stack, 0
	.set _ZL25flash_attn_mask_to_KV_maxILi4EEvPK7__half2Piiii.has_recursion, 0
	.set _ZL25flash_attn_mask_to_KV_maxILi4EEvPK7__half2Piiii.has_indirect_call, 0
	.section	.AMDGPU.csdata,"",@progbits
; Kernel info:
; codeLenInByte = 988
; TotalNumSgprs: 36
; NumVgprs: 17
; NumAgprs: 0
; TotalNumVgprs: 17
; ScratchSize: 0
; MemoryBound: 0
; FloatMode: 240
; IeeeMode: 1
; LDSByteSize: 128 bytes/workgroup (compile time only)
; SGPRBlocks: 4
; VGPRBlocks: 2
; NumSGPRsForWavesPerEU: 36
; NumVGPRsForWavesPerEU: 17
; AccumOffset: 20
; Occupancy: 8
; WaveLimiterHint : 0
; COMPUTE_PGM_RSRC2:SCRATCH_EN: 0
; COMPUTE_PGM_RSRC2:USER_SGPR: 2
; COMPUTE_PGM_RSRC2:TRAP_HANDLER: 0
; COMPUTE_PGM_RSRC2:TGID_X_EN: 1
; COMPUTE_PGM_RSRC2:TGID_Y_EN: 1
; COMPUTE_PGM_RSRC2:TGID_Z_EN: 0
; COMPUTE_PGM_RSRC2:TIDIG_COMP_CNT: 0
; COMPUTE_PGM_RSRC3_GFX90A:ACCUM_OFFSET: 4
; COMPUTE_PGM_RSRC3_GFX90A:TG_SPLIT: 0
	.section	.text._ZL33flash_attn_stream_k_fixup_uniformILi64ELi4ELi8EEvPfPK15HIP_vector_typeIfLj2EEiiiiiiS1_IjLj3EES5_S5_,"axG",@progbits,_ZL33flash_attn_stream_k_fixup_uniformILi64ELi4ELi8EEvPfPK15HIP_vector_typeIfLj2EEiiiiiiS1_IjLj3EES5_S5_,comdat
	.globl	_ZL33flash_attn_stream_k_fixup_uniformILi64ELi4ELi8EEvPfPK15HIP_vector_typeIfLj2EEiiiiiiS1_IjLj3EES5_S5_ ; -- Begin function _ZL33flash_attn_stream_k_fixup_uniformILi64ELi4ELi8EEvPfPK15HIP_vector_typeIfLj2EEiiiiiiS1_IjLj3EES5_S5_
	.p2align	8
	.type	_ZL33flash_attn_stream_k_fixup_uniformILi64ELi4ELi8EEvPfPK15HIP_vector_typeIfLj2EEiiiiiiS1_IjLj3EES5_S5_,@function
_ZL33flash_attn_stream_k_fixup_uniformILi64ELi4ELi8EEvPfPK15HIP_vector_typeIfLj2EEiiiiiiS1_IjLj3EES5_S5_: ; @_ZL33flash_attn_stream_k_fixup_uniformILi64ELi4ELi8EEvPfPK15HIP_vector_typeIfLj2EEiiiiiiS1_IjLj3EES5_S5_
; %bb.0:
	s_load_dwordx8 s[8:15], s[0:1], 0x1c
	s_load_dwordx2 s[6:7], s[0:1], 0x10
	s_load_dwordx4 s[20:23], s[0:1], 0x3c
	s_waitcnt lgkmcnt(0)
	s_mul_hi_u32 s5, s11, s2
	s_add_i32 s5, s2, s5
	s_lshr_b32 s5, s5, s12
	s_mul_i32 s11, s5, s13
	s_sub_i32 s11, s2, s11
	s_mul_hi_u32 s12, s11, s14
	s_add_i32 s12, s11, s12
	s_lshr_b32 s16, s12, s15
	s_mul_i32 s12, s16, s20
	s_sub_i32 s11, s11, s12
	s_mul_hi_u32 s12, s11, s21
	s_add_i32 s12, s11, s12
	s_lshr_b32 s12, s12, s22
	s_mul_i32 s13, s12, s23
	s_sub_i32 s17, s11, s13
	s_lshl_b32 s11, s12, 3
	s_lshl_b32 s12, s17, 2
	s_add_i32 s12, s12, s3
	s_cmp_lt_i32 s12, s6
	s_cselect_b64 s[12:13], -1, 0
	s_add_i32 s14, s11, s4
	s_cmp_lt_i32 s14, s9
	s_cselect_b64 s[14:15], -1, 0
	s_and_b64 s[12:13], s[12:13], s[14:15]
	s_andn2_b64 vcc, exec, s[12:13]
	s_cbranch_vccnz .LBB6_6
; %bb.1:
	s_load_dwordx4 s[12:15], s[0:1], 0x0
	s_mul_i32 s0, s5, s6
	s_add_i32 s0, s0, s3
	s_mul_i32 s0, s0, s7
	s_mul_i32 s16, s16, s9
	s_add_i32 s0, s0, s4
	s_add_i32 s0, s0, s16
	s_mul_i32 s1, s7, s17
	s_add_i32 s0, s0, s11
	s_lshl_b32 s1, s1, 8
	s_lshl_b32 s0, s0, 6
	s_add_i32 s1, s1, s0
	v_or_b32_e32 v4, s1, v0
	s_waitcnt lgkmcnt(0)
	v_mov_b32_e32 v2, s12
	v_mov_b32_e32 v3, s13
	v_ashrrev_i32_e32 v5, 31, v4
	v_lshl_add_u64 v[2:3], v[4:5], 2, v[2:3]
	global_load_dword v5, v[2:3], off
	s_mul_i32 s5, s10, s2
	s_lshl_b32 s11, s3, 3
	s_add_i32 s9, s5, s10
	s_add_i32 s0, s11, s4
	s_lshl_b32 s1, s9, 5
	s_add_i32 s0, s0, s1
	s_sub_i32 s0, s0, 32
	s_ashr_i32 s1, s0, 31
	s_lshl_b64 s[0:1], s[0:1], 3
	s_add_u32 s0, s14, s0
	s_addc_u32 s1, s15, s1
	s_load_dword s12, s[0:1], 0x4
	s_add_i32 s6, s9, -2
	s_cmp_lt_i32 s6, s5
	s_cbranch_scc1 .LBB6_4
; %bb.2:
	s_lshl_b32 s6, s8, 7
	s_ashr_i32 s7, s6, 31
	s_lshl_b64 s[6:7], s[6:7], 2
	s_add_u32 s6, s14, s6
	s_addc_u32 s7, s15, s7
	s_add_i32 s2, s2, 1
	s_load_dword s0, s[0:1], 0x0
	s_mul_i32 s1, s10, s2
	s_lshl_b32 s3, s3, 9
	s_lshl_b32 s10, s4, 6
	;; [unrolled: 1-line block ×3, first 2 shown]
	s_add_i32 s3, s10, s3
	s_lshl_b32 s1, s1, 5
	s_add_i32 s3, s3, s2
	s_add_i32 s1, s4, s1
	s_lshl_b32 s2, s8, 5
	s_add_i32 s1, s1, s2
	v_or_b32_e32 v0, s3, v0
	s_add_i32 s1, s1, s11
	s_add_i32 s9, s9, -1
	v_add_u32_e32 v0, 0xfffff000, v0
	s_sub_i32 s2, s1, 64
	s_waitcnt lgkmcnt(0)
	v_mov_b32_e32 v7, s0
	v_mov_b32_e32 v4, s12
	s_mov_b32 s4, 0x3fb8aa3b
	s_mov_b32 s8, 0xc2ce8ed0
	;; [unrolled: 1-line block ×3, first 2 shown]
	v_mov_b32_e32 v6, 0x7f800000
	s_mov_b32 s11, 0xc1a00000
.LBB6_3:                                ; =>This Inner Loop Header: Depth=1
	v_ashrrev_i32_e32 v1, 31, v0
	v_lshl_add_u64 v[8:9], v[0:1], 2, s[6:7]
	global_load_dword v9, v[8:9], off
	s_ashr_i32 s3, s2, 31
	s_lshl_b64 s[0:1], s[2:3], 3
	s_add_u32 s0, s14, s0
	s_addc_u32 s1, s15, s1
	s_load_dwordx2 s[0:1], s[0:1], 0x0
	v_max_f32_e32 v1, v7, v7
	s_add_i32 s9, s9, -1
	s_sub_i32 s2, s2, 32
	v_add_u32_e32 v0, 0xfffff800, v0
	s_waitcnt lgkmcnt(0)
	v_max_f32_e64 v10, s0, s0
	v_max_f32_e32 v1, v1, v10
	v_sub_f32_e32 v11, s0, v1
	v_sub_f32_e32 v10, v7, v1
	v_mul_f32_e32 v12, 0x3fb8aa3b, v11
	v_mov_b32_e32 v7, v1
	v_mul_f32_e32 v1, 0x3fb8aa3b, v10
	v_fma_f32 v15, v11, s4, -v12
	v_rndne_f32_e32 v16, v12
	v_fma_f32 v13, v10, s4, -v1
	v_rndne_f32_e32 v14, v1
	v_fmac_f32_e32 v15, 0x32a5705f, v11
	v_sub_f32_e32 v12, v12, v16
	v_fmac_f32_e32 v13, 0x32a5705f, v10
	v_sub_f32_e32 v1, v1, v14
	v_add_f32_e32 v12, v12, v15
	v_cvt_i32_f32_e32 v16, v16
	v_add_f32_e32 v1, v1, v13
	v_exp_f32_e32 v12, v12
	v_cvt_i32_f32_e32 v14, v14
	v_exp_f32_e32 v1, v1
	v_cmp_ngt_f32_e32 vcc, s8, v11
	v_ldexp_f32 v12, v12, v16
	v_mov_b32_e32 v8, s1
	v_ldexp_f32 v1, v1, v14
	v_cmp_ngt_f32_e64 s[0:1], s8, v10
	v_cndmask_b32_e32 v12, 0, v12, vcc
	v_cmp_nlt_f32_e32 vcc, s10, v11
	v_cndmask_b32_e64 v1, 0, v1, s[0:1]
	v_cmp_nlt_f32_e64 s[0:1], s10, v10
	v_cndmask_b32_e32 v12, v6, v12, vcc
	v_cmp_le_f32_e32 vcc, s11, v11
	v_cndmask_b32_e64 v1, v6, v1, s[0:1]
	v_cmp_le_f32_e64 s[0:1], s11, v10
	v_cndmask_b32_e32 v12, 0, v12, vcc
	s_cmp_le_i32 s9, s5
	v_cndmask_b32_e64 v10, 0, v1, s[0:1]
	s_waitcnt vmcnt(0)
	v_pk_mul_f32 v[8:9], v[8:9], v[12:13] op_sel_hi:[1,0]
	s_nop 0
	v_pk_fma_f32 v[4:5], v[4:5], v[10:11], v[8:9] op_sel_hi:[1,0,1]
	s_cbranch_scc0 .LBB6_3
	s_branch .LBB6_5
.LBB6_4:
	s_waitcnt lgkmcnt(0)
	v_mov_b32_e32 v4, s12
.LBB6_5:
	s_waitcnt vmcnt(0)
	v_div_scale_f32 v0, s[0:1], v4, v4, v5
	v_rcp_f32_e32 v1, v0
	v_div_scale_f32 v6, vcc, v5, v4, v5
	v_fma_f32 v7, -v0, v1, 1.0
	v_fmac_f32_e32 v1, v7, v1
	v_mul_f32_e32 v7, v6, v1
	v_fma_f32 v8, -v0, v7, v6
	v_fmac_f32_e32 v7, v8, v1
	v_fma_f32 v0, -v0, v7, v6
	v_div_fmas_f32 v0, v0, v1, v7
	v_div_fixup_f32 v0, v0, v4, v5
	global_store_dword v[2:3], v0, off
.LBB6_6:
	s_endpgm
	.section	.rodata,"a",@progbits
	.p2align	6, 0x0
	.amdhsa_kernel _ZL33flash_attn_stream_k_fixup_uniformILi64ELi4ELi8EEvPfPK15HIP_vector_typeIfLj2EEiiiiiiS1_IjLj3EES5_S5_
		.amdhsa_group_segment_fixed_size 0
		.amdhsa_private_segment_fixed_size 0
		.amdhsa_kernarg_size 76
		.amdhsa_user_sgpr_count 2
		.amdhsa_user_sgpr_dispatch_ptr 0
		.amdhsa_user_sgpr_queue_ptr 0
		.amdhsa_user_sgpr_kernarg_segment_ptr 1
		.amdhsa_user_sgpr_dispatch_id 0
		.amdhsa_user_sgpr_kernarg_preload_length 0
		.amdhsa_user_sgpr_kernarg_preload_offset 0
		.amdhsa_user_sgpr_private_segment_size 0
		.amdhsa_uses_dynamic_stack 0
		.amdhsa_enable_private_segment 0
		.amdhsa_system_sgpr_workgroup_id_x 1
		.amdhsa_system_sgpr_workgroup_id_y 1
		.amdhsa_system_sgpr_workgroup_id_z 1
		.amdhsa_system_sgpr_workgroup_info 0
		.amdhsa_system_vgpr_workitem_id 0
		.amdhsa_next_free_vgpr 17
		.amdhsa_next_free_sgpr 24
		.amdhsa_accum_offset 20
		.amdhsa_reserve_vcc 1
		.amdhsa_float_round_mode_32 0
		.amdhsa_float_round_mode_16_64 0
		.amdhsa_float_denorm_mode_32 3
		.amdhsa_float_denorm_mode_16_64 3
		.amdhsa_dx10_clamp 1
		.amdhsa_ieee_mode 1
		.amdhsa_fp16_overflow 0
		.amdhsa_tg_split 0
		.amdhsa_exception_fp_ieee_invalid_op 0
		.amdhsa_exception_fp_denorm_src 0
		.amdhsa_exception_fp_ieee_div_zero 0
		.amdhsa_exception_fp_ieee_overflow 0
		.amdhsa_exception_fp_ieee_underflow 0
		.amdhsa_exception_fp_ieee_inexact 0
		.amdhsa_exception_int_div_zero 0
	.end_amdhsa_kernel
	.section	.text._ZL33flash_attn_stream_k_fixup_uniformILi64ELi4ELi8EEvPfPK15HIP_vector_typeIfLj2EEiiiiiiS1_IjLj3EES5_S5_,"axG",@progbits,_ZL33flash_attn_stream_k_fixup_uniformILi64ELi4ELi8EEvPfPK15HIP_vector_typeIfLj2EEiiiiiiS1_IjLj3EES5_S5_,comdat
.Lfunc_end6:
	.size	_ZL33flash_attn_stream_k_fixup_uniformILi64ELi4ELi8EEvPfPK15HIP_vector_typeIfLj2EEiiiiiiS1_IjLj3EES5_S5_, .Lfunc_end6-_ZL33flash_attn_stream_k_fixup_uniformILi64ELi4ELi8EEvPfPK15HIP_vector_typeIfLj2EEiiiiiiS1_IjLj3EES5_S5_
                                        ; -- End function
	.set _ZL33flash_attn_stream_k_fixup_uniformILi64ELi4ELi8EEvPfPK15HIP_vector_typeIfLj2EEiiiiiiS1_IjLj3EES5_S5_.num_vgpr, 17
	.set _ZL33flash_attn_stream_k_fixup_uniformILi64ELi4ELi8EEvPfPK15HIP_vector_typeIfLj2EEiiiiiiS1_IjLj3EES5_S5_.num_agpr, 0
	.set _ZL33flash_attn_stream_k_fixup_uniformILi64ELi4ELi8EEvPfPK15HIP_vector_typeIfLj2EEiiiiiiS1_IjLj3EES5_S5_.numbered_sgpr, 24
	.set _ZL33flash_attn_stream_k_fixup_uniformILi64ELi4ELi8EEvPfPK15HIP_vector_typeIfLj2EEiiiiiiS1_IjLj3EES5_S5_.num_named_barrier, 0
	.set _ZL33flash_attn_stream_k_fixup_uniformILi64ELi4ELi8EEvPfPK15HIP_vector_typeIfLj2EEiiiiiiS1_IjLj3EES5_S5_.private_seg_size, 0
	.set _ZL33flash_attn_stream_k_fixup_uniformILi64ELi4ELi8EEvPfPK15HIP_vector_typeIfLj2EEiiiiiiS1_IjLj3EES5_S5_.uses_vcc, 1
	.set _ZL33flash_attn_stream_k_fixup_uniformILi64ELi4ELi8EEvPfPK15HIP_vector_typeIfLj2EEiiiiiiS1_IjLj3EES5_S5_.uses_flat_scratch, 0
	.set _ZL33flash_attn_stream_k_fixup_uniformILi64ELi4ELi8EEvPfPK15HIP_vector_typeIfLj2EEiiiiiiS1_IjLj3EES5_S5_.has_dyn_sized_stack, 0
	.set _ZL33flash_attn_stream_k_fixup_uniformILi64ELi4ELi8EEvPfPK15HIP_vector_typeIfLj2EEiiiiiiS1_IjLj3EES5_S5_.has_recursion, 0
	.set _ZL33flash_attn_stream_k_fixup_uniformILi64ELi4ELi8EEvPfPK15HIP_vector_typeIfLj2EEiiiiiiS1_IjLj3EES5_S5_.has_indirect_call, 0
	.section	.AMDGPU.csdata,"",@progbits
; Kernel info:
; codeLenInByte = 836
; TotalNumSgprs: 30
; NumVgprs: 17
; NumAgprs: 0
; TotalNumVgprs: 17
; ScratchSize: 0
; MemoryBound: 0
; FloatMode: 240
; IeeeMode: 1
; LDSByteSize: 0 bytes/workgroup (compile time only)
; SGPRBlocks: 3
; VGPRBlocks: 2
; NumSGPRsForWavesPerEU: 30
; NumVGPRsForWavesPerEU: 17
; AccumOffset: 20
; Occupancy: 8
; WaveLimiterHint : 0
; COMPUTE_PGM_RSRC2:SCRATCH_EN: 0
; COMPUTE_PGM_RSRC2:USER_SGPR: 2
; COMPUTE_PGM_RSRC2:TRAP_HANDLER: 0
; COMPUTE_PGM_RSRC2:TGID_X_EN: 1
; COMPUTE_PGM_RSRC2:TGID_Y_EN: 1
; COMPUTE_PGM_RSRC2:TGID_Z_EN: 1
; COMPUTE_PGM_RSRC2:TIDIG_COMP_CNT: 0
; COMPUTE_PGM_RSRC3_GFX90A:ACCUM_OFFSET: 4
; COMPUTE_PGM_RSRC3_GFX90A:TG_SPLIT: 0
	.section	.text._ZL33flash_attn_stream_k_fixup_generalILi64ELi4ELi8EEvPfPK15HIP_vector_typeIfLj2EEiiiiS1_IjLj3EES5_S5_S5_,"axG",@progbits,_ZL33flash_attn_stream_k_fixup_generalILi64ELi4ELi8EEvPfPK15HIP_vector_typeIfLj2EEiiiiS1_IjLj3EES5_S5_S5_,comdat
	.globl	_ZL33flash_attn_stream_k_fixup_generalILi64ELi4ELi8EEvPfPK15HIP_vector_typeIfLj2EEiiiiS1_IjLj3EES5_S5_S5_ ; -- Begin function _ZL33flash_attn_stream_k_fixup_generalILi64ELi4ELi8EEvPfPK15HIP_vector_typeIfLj2EEiiiiS1_IjLj3EES5_S5_S5_
	.p2align	8
	.type	_ZL33flash_attn_stream_k_fixup_generalILi64ELi4ELi8EEvPfPK15HIP_vector_typeIfLj2EEiiiiS1_IjLj3EES5_S5_S5_,@function
_ZL33flash_attn_stream_k_fixup_generalILi64ELi4ELi8EEvPfPK15HIP_vector_typeIfLj2EEiiiiS1_IjLj3EES5_S5_S5_: ; @_ZL33flash_attn_stream_k_fixup_generalILi64ELi4ELi8EEvPfPK15HIP_vector_typeIfLj2EEiiiiS1_IjLj3EES5_S5_S5_
; %bb.0:
	s_load_dwordx4 s[8:11], s[0:1], 0x10
	s_load_dword s22, s[0:1], 0x50
	s_mov_b32 s12, 0
	s_waitcnt lgkmcnt(0)
	s_mul_hi_i32 s13, s11, s2
	s_cmp_lg_u64 s[12:13], 0
	s_mul_i32 s5, s11, s2
	s_cbranch_scc0 .LBB7_20
; %bb.1:
	s_add_u32 s6, s22, 0
	s_addc_u32 s7, 0, 0
	s_xor_b64 s[6:7], s[6:7], 0
	v_cvt_f32_u32_e32 v1, s6
	v_cvt_f32_u32_e32 v2, s7
	s_sub_u32 s12, 0, s6
	s_subb_u32 s18, 0, s7
	v_fmamk_f32 v1, v2, 0x4f800000, v1
	v_rcp_f32_e32 v1, v1
	s_nop 0
	v_mul_f32_e32 v1, 0x5f7ffffc, v1
	v_mul_f32_e32 v2, 0x2f800000, v1
	v_trunc_f32_e32 v2, v2
	v_fmamk_f32 v1, v2, 0xcf800000, v1
	v_cvt_u32_f32_e32 v2, v2
	v_cvt_u32_f32_e32 v1, v1
	v_readfirstlane_b32 s19, v2
	v_readfirstlane_b32 s14, v1
	s_mul_i32 s15, s12, s19
	s_mul_hi_u32 s21, s12, s14
	s_mul_i32 s20, s18, s14
	s_add_i32 s15, s21, s15
	s_add_i32 s15, s15, s20
	s_mul_i32 s23, s12, s14
	s_mul_i32 s21, s14, s15
	s_mul_hi_u32 s24, s14, s23
	s_mul_hi_u32 s20, s14, s15
	s_add_u32 s21, s24, s21
	s_addc_u32 s20, 0, s20
	s_mul_hi_u32 s25, s19, s23
	s_mul_i32 s23, s19, s23
	s_add_u32 s21, s21, s23
	s_mul_hi_u32 s24, s19, s15
	s_addc_u32 s20, s20, s25
	s_addc_u32 s21, s24, 0
	s_mul_i32 s15, s19, s15
	s_add_u32 s15, s20, s15
	s_addc_u32 s20, 0, s21
	s_add_u32 s21, s14, s15
	s_cselect_b64 s[14:15], -1, 0
	s_cmp_lg_u64 s[14:15], 0
	s_addc_u32 s19, s19, s20
	s_mul_i32 s14, s12, s19
	s_mul_hi_u32 s15, s12, s21
	s_add_i32 s14, s15, s14
	s_mul_i32 s18, s18, s21
	s_add_i32 s14, s14, s18
	s_mul_i32 s12, s12, s21
	s_mul_hi_u32 s18, s19, s12
	s_mul_i32 s20, s19, s12
	s_mul_i32 s24, s21, s14
	s_mul_hi_u32 s12, s21, s12
	s_mul_hi_u32 s23, s21, s14
	s_add_u32 s12, s12, s24
	s_addc_u32 s23, 0, s23
	s_add_u32 s12, s12, s20
	s_mul_hi_u32 s15, s19, s14
	s_addc_u32 s12, s23, s18
	s_addc_u32 s15, s15, 0
	s_mul_i32 s14, s19, s14
	s_add_u32 s12, s12, s14
	s_addc_u32 s18, 0, s15
	s_add_u32 s20, s21, s12
	s_cselect_b64 s[14:15], -1, 0
	s_cmp_lg_u64 s[14:15], 0
	s_addc_u32 s18, s19, s18
	s_ashr_i32 s14, s13, 31
	s_add_u32 s12, s5, s14
	s_mov_b32 s15, s14
	s_addc_u32 s13, s13, s14
	s_xor_b64 s[12:13], s[12:13], s[14:15]
	s_mul_i32 s21, s12, s18
	s_mul_hi_u32 s23, s12, s20
	s_mul_hi_u32 s19, s12, s18
	s_add_u32 s21, s23, s21
	s_addc_u32 s19, 0, s19
	s_mul_hi_u32 s24, s13, s20
	s_mul_i32 s20, s13, s20
	s_add_u32 s20, s21, s20
	s_mul_hi_u32 s23, s13, s18
	s_addc_u32 s19, s19, s24
	s_addc_u32 s20, s23, 0
	s_mul_i32 s18, s13, s18
	s_add_u32 s23, s19, s18
	s_addc_u32 s24, 0, s20
	s_mul_i32 s18, s6, s24
	s_mul_hi_u32 s19, s6, s23
	s_add_i32 s18, s19, s18
	s_mul_i32 s19, s7, s23
	s_add_i32 s25, s18, s19
	s_sub_i32 s20, s13, s25
	s_mul_i32 s18, s6, s23
	s_sub_u32 s12, s12, s18
	s_cselect_b64 s[18:19], -1, 0
	s_cmp_lg_u64 s[18:19], 0
	s_subb_u32 s26, s20, s7
	s_sub_u32 s27, s12, s6
	s_cselect_b64 s[20:21], -1, 0
	s_cmp_lg_u64 s[20:21], 0
	s_subb_u32 s20, s26, 0
	s_cmp_ge_u32 s20, s7
	s_cselect_b32 s21, -1, 0
	s_cmp_ge_u32 s27, s6
	s_cselect_b32 s26, -1, 0
	s_cmp_eq_u32 s20, s7
	s_cselect_b32 s20, s26, s21
	s_add_u32 s21, s23, 1
	s_addc_u32 s26, s24, 0
	s_add_u32 s27, s23, 2
	s_addc_u32 s28, s24, 0
	s_cmp_lg_u32 s20, 0
	s_cselect_b32 s20, s27, s21
	s_cselect_b32 s21, s28, s26
	s_cmp_lg_u64 s[18:19], 0
	s_subb_u32 s13, s13, s25
	s_cmp_ge_u32 s13, s7
	s_cselect_b32 s18, -1, 0
	s_cmp_ge_u32 s12, s6
	s_cselect_b32 s6, -1, 0
	s_cmp_eq_u32 s13, s7
	s_cselect_b32 s6, s6, s18
	s_cmp_lg_u32 s6, 0
	s_cselect_b32 s7, s21, s24
	s_cselect_b32 s6, s20, s23
	s_xor_b64 s[12:13], s[14:15], 0
	s_xor_b64 s[6:7], s[6:7], s[12:13]
	s_sub_u32 s6, s6, s12
	s_load_dwordx4 s[12:15], s[0:1], 0x44
	s_cbranch_execnz .LBB7_3
.LBB7_2:
	v_cvt_f32_u32_e32 v1, s22
	s_sub_i32 s6, 0, s22
	v_rcp_iflag_f32_e32 v1, v1
	s_nop 0
	v_mul_f32_e32 v1, 0x4f7ffffe, v1
	v_cvt_u32_f32_e32 v1, v1
	s_nop 0
	v_readfirstlane_b32 s7, v1
	s_mul_i32 s6, s6, s7
	s_mul_hi_u32 s6, s7, s6
	s_add_i32 s7, s7, s6
	s_mul_hi_u32 s6, s5, s7
	s_waitcnt lgkmcnt(0)
	s_mul_i32 s15, s6, s22
	s_sub_i32 s5, s5, s15
	s_add_i32 s7, s6, 1
	s_sub_i32 s15, s5, s22
	s_cmp_ge_u32 s5, s22
	s_cselect_b32 s6, s7, s6
	s_cselect_b32 s5, s15, s5
	s_add_i32 s7, s6, 1
	s_cmp_ge_u32 s5, s22
	s_cselect_b32 s6, s7, s6
.LBB7_3:
	s_add_i32 s5, s2, 1
	s_mul_hi_i32 s21, s11, s5
	s_mov_b32 s20, 0
	s_cmp_lg_u64 s[20:21], 0
	s_mul_i32 s5, s11, s5
	s_cbranch_scc0 .LBB7_21
; %bb.4:
	s_add_u32 s16, s22, 0
	s_addc_u32 s17, 0, 0
	s_xor_b64 s[18:19], s[16:17], 0
	v_cvt_f32_u32_e32 v1, s18
	v_cvt_f32_u32_e32 v2, s19
	s_sub_u32 s7, 0, s18
	s_waitcnt lgkmcnt(0)
	s_subb_u32 s15, 0, s19
	v_fmamk_f32 v1, v2, 0x4f800000, v1
	v_rcp_f32_e32 v1, v1
	s_nop 0
	v_mul_f32_e32 v1, 0x5f7ffffc, v1
	v_mul_f32_e32 v2, 0x2f800000, v1
	v_trunc_f32_e32 v2, v2
	v_fmamk_f32 v1, v2, 0xcf800000, v1
	v_cvt_u32_f32_e32 v2, v2
	v_cvt_u32_f32_e32 v1, v1
	v_readfirstlane_b32 s20, v2
	v_readfirstlane_b32 s23, v1
	s_mul_i32 s24, s7, s20
	s_mul_hi_u32 s26, s7, s23
	s_mul_i32 s25, s15, s23
	s_add_i32 s24, s26, s24
	s_add_i32 s24, s24, s25
	s_mul_i32 s27, s7, s23
	s_mul_i32 s26, s23, s24
	s_mul_hi_u32 s28, s23, s27
	s_mul_hi_u32 s25, s23, s24
	s_add_u32 s26, s28, s26
	s_addc_u32 s25, 0, s25
	s_mul_hi_u32 s29, s20, s27
	s_mul_i32 s27, s20, s27
	s_add_u32 s26, s26, s27
	s_mul_hi_u32 s28, s20, s24
	s_addc_u32 s25, s25, s29
	s_addc_u32 s26, s28, 0
	s_mul_i32 s24, s20, s24
	s_add_u32 s24, s25, s24
	s_addc_u32 s26, 0, s26
	s_add_u32 s23, s23, s24
	s_cselect_b64 s[24:25], -1, 0
	s_cmp_lg_u64 s[24:25], 0
	s_addc_u32 s20, s20, s26
	s_mul_i32 s24, s7, s20
	s_mul_hi_u32 s25, s7, s23
	s_add_i32 s24, s25, s24
	s_mul_i32 s15, s15, s23
	s_add_i32 s24, s24, s15
	s_mul_i32 s7, s7, s23
	s_mul_hi_u32 s25, s20, s7
	s_mul_i32 s26, s20, s7
	s_mul_i32 s28, s23, s24
	s_mul_hi_u32 s7, s23, s7
	s_mul_hi_u32 s27, s23, s24
	s_add_u32 s7, s7, s28
	s_addc_u32 s27, 0, s27
	s_add_u32 s7, s7, s26
	s_mul_hi_u32 s15, s20, s24
	s_addc_u32 s7, s27, s25
	s_addc_u32 s15, s15, 0
	s_mul_i32 s24, s20, s24
	s_add_u32 s7, s7, s24
	s_addc_u32 s15, 0, s15
	s_add_u32 s7, s23, s7
	s_cselect_b64 s[24:25], -1, 0
	s_cmp_lg_u64 s[24:25], 0
	s_addc_u32 s15, s20, s15
	s_ashr_i32 s24, s21, 31
	s_add_u32 s20, s5, s24
	s_mov_b32 s25, s24
	s_addc_u32 s21, s21, s24
	s_xor_b64 s[20:21], s[20:21], s[24:25]
	s_mul_i32 s26, s20, s15
	s_mul_hi_u32 s27, s20, s7
	s_mul_hi_u32 s23, s20, s15
	s_add_u32 s26, s27, s26
	s_addc_u32 s23, 0, s23
	s_mul_hi_u32 s28, s21, s7
	s_mul_i32 s7, s21, s7
	s_add_u32 s7, s26, s7
	s_mul_hi_u32 s27, s21, s15
	s_addc_u32 s7, s23, s28
	s_addc_u32 s23, s27, 0
	s_mul_i32 s15, s21, s15
	s_add_u32 s7, s7, s15
	s_addc_u32 s15, 0, s23
	s_mul_i32 s23, s18, s15
	s_mul_hi_u32 s26, s18, s7
	s_add_i32 s23, s26, s23
	s_mul_i32 s26, s19, s7
	s_add_i32 s23, s23, s26
	s_sub_i32 s28, s21, s23
	s_mul_i32 s26, s18, s7
	s_sub_u32 s20, s20, s26
	s_cselect_b64 s[26:27], -1, 0
	s_cmp_lg_u64 s[26:27], 0
	s_subb_u32 s30, s28, s19
	s_sub_u32 s31, s20, s18
	s_cselect_b64 s[28:29], -1, 0
	s_cmp_lg_u64 s[28:29], 0
	s_subb_u32 s28, s30, 0
	s_cmp_ge_u32 s28, s19
	s_cselect_b32 s29, -1, 0
	s_cmp_ge_u32 s31, s18
	s_cselect_b32 s30, -1, 0
	s_cmp_eq_u32 s28, s19
	s_cselect_b32 s28, s30, s29
	s_add_u32 s29, s7, 1
	s_addc_u32 s30, s15, 0
	s_add_u32 s31, s7, 2
	s_addc_u32 s33, s15, 0
	s_cmp_lg_u32 s28, 0
	s_cselect_b32 s28, s31, s29
	s_cselect_b32 s29, s33, s30
	s_cmp_lg_u64 s[26:27], 0
	s_subb_u32 s21, s21, s23
	s_cmp_ge_u32 s21, s19
	s_cselect_b32 s23, -1, 0
	s_cmp_ge_u32 s20, s18
	s_cselect_b32 s18, -1, 0
	s_cmp_eq_u32 s21, s19
	s_cselect_b32 s18, s18, s23
	s_cmp_lg_u32 s18, 0
	s_cselect_b32 s19, s29, s15
	s_cselect_b32 s18, s28, s7
	s_xor_b64 s[20:21], s[24:25], 0
	s_xor_b64 s[18:19], s[18:19], s[20:21]
	s_sub_u32 s18, s18, s20
	s_cbranch_execnz .LBB7_6
.LBB7_5:
	v_cvt_f32_u32_e32 v1, s22
	s_sub_i32 s7, 0, s22
	v_rcp_iflag_f32_e32 v1, v1
	s_nop 0
	v_mul_f32_e32 v1, 0x4f7ffffe, v1
	v_cvt_u32_f32_e32 v1, v1
	s_waitcnt lgkmcnt(0)
	v_readfirstlane_b32 s15, v1
	s_mul_i32 s7, s7, s15
	s_mul_hi_u32 s7, s15, s7
	s_add_i32 s15, s15, s7
	s_mul_hi_u32 s7, s5, s15
	s_mul_i32 s16, s7, s22
	s_sub_i32 s5, s5, s16
	s_add_i32 s15, s7, 1
	s_sub_i32 s16, s5, s22
	s_cmp_ge_u32 s5, s22
	s_cselect_b32 s7, s15, s7
	s_cselect_b32 s5, s16, s5
	s_add_i32 s15, s7, 1
	s_cmp_ge_u32 s5, s22
	s_cselect_b32 s18, s15, s7
.LBB7_6:
	s_cmp_eq_u32 s6, s18
	s_waitcnt lgkmcnt(0)
	s_mul_hi_u32 s5, s6, s12
	s_cselect_b64 s[16:17], -1, 0
	s_add_i32 s5, s5, s6
	s_lshr_b32 s7, s5, s13
	s_mul_i32 s5, s7, s14
	s_cmp_eq_u32 s5, s6
	s_mul_hi_u32 s5, s18, s12
	s_cselect_b64 s[20:21], -1, 0
	s_add_i32 s5, s5, s18
	s_lshr_b32 s5, s5, s13
	s_cmp_eq_u32 s7, s5
	s_mul_i32 s5, s5, s14
	s_cselect_b64 s[24:25], -1, 0
	s_cmp_lg_u32 s5, s18
	s_cselect_b64 s[18:19], -1, 0
	s_and_b64 s[18:19], s[24:25], s[18:19]
	s_or_b64 s[16:17], s[16:17], s[20:21]
	s_or_b64 s[16:17], s[16:17], s[18:19]
	s_and_b64 vcc, exec, s[16:17]
	s_cbranch_vccnz .LBB7_23
; %bb.7:
	s_load_dwordx8 s[24:31], s[0:1], 0x20
	s_load_dword s15, s[0:1], 0x40
	s_waitcnt lgkmcnt(0)
	s_mul_hi_u32 s5, s6, s24
	s_add_i32 s5, s5, s6
	s_lshr_b32 s5, s5, s25
	s_mul_i32 s16, s5, s26
	s_sub_i32 s16, s6, s16
	s_mul_hi_u32 s17, s16, s27
	s_add_i32 s17, s16, s17
	s_lshr_b32 s20, s17, s28
	s_mul_i32 s17, s20, s29
	s_sub_i32 s16, s16, s17
	;; [unrolled: 5-line block ×3, first 2 shown]
	s_mul_hi_u32 s16, s15, s12
	s_add_i32 s15, s15, s16
	s_lshr_b32 s23, s15, s13
	s_lshl_b32 s15, s23, 2
	s_lshl_b32 s21, s17, 3
	s_add_i32 s15, s15, s3
	s_cmp_lt_i32 s15, s8
	s_cselect_b64 s[16:17], -1, 0
	s_add_i32 s15, s21, s4
	s_cmp_lt_i32 s15, s10
	s_cselect_b64 s[18:19], -1, 0
	s_and_b64 s[16:17], s[16:17], s[18:19]
	s_andn2_b64 vcc, exec, s[16:17]
	s_cbranch_vccnz .LBB7_23
; %bb.8:
	s_load_dwordx4 s[16:19], s[0:1], 0x0
	s_mov_b32 s0, 0
	s_lshl_b32 s15, s3, 3
	s_lshl_b32 s24, s22, 7
	s_mov_b32 s25, s0
	s_add_i32 s15, s15, s4
	s_waitcnt lgkmcnt(0)
	v_mov_b32_e32 v2, s16
	v_mov_b32_e32 v3, s17
	s_lshl_b64 s[16:17], s[24:25], 2
	s_add_u32 s16, s18, s16
	s_mul_i32 s1, s5, s8
	s_addc_u32 s17, s19, s17
	s_add_i32 s1, s1, s3
	s_mul_i32 s1, s1, s9
	s_mul_i32 s20, s20, s10
	s_add_i32 s1, s1, s4
	s_add_i32 s1, s1, s20
	s_mul_i32 s5, s9, s23
	s_add_i32 s1, s1, s21
	s_lshl_b32 s5, s5, 8
	s_lshl_b32 s1, s1, 6
	s_add_i32 s5, s5, s1
	v_or_b32_e32 v4, s5, v0
	v_ashrrev_i32_e32 v5, 31, v4
	v_lshl_add_u64 v[2:3], v[4:5], 2, v[2:3]
	global_load_dword v1, v[2:3], off
	v_cvt_f32_u32_e32 v4, s22
	s_lshl_b32 s1, s2, 5
	s_add_i32 s4, s15, s1
	s_ashr_i32 s5, s4, 31
	s_lshl_b64 s[4:5], s[4:5], 3
	v_rcp_iflag_f32_e32 v4, v4
	s_add_u32 s4, s18, s4
	s_addc_u32 s5, s19, s5
	s_load_dwordx2 s[4:5], s[4:5], 0x0
	v_mul_f32_e32 v4, 0x4f7ffffe, v4
	v_cvt_u32_f32_e32 v7, v4
	s_add_i32 s24, s2, -1
	v_lshl_or_b32 v6, s15, 6, v0
	s_waitcnt lgkmcnt(0)
	v_mov_b32_e32 v0, s5
	v_mov_b32_e32 v9, s4
	s_mov_b32 s10, 0x3fb8aa3b
	s_mov_b32 s20, 0xc2ce8ed0
	;; [unrolled: 1-line block ×4, first 2 shown]
	v_mov_b32_e32 v8, 0x7f800000
	s_mul_hi_i32 s1, s24, s11
	s_cmp_lg_u64 s[0:1], 0
	s_mul_i32 s8, s24, s11
	s_cbranch_scc0 .LBB7_19
.LBB7_9:
	s_add_u32 s2, s22, 0
	s_addc_u32 s3, 0, 0
	s_xor_b64 s[2:3], s[2:3], 0
	v_cvt_f32_u32_e32 v4, s2
	v_cvt_f32_u32_e32 v5, s3
	s_sub_u32 s9, 0, s2
	s_subb_u32 s25, 0, s3
	v_fmac_f32_e32 v4, 0x4f800000, v5
	v_rcp_f32_e32 v4, v4
	s_nop 0
	v_mul_f32_e32 v4, 0x5f7ffffc, v4
	v_mul_f32_e32 v5, 0x2f800000, v4
	v_trunc_f32_e32 v5, v5
	v_fmac_f32_e32 v4, 0xcf800000, v5
	v_cvt_u32_f32_e32 v5, v5
	v_cvt_u32_f32_e32 v4, v4
	v_readfirstlane_b32 s26, v5
	v_readfirstlane_b32 s4, v4
	s_mul_i32 s5, s9, s26
	s_mul_hi_u32 s28, s9, s4
	s_mul_i32 s27, s25, s4
	s_add_i32 s5, s28, s5
	s_mul_i32 s29, s9, s4
	s_add_i32 s5, s5, s27
	s_mul_i32 s28, s4, s5
	s_mul_hi_u32 s30, s4, s29
	s_mul_hi_u32 s27, s4, s5
	s_add_u32 s28, s30, s28
	s_addc_u32 s27, 0, s27
	s_mul_hi_u32 s31, s26, s29
	s_mul_i32 s29, s26, s29
	s_add_u32 s28, s28, s29
	s_mul_hi_u32 s30, s26, s5
	s_addc_u32 s27, s27, s31
	s_addc_u32 s28, s30, 0
	s_mul_i32 s5, s26, s5
	s_add_u32 s5, s27, s5
	s_addc_u32 s27, 0, s28
	s_add_u32 s28, s4, s5
	s_cselect_b64 s[4:5], -1, 0
	s_cmp_lg_u64 s[4:5], 0
	s_addc_u32 s26, s26, s27
	s_mul_i32 s4, s9, s26
	s_mul_hi_u32 s5, s9, s28
	s_add_i32 s4, s5, s4
	s_mul_i32 s25, s25, s28
	s_add_i32 s4, s4, s25
	s_mul_i32 s9, s9, s28
	s_mul_hi_u32 s25, s26, s9
	s_mul_i32 s27, s26, s9
	s_mul_i32 s30, s28, s4
	s_mul_hi_u32 s9, s28, s9
	s_mul_hi_u32 s29, s28, s4
	s_add_u32 s9, s9, s30
	s_addc_u32 s29, 0, s29
	s_add_u32 s9, s9, s27
	s_mul_hi_u32 s5, s26, s4
	s_addc_u32 s9, s29, s25
	s_addc_u32 s5, s5, 0
	s_mul_i32 s4, s26, s4
	s_add_u32 s4, s9, s4
	s_addc_u32 s9, 0, s5
	s_add_u32 s25, s28, s4
	s_cselect_b64 s[4:5], -1, 0
	s_cmp_lg_u64 s[4:5], 0
	s_addc_u32 s9, s26, s9
	s_ashr_i32 s4, s1, 31
	s_add_u32 s26, s8, s4
	s_mov_b32 s5, s4
	s_addc_u32 s27, s1, s4
	s_xor_b64 s[26:27], s[26:27], s[4:5]
	s_mul_i32 s28, s26, s9
	s_mul_hi_u32 s29, s26, s25
	s_mul_hi_u32 s1, s26, s9
	s_add_u32 s28, s29, s28
	s_addc_u32 s1, 0, s1
	s_mul_hi_u32 s30, s27, s25
	s_mul_i32 s25, s27, s25
	s_add_u32 s25, s28, s25
	s_mul_hi_u32 s29, s27, s9
	s_addc_u32 s1, s1, s30
	s_addc_u32 s25, s29, 0
	s_mul_i32 s9, s27, s9
	s_add_u32 s1, s1, s9
	s_addc_u32 s9, 0, s25
	s_mul_i32 s25, s2, s9
	s_mul_hi_u32 s28, s2, s1
	s_add_i32 s25, s28, s25
	s_mul_i32 s28, s3, s1
	s_add_i32 s25, s25, s28
	s_sub_i32 s30, s27, s25
	s_mul_i32 s28, s2, s1
	s_sub_u32 s26, s26, s28
	s_cselect_b64 s[28:29], -1, 0
	s_cmp_lg_u64 s[28:29], 0
	s_subb_u32 s33, s30, s3
	s_sub_u32 s34, s26, s2
	s_cselect_b64 s[30:31], -1, 0
	s_cmp_lg_u64 s[30:31], 0
	s_subb_u32 s30, s33, 0
	s_cmp_ge_u32 s30, s3
	s_cselect_b32 s31, -1, 0
	s_cmp_ge_u32 s34, s2
	s_cselect_b32 s33, -1, 0
	s_cmp_eq_u32 s30, s3
	s_cselect_b32 s30, s33, s31
	s_add_u32 s31, s1, 1
	s_addc_u32 s33, s9, 0
	s_add_u32 s34, s1, 2
	s_addc_u32 s35, s9, 0
	s_cmp_lg_u32 s30, 0
	s_cselect_b32 s30, s34, s31
	s_cselect_b32 s31, s35, s33
	s_cmp_lg_u64 s[28:29], 0
	s_subb_u32 s25, s27, s25
	s_cmp_ge_u32 s25, s3
	s_cselect_b32 s27, -1, 0
	s_cmp_ge_u32 s26, s2
	s_cselect_b32 s2, -1, 0
	s_cmp_eq_u32 s25, s3
	s_cselect_b32 s2, s2, s27
	s_cmp_lg_u32 s2, 0
	s_cselect_b32 s3, s31, s9
	s_cselect_b32 s2, s30, s1
	s_xor_b64 s[4:5], s[4:5], 0
	s_xor_b64 s[2:3], s[2:3], s[4:5]
	s_sub_u32 s4, s2, s4
	s_cbranch_execnz .LBB7_11
.LBB7_10:
	s_sub_i32 s1, 0, s22
	v_readfirstlane_b32 s2, v7
	s_mul_i32 s1, s1, s2
	s_mul_hi_u32 s1, s2, s1
	s_add_i32 s2, s2, s1
	s_mul_hi_u32 s1, s8, s2
	s_mul_i32 s3, s1, s22
	s_sub_i32 s3, s8, s3
	s_add_i32 s2, s1, 1
	s_sub_i32 s4, s3, s22
	s_cmp_ge_u32 s3, s22
	s_cselect_b32 s1, s2, s1
	s_cselect_b32 s3, s4, s3
	s_add_i32 s2, s1, 1
	s_cmp_ge_u32 s3, s22
	s_cselect_b32 s4, s2, s1
.LBB7_11:
	s_cmp_lg_u32 s6, s4
	s_cbranch_scc0 .LBB7_15
; %bb.12:
	s_add_i32 s1, s24, s22
	s_lshl_b32 s1, s1, 5
	s_add_i32 s2, s1, s15
	s_mov_b32 s3, s0
	s_lshl_b64 s[2:3], s[2:3], 3
	s_add_u32 s8, s18, s2
	s_mul_hi_u32 s1, s4, s12
	s_addc_u32 s9, s19, s3
	s_add_i32 s1, s1, s4
	s_lshr_b32 s1, s1, s13
	s_mul_i32 s2, s1, s14
	s_cmp_eq_u32 s2, s4
	s_cselect_b64 s[2:3], -1, 0
	s_cmp_lt_u32 s1, s7
	s_cselect_b64 s[26:27], -1, 0
	s_or_b64 s[26:27], s[26:27], s[2:3]
	s_mov_b64 s[2:3], -1
	s_and_b64 vcc, exec, s[26:27]
	s_mov_b32 s1, s24
	s_mov_b32 s25, s6
	s_cbranch_vccnz .LBB7_14
; %bb.13:
	s_add_i32 s1, s24, -1
	s_mov_b64 s[2:3], 0
	s_mov_b32 s25, s4
.LBB7_14:
	v_lshl_add_u32 v4, s24, 11, v6
	v_ashrrev_i32_e32 v5, 31, v4
	v_lshl_add_u64 v[4:5], v[4:5], 2, s[16:17]
	global_load_dword v5, v[4:5], off
	s_load_dwordx2 s[4:5], s[8:9], 0x0
	v_max_f32_e32 v4, v9, v9
	s_waitcnt lgkmcnt(0)
	v_max_f32_e64 v10, s4, s4
	v_max_f32_e32 v10, v4, v10
	v_sub_f32_e32 v11, v9, v10
	v_sub_f32_e32 v13, s4, v10
	v_mul_f32_e32 v4, 0x3fb8aa3b, v11
	v_mul_f32_e32 v12, 0x3fb8aa3b, v13
	v_fma_f32 v14, v11, s10, -v4
	v_rndne_f32_e32 v15, v4
	v_fma_f32 v16, v13, s10, -v12
	v_rndne_f32_e32 v17, v12
	v_fmac_f32_e32 v14, 0x32a5705f, v11
	v_sub_f32_e32 v4, v4, v15
	v_fmac_f32_e32 v16, 0x32a5705f, v13
	v_sub_f32_e32 v12, v12, v17
	v_add_f32_e32 v4, v4, v14
	v_cvt_i32_f32_e32 v15, v15
	v_add_f32_e32 v12, v12, v16
	v_exp_f32_e32 v14, v4
	v_cvt_i32_f32_e32 v17, v17
	v_exp_f32_e32 v12, v12
	v_cmp_ngt_f32_e32 vcc, s20, v11
	v_ldexp_f32 v14, v14, v15
	v_mov_b32_e32 v4, s5
	v_ldexp_f32 v12, v12, v17
	v_cndmask_b32_e32 v14, 0, v14, vcc
	v_cmp_ngt_f32_e32 vcc, s20, v13
	s_nop 1
	v_cndmask_b32_e32 v12, 0, v12, vcc
	v_cmp_nlt_f32_e32 vcc, s21, v11
	s_nop 1
	v_cndmask_b32_e32 v14, v8, v14, vcc
	v_cmp_nlt_f32_e32 vcc, s21, v13
	s_nop 1
	v_cndmask_b32_e32 v15, v8, v12, vcc
	v_cmp_le_f32_e32 vcc, s23, v11
	s_nop 1
	v_cndmask_b32_e32 v12, 0, v14, vcc
	v_cmp_le_f32_e32 vcc, s23, v13
	s_nop 1
	v_cndmask_b32_e32 v14, 0, v15, vcc
	s_waitcnt vmcnt(0)
	v_pk_mul_f32 v[4:5], v[4:5], v[14:15] op_sel_hi:[1,0]
	s_nop 0
	v_pk_fma_f32 v[4:5], v[0:1], v[12:13], v[4:5] op_sel_hi:[1,0,1]
	s_cbranch_execz .LBB7_16
	s_branch .LBB7_17
.LBB7_15:
                                        ; implicit-def: $vgpr4_vgpr5
                                        ; implicit-def: $sgpr2_sgpr3
                                        ; implicit-def: $vgpr10
                                        ; implicit-def: $sgpr1
                                        ; implicit-def: $sgpr25
.LBB7_16:
	s_add_i32 s1, s24, -1
	s_mov_b64 s[2:3], 0
	s_mov_b32 s25, s6
	v_mov_b32_e32 v10, v9
	s_waitcnt vmcnt(0)
	v_mov_b64_e32 v[4:5], v[0:1]
.LBB7_17:
	s_andn2_b64 vcc, exec, s[2:3]
	s_cbranch_vccz .LBB7_22
; %bb.18:
	s_mov_b32 s6, s25
	s_mov_b32 s24, s1
	v_mov_b32_e32 v9, v10
	s_waitcnt vmcnt(0)
	v_mov_b64_e32 v[0:1], v[4:5]
	s_mul_hi_i32 s1, s24, s11
	s_cmp_lg_u64 s[0:1], 0
	s_mul_i32 s8, s24, s11
	s_cbranch_scc1 .LBB7_9
.LBB7_19:
                                        ; implicit-def: $sgpr4_sgpr5
	s_branch .LBB7_10
.LBB7_20:
                                        ; implicit-def: $sgpr6_sgpr7
	s_load_dwordx4 s[12:15], s[0:1], 0x44
	s_branch .LBB7_2
.LBB7_21:
                                        ; implicit-def: $sgpr18_sgpr19
	s_branch .LBB7_5
.LBB7_22:
	v_div_scale_f32 v0, s[0:1], v4, v4, v5
	s_waitcnt vmcnt(0)
	v_rcp_f32_e32 v1, v0
	v_div_scale_f32 v6, vcc, v5, v4, v5
	v_fma_f32 v7, -v0, v1, 1.0
	v_fmac_f32_e32 v1, v7, v1
	v_mul_f32_e32 v7, v6, v1
	v_fma_f32 v8, -v0, v7, v6
	v_fmac_f32_e32 v7, v8, v1
	v_fma_f32 v0, -v0, v7, v6
	v_div_fmas_f32 v0, v0, v1, v7
	v_div_fixup_f32 v0, v0, v4, v5
	global_store_dword v[2:3], v0, off
.LBB7_23:
	s_endpgm
	.section	.rodata,"a",@progbits
	.p2align	6, 0x0
	.amdhsa_kernel _ZL33flash_attn_stream_k_fixup_generalILi64ELi4ELi8EEvPfPK15HIP_vector_typeIfLj2EEiiiiS1_IjLj3EES5_S5_S5_
		.amdhsa_group_segment_fixed_size 0
		.amdhsa_private_segment_fixed_size 0
		.amdhsa_kernarg_size 336
		.amdhsa_user_sgpr_count 2
		.amdhsa_user_sgpr_dispatch_ptr 0
		.amdhsa_user_sgpr_queue_ptr 0
		.amdhsa_user_sgpr_kernarg_segment_ptr 1
		.amdhsa_user_sgpr_dispatch_id 0
		.amdhsa_user_sgpr_kernarg_preload_length 0
		.amdhsa_user_sgpr_kernarg_preload_offset 0
		.amdhsa_user_sgpr_private_segment_size 0
		.amdhsa_uses_dynamic_stack 0
		.amdhsa_enable_private_segment 0
		.amdhsa_system_sgpr_workgroup_id_x 1
		.amdhsa_system_sgpr_workgroup_id_y 1
		.amdhsa_system_sgpr_workgroup_id_z 1
		.amdhsa_system_sgpr_workgroup_info 0
		.amdhsa_system_vgpr_workitem_id 0
		.amdhsa_next_free_vgpr 18
		.amdhsa_next_free_sgpr 36
		.amdhsa_accum_offset 20
		.amdhsa_reserve_vcc 1
		.amdhsa_float_round_mode_32 0
		.amdhsa_float_round_mode_16_64 0
		.amdhsa_float_denorm_mode_32 3
		.amdhsa_float_denorm_mode_16_64 3
		.amdhsa_dx10_clamp 1
		.amdhsa_ieee_mode 1
		.amdhsa_fp16_overflow 0
		.amdhsa_tg_split 0
		.amdhsa_exception_fp_ieee_invalid_op 0
		.amdhsa_exception_fp_denorm_src 0
		.amdhsa_exception_fp_ieee_div_zero 0
		.amdhsa_exception_fp_ieee_overflow 0
		.amdhsa_exception_fp_ieee_underflow 0
		.amdhsa_exception_fp_ieee_inexact 0
		.amdhsa_exception_int_div_zero 0
	.end_amdhsa_kernel
	.section	.text._ZL33flash_attn_stream_k_fixup_generalILi64ELi4ELi8EEvPfPK15HIP_vector_typeIfLj2EEiiiiS1_IjLj3EES5_S5_S5_,"axG",@progbits,_ZL33flash_attn_stream_k_fixup_generalILi64ELi4ELi8EEvPfPK15HIP_vector_typeIfLj2EEiiiiS1_IjLj3EES5_S5_S5_,comdat
.Lfunc_end7:
	.size	_ZL33flash_attn_stream_k_fixup_generalILi64ELi4ELi8EEvPfPK15HIP_vector_typeIfLj2EEiiiiS1_IjLj3EES5_S5_S5_, .Lfunc_end7-_ZL33flash_attn_stream_k_fixup_generalILi64ELi4ELi8EEvPfPK15HIP_vector_typeIfLj2EEiiiiS1_IjLj3EES5_S5_S5_
                                        ; -- End function
	.set _ZL33flash_attn_stream_k_fixup_generalILi64ELi4ELi8EEvPfPK15HIP_vector_typeIfLj2EEiiiiS1_IjLj3EES5_S5_S5_.num_vgpr, 18
	.set _ZL33flash_attn_stream_k_fixup_generalILi64ELi4ELi8EEvPfPK15HIP_vector_typeIfLj2EEiiiiS1_IjLj3EES5_S5_S5_.num_agpr, 0
	.set _ZL33flash_attn_stream_k_fixup_generalILi64ELi4ELi8EEvPfPK15HIP_vector_typeIfLj2EEiiiiS1_IjLj3EES5_S5_S5_.numbered_sgpr, 36
	.set _ZL33flash_attn_stream_k_fixup_generalILi64ELi4ELi8EEvPfPK15HIP_vector_typeIfLj2EEiiiiS1_IjLj3EES5_S5_S5_.num_named_barrier, 0
	.set _ZL33flash_attn_stream_k_fixup_generalILi64ELi4ELi8EEvPfPK15HIP_vector_typeIfLj2EEiiiiS1_IjLj3EES5_S5_S5_.private_seg_size, 0
	.set _ZL33flash_attn_stream_k_fixup_generalILi64ELi4ELi8EEvPfPK15HIP_vector_typeIfLj2EEiiiiS1_IjLj3EES5_S5_S5_.uses_vcc, 1
	.set _ZL33flash_attn_stream_k_fixup_generalILi64ELi4ELi8EEvPfPK15HIP_vector_typeIfLj2EEiiiiS1_IjLj3EES5_S5_S5_.uses_flat_scratch, 0
	.set _ZL33flash_attn_stream_k_fixup_generalILi64ELi4ELi8EEvPfPK15HIP_vector_typeIfLj2EEiiiiS1_IjLj3EES5_S5_S5_.has_dyn_sized_stack, 0
	.set _ZL33flash_attn_stream_k_fixup_generalILi64ELi4ELi8EEvPfPK15HIP_vector_typeIfLj2EEiiiiS1_IjLj3EES5_S5_S5_.has_recursion, 0
	.set _ZL33flash_attn_stream_k_fixup_generalILi64ELi4ELi8EEvPfPK15HIP_vector_typeIfLj2EEiiiiS1_IjLj3EES5_S5_S5_.has_indirect_call, 0
	.section	.AMDGPU.csdata,"",@progbits
; Kernel info:
; codeLenInByte = 2940
; TotalNumSgprs: 42
; NumVgprs: 18
; NumAgprs: 0
; TotalNumVgprs: 18
; ScratchSize: 0
; MemoryBound: 0
; FloatMode: 240
; IeeeMode: 1
; LDSByteSize: 0 bytes/workgroup (compile time only)
; SGPRBlocks: 5
; VGPRBlocks: 2
; NumSGPRsForWavesPerEU: 42
; NumVGPRsForWavesPerEU: 18
; AccumOffset: 20
; Occupancy: 8
; WaveLimiterHint : 0
; COMPUTE_PGM_RSRC2:SCRATCH_EN: 0
; COMPUTE_PGM_RSRC2:USER_SGPR: 2
; COMPUTE_PGM_RSRC2:TRAP_HANDLER: 0
; COMPUTE_PGM_RSRC2:TGID_X_EN: 1
; COMPUTE_PGM_RSRC2:TGID_Y_EN: 1
; COMPUTE_PGM_RSRC2:TGID_Z_EN: 1
; COMPUTE_PGM_RSRC2:TIDIG_COMP_CNT: 0
; COMPUTE_PGM_RSRC3_GFX90A:ACCUM_OFFSET: 4
; COMPUTE_PGM_RSRC3_GFX90A:TG_SPLIT: 0
	.section	.text._ZL26flash_attn_combine_resultsILi64EEvPKfPK15HIP_vector_typeIfLj2EEPfi,"axG",@progbits,_ZL26flash_attn_combine_resultsILi64EEvPKfPK15HIP_vector_typeIfLj2EEPfi,comdat
	.globl	_ZL26flash_attn_combine_resultsILi64EEvPKfPK15HIP_vector_typeIfLj2EEPfi ; -- Begin function _ZL26flash_attn_combine_resultsILi64EEvPKfPK15HIP_vector_typeIfLj2EEPfi
	.p2align	8
	.type	_ZL26flash_attn_combine_resultsILi64EEvPKfPK15HIP_vector_typeIfLj2EEPfi,@function
_ZL26flash_attn_combine_resultsILi64EEvPKfPK15HIP_vector_typeIfLj2EEPfi: ; @_ZL26flash_attn_combine_resultsILi64EEvPKfPK15HIP_vector_typeIfLj2EEPfi
; %bb.0:
	s_load_dwordx2 s[6:7], s[0:1], 0x20
	s_load_dword s19, s[0:1], 0x18
	s_load_dwordx4 s[8:11], s[0:1], 0x0
	s_load_dwordx2 s[14:15], s[0:1], 0x10
	s_waitcnt lgkmcnt(0)
	s_mul_i32 s0, s6, s4
	s_add_i32 s0, s0, s2
	s_mul_i32 s18, s0, s7
	s_add_i32 s18, s18, s3
	s_lshl_b32 s20, s19, 1
	s_mul_i32 s2, s18, s19
	v_cmp_gt_i32_e32 vcc, s20, v0
	s_and_saveexec_b64 s[0:1], vcc
	s_cbranch_execz .LBB8_13
; %bb.1:
	v_xad_u32 v1, v0, -1, s20
	s_ashr_i32 s3, s2, 31
	v_cmp_lt_u32_e32 vcc, 63, v1
	s_mov_b64 s[6:7], -1
	v_mov_b32_e32 v2, v0
	s_and_saveexec_b64 s[4:5], vcc
	s_cbranch_execz .LBB8_10
; %bb.2:
	v_lshrrev_b32_e32 v6, 6, v1
	s_lshl_b64 s[6:7], s[2:3], 3
	v_add_u32_e32 v2, -1, v6
	s_add_u32 s6, s10, s6
	v_or_b32_e32 v1, 64, v0
	v_lshrrev_b32_e32 v3, 1, v2
	s_addc_u32 s7, s11, s7
	s_mov_b32 s21, 0
	v_add_u32_e32 v7, 1, v3
	v_cmp_lt_u32_e32 vcc, 13, v2
	v_mov_b32_e32 v4, 0
	v_mov_b64_e32 v[2:3], v[0:1]
	s_and_saveexec_b64 s[12:13], vcc
	s_cbranch_execz .LBB8_6
; %bb.3:
	v_and_b32_e32 v8, -8, v7
	v_lshl_add_u32 v9, v0, 2, 0
	s_mov_b64 s[16:17], 0
	v_mov_b32_e32 v5, 0
	v_mov_b64_e32 v[2:3], v[0:1]
.LBB8_4:                                ; =>This Inner Loop Header: Depth=1
	v_mov_b32_e32 v4, v2
	v_lshl_add_u64 v[24:25], v[4:5], 2, s[6:7]
	v_mov_b32_e32 v4, v3
	v_add_u32_e32 v10, 0x80, v3
	v_mov_b32_e32 v11, v5
	v_lshl_add_u64 v[26:27], v[4:5], 2, s[6:7]
	v_add_u32_e32 v4, 0x80, v2
	v_lshl_add_u64 v[10:11], v[10:11], 2, s[6:7]
	global_load_dword v1, v[24:25], off
	v_lshl_add_u64 v[24:25], v[4:5], 2, s[6:7]
	v_add_u32_e32 v4, 0x100, v2
	global_load_dword v28, v[26:27], off
	global_load_dword v29, v[24:25], off
	;; [unrolled: 1-line block ×3, first 2 shown]
	v_lshl_add_u64 v[10:11], v[4:5], 2, s[6:7]
	v_add_u32_e32 v4, 0x180, v2
	v_add_u32_e32 v12, 0x100, v3
	v_mov_b32_e32 v13, v5
	v_add_u32_e32 v14, 0x180, v3
	v_mov_b32_e32 v15, v5
	v_lshl_add_u64 v[24:25], v[4:5], 2, s[6:7]
	v_add_u32_e32 v4, 0x200, v2
	v_lshl_add_u64 v[12:13], v[12:13], 2, s[6:7]
	v_lshl_add_u64 v[14:15], v[14:15], 2, s[6:7]
	global_load_dword v26, v[10:11], off
	global_load_dword v27, v[12:13], off
	;; [unrolled: 1-line block ×4, first 2 shown]
	v_lshl_add_u64 v[10:11], v[4:5], 2, s[6:7]
	v_add_u32_e32 v4, 0x280, v2
	v_add_u32_e32 v16, 0x200, v3
	v_mov_b32_e32 v17, v5
	v_add_u32_e32 v18, 0x280, v3
	v_mov_b32_e32 v19, v5
	v_lshl_add_u64 v[12:13], v[4:5], 2, s[6:7]
	v_add_u32_e32 v4, 0x300, v2
	v_add_u32_e32 v20, 0x300, v3
	v_mov_b32_e32 v21, v5
	v_add_u32_e32 v22, 0x380, v3
	v_mov_b32_e32 v23, v5
	v_lshl_add_u64 v[16:17], v[16:17], 2, s[6:7]
	v_lshl_add_u64 v[18:19], v[18:19], 2, s[6:7]
	global_load_dword v14, v[10:11], off
	global_load_dword v15, v[16:17], off
	;; [unrolled: 1-line block ×4, first 2 shown]
	v_lshl_add_u64 v[10:11], v[4:5], 2, s[6:7]
	v_add_u32_e32 v4, 0x380, v2
	v_lshl_add_u64 v[20:21], v[20:21], 2, s[6:7]
	v_lshl_add_u64 v[22:23], v[22:23], 2, s[6:7]
	;; [unrolled: 1-line block ×3, first 2 shown]
	global_load_dword v16, v[10:11], off
	global_load_dword v17, v[20:21], off
	;; [unrolled: 1-line block ×4, first 2 shown]
	v_add_u32_e32 v8, -8, v8
	s_add_i32 s21, s21, 16
	v_cmp_eq_u32_e32 vcc, 0, v8
	v_add_u32_e32 v3, 0x400, v3
	v_mov_b32_e32 v4, s21
	s_or_b64 s[16:17], vcc, s[16:17]
	v_add_u32_e32 v2, 0x400, v2
	s_waitcnt vmcnt(14)
	ds_write2st64_b32 v9, v1, v28 offset1:1
	s_waitcnt vmcnt(12)
	ds_write2st64_b32 v9, v29, v30 offset0:2 offset1:3
	s_waitcnt vmcnt(10)
	ds_write2st64_b32 v9, v26, v27 offset0:4 offset1:5
	;; [unrolled: 2-line block ×7, first 2 shown]
	v_add_u32_e32 v9, 0x1000, v9
	s_andn2_b64 exec, exec, s[16:17]
	s_cbranch_execnz .LBB8_4
; %bb.5:
	s_or_b64 exec, exec, s[16:17]
.LBB8_6:
	s_or_b64 exec, exec, s[12:13]
	v_and_b32_e32 v1, 7, v7
	v_cmp_ne_u32_e32 vcc, 0, v1
	s_and_saveexec_b64 s[12:13], vcc
	s_cbranch_execz .LBB8_9
; %bb.7:
	v_lshlrev_b32_e32 v5, 2, v0
	v_lshl_or_b32 v4, v4, 8, v5
	v_add_u32_e32 v7, 0, v4
	s_mov_b64 s[16:17], 0
	v_mov_b32_e32 v5, 0
.LBB8_8:                                ; =>This Inner Loop Header: Depth=1
	v_mov_b32_e32 v4, v2
	v_lshl_add_u64 v[8:9], v[4:5], 2, s[6:7]
	v_mov_b32_e32 v4, v3
	v_lshl_add_u64 v[10:11], v[4:5], 2, s[6:7]
	global_load_dword v4, v[8:9], off
	global_load_dword v12, v[10:11], off
	v_add_u32_e32 v1, -1, v1
	v_cmp_eq_u32_e32 vcc, 0, v1
	v_add_u32_e32 v2, 0x80, v2
	v_add_u32_e32 v3, 0x80, v3
	s_or_b64 s[16:17], vcc, s[16:17]
	s_waitcnt vmcnt(0)
	ds_write2st64_b32 v7, v4, v12 offset1:1
	v_add_u32_e32 v7, 0x200, v7
	s_andn2_b64 exec, exec, s[16:17]
	s_cbranch_execnz .LBB8_8
.LBB8_9:
	s_or_b64 exec, exec, s[12:13]
	v_add_u32_e32 v1, 1, v6
	v_and_b32_e32 v3, 0x7fffffe, v1
	v_cmp_ne_u32_e32 vcc, v1, v3
	v_lshl_or_b32 v2, v3, 6, v0
	s_orn2_b64 s[6:7], vcc, exec
.LBB8_10:
	s_or_b64 exec, exec, s[4:5]
	s_and_b64 exec, exec, s[6:7]
	s_cbranch_execz .LBB8_13
; %bb.11:
	s_lshl_b64 s[4:5], s[2:3], 3
	s_add_u32 s4, s10, s4
	v_mov_b32_e32 v3, 0
	s_addc_u32 s5, s11, s5
	v_lshl_add_u64 v[4:5], v[2:3], 2, s[4:5]
	v_lshl_add_u32 v1, v2, 2, 0
	s_mov_b64 s[4:5], 0
	s_mov_b64 s[6:7], 0x100
.LBB8_12:                               ; =>This Inner Loop Header: Depth=1
	global_load_dword v3, v[4:5], off
	v_add_u32_e32 v2, 64, v2
	v_cmp_le_i32_e32 vcc, s20, v2
	v_lshl_add_u64 v[4:5], v[4:5], 0, s[6:7]
	s_or_b64 s[4:5], vcc, s[4:5]
	s_waitcnt vmcnt(0)
	ds_write_b32 v1, v3
	v_add_u32_e32 v1, 0x100, v1
	s_andn2_b64 exec, exec, s[4:5]
	s_cbranch_execnz .LBB8_12
.LBB8_13:
	s_or_b64 exec, exec, s[0:1]
	v_mov_b32_e32 v1, 0
	s_waitcnt lgkmcnt(0)
	; wave barrier
	ds_read_b32 v1, v1
	s_cmp_lt_i32 s19, 2
	s_cbranch_scc1 .LBB8_21
; %bb.14:
	s_cmp_eq_u32 s19, 2
	s_cbranch_scc1 .LBB8_18
; %bb.15:
	s_add_i32 s3, s19, -1
	s_and_b32 s4, s3, -2
	s_add_i32 s6, 0, 8
	s_mov_b32 s5, 2
	s_waitcnt lgkmcnt(0)
	v_mov_b32_e32 v4, v1
.LBB8_16:                               ; =>This Inner Loop Header: Depth=1
	v_mov_b32_e32 v2, v1
	v_mov_b32_e32 v1, s6
	;; [unrolled: 1-line block ×3, first 2 shown]
	ds_read2_b32 v[4:5], v1 offset1:2
	s_cmp_lg_u32 s4, s5
	s_cselect_b64 s[10:11], -1, 0
	v_max_f32_e32 v1, v3, v3
	v_max_f32_e32 v6, v2, v2
	s_waitcnt lgkmcnt(0)
	v_cmp_u_f32_e32 vcc, v5, v5
	v_max_f32_e32 v7, v5, v5
	v_max_f32_e32 v8, v4, v4
	v_cndmask_b32_e64 v5, 0, 1, vcc
	v_cmp_u_f32_e32 vcc, v4, v4
	v_readfirstlane_b32 s0, v5
	s_lshl_b32 s0, s0, 1
	v_cndmask_b32_e64 v9, 0, 1, vcc
	v_max_f32_e32 v4, v1, v7
	v_readfirstlane_b32 s1, v9
	s_or_b32 s0, s1, s0
	s_and_b32 s7, s0, 3
	s_cmp_lg_u32 s7, 0
	s_cselect_b64 s[0:1], -1, 0
	s_cmp_eq_u32 s7, 0
	s_cselect_b64 s[12:13], -1, 0
	s_and_b64 s[10:11], s[12:13], s[10:11]
	v_max_f32_e32 v1, v6, v8
	s_add_i32 s5, s5, 2
	s_add_i32 s6, s6, 16
	s_and_b64 vcc, exec, s[10:11]
	s_cbranch_vccnz .LBB8_16
; %bb.17:
	s_add_i32 s5, s5, -4
	s_and_b64 s[6:7], s[0:1], exec
	s_cselect_b32 s5, s5, s3
	s_or_b32 s5, s5, 1
	v_cndmask_b32_e64 v1, v1, v2, s[0:1]
	v_cndmask_b32_e64 v2, v4, v3, s[0:1]
	s_cmp_lg_u32 s3, s4
	v_max_f32_e32 v2, v2, v2
	v_max_f32_e32 v1, v1, v1
	s_cselect_b64 s[6:7], -1, 0
	v_max_f32_e32 v1, v1, v2
	s_or_b64 s[0:1], s[6:7], s[0:1]
	s_and_b64 vcc, exec, s[0:1]
	s_cbranch_vccnz .LBB8_19
	s_branch .LBB8_21
.LBB8_18:
	s_mov_b32 s5, 1
	s_cbranch_execz .LBB8_21
.LBB8_19:
	s_lshl_b32 s1, s5, 3
	s_sub_i32 s0, s19, s5
	s_add_i32 s1, s1, 0
.LBB8_20:                               ; =>This Inner Loop Header: Depth=1
	v_mov_b32_e32 v2, s1
	ds_read_b32 v2, v2
	s_waitcnt lgkmcnt(1)
	v_max_f32_e32 v1, v1, v1
	s_add_i32 s0, s0, -1
	s_add_i32 s1, s1, 8
	s_cmp_eq_u32 s0, 0
	s_waitcnt lgkmcnt(0)
	v_max_f32_e32 v2, v2, v2
	v_max_f32_e32 v1, v1, v2
	s_cbranch_scc0 .LBB8_20
.LBB8_21:
	s_cmp_lt_i32 s19, 1
	s_cbranch_scc1 .LBB8_26
; %bb.22:
	s_lshl_b32 s0, s2, 6
	s_ashr_i32 s1, s0, 31
	s_lshl_b64 s[0:1], s[0:1], 2
	s_add_u32 s16, s8, s0
	s_addc_u32 s17, s9, s1
	s_cmp_lt_u32 s19, 8
	s_cbranch_scc1 .LBB8_27
; %bb.23:
	v_mov_b32_e32 v7, 0
	s_and_b32 s20, s19, 0x7ffffff8
	v_or_b32_e32 v4, 0x1c0, v0
	s_mov_b32 s21, 0
	s_mov_b32 s22, 0x3fb8aa3b
	;; [unrolled: 1-line block ×4, first 2 shown]
	v_mov_b32_e32 v8, 0x7f800000
	s_mov_b32 s25, 0
	v_mov_b32_e32 v2, v7
	v_mov_b32_e32 v3, v7
.LBB8_24:                               ; =>This Inner Loop Header: Depth=1
	v_add_u32_e32 v6, 0xfffffe40, v4
	v_lshl_add_u64 v[26:27], v[6:7], 2, s[16:17]
	v_add_u32_e32 v6, 0xfffffe80, v4
	v_mov_b32_e32 v9, s21
	v_lshl_add_u64 v[30:31], v[6:7], 2, s[16:17]
	v_add_u32_e32 v6, 0xfffffec0, v4
	ds_read2_b64 v[10:13], v9 offset1:1
	ds_read2_b64 v[14:17], v9 offset0:2 offset1:3
	ds_read2_b64 v[18:21], v9 offset0:4 offset1:5
	;; [unrolled: 1-line block ×3, first 2 shown]
	global_load_dword v33, v[26:27], off
	global_load_dword v35, v[30:31], off
	v_lshl_add_u64 v[26:27], v[6:7], 2, s[16:17]
	v_add_u32_e32 v6, 0xffffff00, v4
	v_lshl_add_u64 v[30:31], v[6:7], 2, s[16:17]
	v_add_u32_e32 v6, 0xffffff40, v4
	global_load_dword v37, v[26:27], off
	global_load_dword v39, v[30:31], off
	v_lshl_add_u64 v[26:27], v[6:7], 2, s[16:17]
	v_add_u32_e32 v6, 0xffffff80, v4
	s_waitcnt lgkmcnt(3)
	v_mov_b32_e32 v32, v11
	v_sub_f32_e32 v9, v12, v1
	v_mov_b32_e32 v34, v13
	global_load_dword v11, v[26:27], off
	v_lshl_add_u64 v[12:13], v[6:7], 2, s[16:17]
	s_waitcnt lgkmcnt(2)
	v_mov_b32_e32 v36, v15
	v_subrev_u32_e32 v6, 64, v4
	global_load_dword v15, v[12:13], off
	v_mov_b32_e32 v5, v7
	v_lshl_add_u64 v[12:13], v[6:7], 2, s[16:17]
	v_lshl_add_u64 v[28:29], v[4:5], 2, s[16:17]
	v_sub_f32_e32 v5, v10, v1
	v_mov_b32_e32 v38, v17
	s_waitcnt lgkmcnt(1)
	v_mov_b32_e32 v10, v19
	global_load_dword v17, v[12:13], off
	global_load_dword v19, v[28:29], off
	v_sub_f32_e32 v30, v14, v1
	v_sub_f32_e32 v31, v16, v1
	;; [unrolled: 1-line block ×3, first 2 shown]
	v_mov_b32_e32 v14, v21
	s_waitcnt lgkmcnt(0)
	v_sub_f32_e32 v21, v22, v1
	v_mov_b32_e32 v16, v23
	v_sub_f32_e32 v22, v24, v1
	v_mul_f32_e32 v23, 0x3fb8aa3b, v5
	v_mov_b32_e32 v18, v25
	v_mul_f32_e32 v24, 0x3fb8aa3b, v9
	v_mul_f32_e32 v25, 0x3fb8aa3b, v30
	;; [unrolled: 1-line block ×5, first 2 shown]
	v_fma_f32 v43, v5, s22, -v23
	v_rndne_f32_e32 v44, v23
	v_sub_f32_e32 v20, v20, v1
	v_fma_f32 v45, v9, s22, -v24
	v_rndne_f32_e32 v46, v24
	v_fma_f32 v47, v30, s22, -v25
	v_rndne_f32_e32 v48, v25
	;; [unrolled: 2-line block ×5, first 2 shown]
	v_fmac_f32_e32 v43, 0x32a5705f, v5
	v_sub_f32_e32 v12, v23, v44
	v_mul_f32_e32 v26, 0x3fb8aa3b, v31
	v_mul_f32_e32 v41, 0x3fb8aa3b, v20
	v_fmac_f32_e32 v45, 0x32a5705f, v9
	v_sub_f32_e32 v23, v24, v46
	v_fmac_f32_e32 v47, 0x32a5705f, v30
	v_sub_f32_e32 v25, v25, v48
	;; [unrolled: 2-line block ×5, first 2 shown]
	v_add_f32_e32 v12, v12, v43
	v_fma_f32 v49, v31, s22, -v26
	v_rndne_f32_e32 v50, v26
	v_fma_f32 v53, v20, s22, -v41
	v_rndne_f32_e32 v54, v41
	v_cvt_i32_f32_e32 v13, v44
	v_add_f32_e32 v23, v23, v45
	v_add_f32_e32 v25, v25, v47
	;; [unrolled: 1-line block ×5, first 2 shown]
	v_exp_f32_e32 v12, v12
	v_cvt_i32_f32_e32 v24, v46
	v_cvt_i32_f32_e32 v28, v48
	v_fmac_f32_e32 v49, 0x32a5705f, v31
	v_sub_f32_e32 v26, v26, v50
	v_cvt_i32_f32_e32 v29, v50
	v_cvt_i32_f32_e32 v44, v52
	v_fmac_f32_e32 v53, 0x32a5705f, v20
	v_sub_f32_e32 v41, v41, v54
	v_cvt_i32_f32_e32 v48, v56
	v_cvt_i32_f32_e32 v50, v58
	v_exp_f32_e32 v23, v23
	v_exp_f32_e32 v25, v25
	;; [unrolled: 1-line block ×5, first 2 shown]
	v_add_f32_e32 v26, v26, v49
	v_add_f32_e32 v41, v41, v53
	v_cvt_i32_f32_e32 v46, v54
	v_exp_f32_e32 v26, v26
	v_exp_f32_e32 v41, v41
	v_ldexp_f32 v12, v12, v13
	v_cmp_ngt_f32_e64 s[12:13], s23, v5
	v_ldexp_f32 v13, v23, v24
	v_cmp_ngt_f32_e32 vcc, s23, v9
	v_ldexp_f32 v23, v25, v28
	v_ldexp_f32 v25, v27, v44
	v_ldexp_f32 v27, v42, v48
	v_cmp_ngt_f32_e64 s[8:9], s23, v21
	v_ldexp_f32 v6, v6, v50
	v_cmp_ngt_f32_e64 s[10:11], s23, v22
	v_cndmask_b32_e64 v12, 0, v12, s[12:13]
	v_cmp_nlt_f32_e64 s[12:13], s24, v5
	v_cmp_ngt_f32_e64 s[0:1], s23, v30
	v_cndmask_b32_e32 v13, 0, v13, vcc
	v_cmp_nlt_f32_e32 vcc, s24, v9
	v_cndmask_b32_e64 v27, 0, v27, s[8:9]
	v_cmp_nlt_f32_e64 s[8:9], s24, v21
	v_cndmask_b32_e64 v21, 0, v6, s[10:11]
	v_cndmask_b32_e64 v6, v8, v12, s[12:13]
	v_ldexp_f32 v24, v26, v29
	v_cmp_ngt_f32_e64 s[2:3], s23, v31
	v_cmp_ngt_f32_e64 s[4:5], s23, v40
	v_ldexp_f32 v26, v41, v46
	v_cmp_ngt_f32_e64 s[6:7], s23, v20
	v_cndmask_b32_e64 v9, 0, v23, s[0:1]
	v_cmp_nlt_f32_e64 s[0:1], s24, v30
	v_cndmask_b32_e32 v12, v8, v13, vcc
	s_waitcnt vmcnt(7)
	v_pk_fma_f32 v[2:3], v[6:7], v[32:33], v[2:3] op_sel_hi:[0,1,1]
	v_cndmask_b32_e64 v23, 0, v24, s[2:3]
	v_cmp_nlt_f32_e64 s[2:3], s24, v31
	v_cndmask_b32_e64 v24, 0, v25, s[4:5]
	v_cndmask_b32_e64 v25, 0, v26, s[6:7]
	v_cmp_nlt_f32_e64 s[6:7], s24, v20
	v_cndmask_b32_e64 v20, v8, v9, s[0:1]
	s_waitcnt vmcnt(6)
	v_pk_fma_f32 v[2:3], v[12:13], v[34:35], v[2:3] op_sel_hi:[0,1,1]
	v_cmp_nlt_f32_e64 s[4:5], s24, v40
	v_cmp_nlt_f32_e64 s[10:11], s24, v22
	v_cndmask_b32_e64 v22, v8, v23, s[2:3]
	s_waitcnt vmcnt(5)
	v_pk_fma_f32 v[2:3], v[20:21], v[36:37], v[2:3] op_sel_hi:[0,1,1]
	v_cndmask_b32_e64 v24, v8, v24, s[4:5]
	s_waitcnt vmcnt(4)
	v_pk_fma_f32 v[2:3], v[22:23], v[38:39], v[2:3] op_sel_hi:[0,1,1]
	;; [unrolled: 3-line block ×4, first 2 shown]
	s_add_i32 s25, s25, 8
	s_add_i32 s21, s21, 64
	v_cndmask_b32_e64 v30, v8, v21, s[10:11]
	s_waitcnt vmcnt(1)
	v_pk_fma_f32 v[2:3], v[28:29], v[16:17], v[2:3] op_sel_hi:[0,1,1]
	s_cmp_eq_u32 s20, s25
	v_add_u32_e32 v4, 0x200, v4
	s_waitcnt vmcnt(0)
	v_pk_fma_f32 v[2:3], v[30:31], v[18:19], v[2:3] op_sel_hi:[0,1,1]
	s_cbranch_scc0 .LBB8_24
; %bb.25:
	s_and_b32 s0, s19, 7
	s_cmp_eq_u32 s0, 0
	s_cbranch_scc0 .LBB8_28
	s_branch .LBB8_30
.LBB8_26:
	s_waitcnt lgkmcnt(0)
	v_mov_b32_e32 v1, 0x7fc00000
	s_branch .LBB8_31
.LBB8_27:
	v_mov_b32_e32 v2, 0
	s_mov_b32 s20, 0
	v_mov_b32_e32 v3, v2
	s_and_b32 s0, s19, 7
	s_cmp_eq_u32 s0, 0
	s_cbranch_scc1 .LBB8_30
.LBB8_28:
	s_lshl_b32 s1, s20, 3
	v_lshl_or_b32 v4, s20, 6, v0
	s_add_i32 s1, s1, 0
	s_mov_b32 s2, 0x3fb8aa3b
	s_mov_b32 s3, 0xc2ce8ed0
	;; [unrolled: 1-line block ×3, first 2 shown]
	v_mov_b32_e32 v6, 0x7f800000
	v_mov_b32_e32 v5, 0
.LBB8_29:                               ; =>This Inner Loop Header: Depth=1
	v_lshl_add_u64 v[8:9], v[4:5], 2, s[16:17]
	global_load_dword v9, v[8:9], off
	v_mov_b32_e32 v7, s1
	ds_read_b64 v[10:11], v7
	s_add_i32 s1, s1, 8
	s_add_i32 s0, s0, -1
	v_add_u32_e32 v4, 64, v4
	s_cmp_lg_u32 s0, 0
	s_waitcnt lgkmcnt(0)
	v_sub_f32_e32 v7, v10, v1
	v_mul_f32_e32 v8, 0x3fb8aa3b, v7
	v_fma_f32 v10, v7, s2, -v8
	v_rndne_f32_e32 v12, v8
	v_fmac_f32_e32 v10, 0x32a5705f, v7
	v_sub_f32_e32 v8, v8, v12
	v_add_f32_e32 v8, v8, v10
	v_cvt_i32_f32_e32 v12, v12
	v_exp_f32_e32 v10, v8
	v_cmp_ngt_f32_e32 vcc, s3, v7
	v_mov_b32_e32 v8, v11
	v_ldexp_f32 v10, v10, v12
	v_cndmask_b32_e32 v10, 0, v10, vcc
	v_cmp_nlt_f32_e32 vcc, s4, v7
	s_nop 1
	v_cndmask_b32_e32 v10, v6, v10, vcc
	s_waitcnt vmcnt(0)
	v_pk_fma_f32 v[2:3], v[10:11], v[8:9], v[2:3] op_sel_hi:[0,1,1]
	s_cbranch_scc1 .LBB8_29
.LBB8_30:
	s_waitcnt lgkmcnt(0)
	v_div_scale_f32 v1, s[0:1], v2, v2, v3
	v_rcp_f32_e32 v4, v1
	v_div_scale_f32 v5, vcc, v3, v2, v3
	v_fma_f32 v6, -v1, v4, 1.0
	v_fmac_f32_e32 v4, v6, v4
	v_mul_f32_e32 v6, v5, v4
	v_fma_f32 v7, -v1, v6, v5
	v_fmac_f32_e32 v6, v7, v4
	v_fma_f32 v1, -v1, v6, v5
	v_div_fmas_f32 v1, v1, v4, v6
	v_div_fixup_f32 v1, v1, v2, v3
.LBB8_31:
	s_lshl_b32 s0, s18, 6
	s_ashr_i32 s1, s0, 31
	s_lshl_b64 s[0:1], s[0:1], 2
	s_add_u32 s0, s14, s0
	s_addc_u32 s1, s15, s1
	v_lshlrev_b32_e32 v0, 2, v0
	global_store_dword v0, v1, s[0:1]
	s_endpgm
	.section	.rodata,"a",@progbits
	.p2align	6, 0x0
	.amdhsa_kernel _ZL26flash_attn_combine_resultsILi64EEvPKfPK15HIP_vector_typeIfLj2EEPfi
		.amdhsa_group_segment_fixed_size 0
		.amdhsa_private_segment_fixed_size 0
		.amdhsa_kernarg_size 288
		.amdhsa_user_sgpr_count 2
		.amdhsa_user_sgpr_dispatch_ptr 0
		.amdhsa_user_sgpr_queue_ptr 0
		.amdhsa_user_sgpr_kernarg_segment_ptr 1
		.amdhsa_user_sgpr_dispatch_id 0
		.amdhsa_user_sgpr_kernarg_preload_length 0
		.amdhsa_user_sgpr_kernarg_preload_offset 0
		.amdhsa_user_sgpr_private_segment_size 0
		.amdhsa_uses_dynamic_stack 0
		.amdhsa_enable_private_segment 0
		.amdhsa_system_sgpr_workgroup_id_x 1
		.amdhsa_system_sgpr_workgroup_id_y 1
		.amdhsa_system_sgpr_workgroup_id_z 1
		.amdhsa_system_sgpr_workgroup_info 0
		.amdhsa_system_vgpr_workitem_id 0
		.amdhsa_next_free_vgpr 59
		.amdhsa_next_free_sgpr 26
		.amdhsa_accum_offset 60
		.amdhsa_reserve_vcc 1
		.amdhsa_float_round_mode_32 0
		.amdhsa_float_round_mode_16_64 0
		.amdhsa_float_denorm_mode_32 3
		.amdhsa_float_denorm_mode_16_64 3
		.amdhsa_dx10_clamp 1
		.amdhsa_ieee_mode 1
		.amdhsa_fp16_overflow 0
		.amdhsa_tg_split 0
		.amdhsa_exception_fp_ieee_invalid_op 0
		.amdhsa_exception_fp_denorm_src 0
		.amdhsa_exception_fp_ieee_div_zero 0
		.amdhsa_exception_fp_ieee_overflow 0
		.amdhsa_exception_fp_ieee_underflow 0
		.amdhsa_exception_fp_ieee_inexact 0
		.amdhsa_exception_int_div_zero 0
	.end_amdhsa_kernel
	.section	.text._ZL26flash_attn_combine_resultsILi64EEvPKfPK15HIP_vector_typeIfLj2EEPfi,"axG",@progbits,_ZL26flash_attn_combine_resultsILi64EEvPKfPK15HIP_vector_typeIfLj2EEPfi,comdat
.Lfunc_end8:
	.size	_ZL26flash_attn_combine_resultsILi64EEvPKfPK15HIP_vector_typeIfLj2EEPfi, .Lfunc_end8-_ZL26flash_attn_combine_resultsILi64EEvPKfPK15HIP_vector_typeIfLj2EEPfi
                                        ; -- End function
	.set _ZL26flash_attn_combine_resultsILi64EEvPKfPK15HIP_vector_typeIfLj2EEPfi.num_vgpr, 59
	.set _ZL26flash_attn_combine_resultsILi64EEvPKfPK15HIP_vector_typeIfLj2EEPfi.num_agpr, 0
	.set _ZL26flash_attn_combine_resultsILi64EEvPKfPK15HIP_vector_typeIfLj2EEPfi.numbered_sgpr, 26
	.set _ZL26flash_attn_combine_resultsILi64EEvPKfPK15HIP_vector_typeIfLj2EEPfi.num_named_barrier, 0
	.set _ZL26flash_attn_combine_resultsILi64EEvPKfPK15HIP_vector_typeIfLj2EEPfi.private_seg_size, 0
	.set _ZL26flash_attn_combine_resultsILi64EEvPKfPK15HIP_vector_typeIfLj2EEPfi.uses_vcc, 1
	.set _ZL26flash_attn_combine_resultsILi64EEvPKfPK15HIP_vector_typeIfLj2EEPfi.uses_flat_scratch, 0
	.set _ZL26flash_attn_combine_resultsILi64EEvPKfPK15HIP_vector_typeIfLj2EEPfi.has_dyn_sized_stack, 0
	.set _ZL26flash_attn_combine_resultsILi64EEvPKfPK15HIP_vector_typeIfLj2EEPfi.has_recursion, 0
	.set _ZL26flash_attn_combine_resultsILi64EEvPKfPK15HIP_vector_typeIfLj2EEPfi.has_indirect_call, 0
	.section	.AMDGPU.csdata,"",@progbits
; Kernel info:
; codeLenInByte = 2900
; TotalNumSgprs: 32
; NumVgprs: 59
; NumAgprs: 0
; TotalNumVgprs: 59
; ScratchSize: 0
; MemoryBound: 0
; FloatMode: 240
; IeeeMode: 1
; LDSByteSize: 0 bytes/workgroup (compile time only)
; SGPRBlocks: 3
; VGPRBlocks: 7
; NumSGPRsForWavesPerEU: 32
; NumVGPRsForWavesPerEU: 59
; AccumOffset: 60
; Occupancy: 8
; WaveLimiterHint : 0
; COMPUTE_PGM_RSRC2:SCRATCH_EN: 0
; COMPUTE_PGM_RSRC2:USER_SGPR: 2
; COMPUTE_PGM_RSRC2:TRAP_HANDLER: 0
; COMPUTE_PGM_RSRC2:TGID_X_EN: 1
; COMPUTE_PGM_RSRC2:TGID_Y_EN: 1
; COMPUTE_PGM_RSRC2:TGID_Z_EN: 1
; COMPUTE_PGM_RSRC2:TIDIG_COMP_CNT: 0
; COMPUTE_PGM_RSRC3_GFX90A:ACCUM_OFFSET: 14
; COMPUTE_PGM_RSRC3_GFX90A:TG_SPLIT: 0
	.section	.text._ZL18flash_attn_ext_f16ILi80ELi80ELi4ELi8ELb0ELb0EEvPKcS1_S1_S1_S1_PKiPfP15HIP_vector_typeIfLj2EEffffjfiS5_IjLj3EEiiiiiiiiiiiliiliiiiil,"axG",@progbits,_ZL18flash_attn_ext_f16ILi80ELi80ELi4ELi8ELb0ELb0EEvPKcS1_S1_S1_S1_PKiPfP15HIP_vector_typeIfLj2EEffffjfiS5_IjLj3EEiiiiiiiiiiiliiliiiiil,comdat
	.globl	_ZL18flash_attn_ext_f16ILi80ELi80ELi4ELi8ELb0ELb0EEvPKcS1_S1_S1_S1_PKiPfP15HIP_vector_typeIfLj2EEffffjfiS5_IjLj3EEiiiiiiiiiiiliiliiiiil ; -- Begin function _ZL18flash_attn_ext_f16ILi80ELi80ELi4ELi8ELb0ELb0EEvPKcS1_S1_S1_S1_PKiPfP15HIP_vector_typeIfLj2EEffffjfiS5_IjLj3EEiiiiiiiiiiiliiliiiiil
	.p2align	8
	.type	_ZL18flash_attn_ext_f16ILi80ELi80ELi4ELi8ELb0ELb0EEvPKcS1_S1_S1_S1_PKiPfP15HIP_vector_typeIfLj2EEffffjfiS5_IjLj3EEiiiiiiiiiiiliiliiiiil,@function
_ZL18flash_attn_ext_f16ILi80ELi80ELi4ELi8ELb0ELb0EEvPKcS1_S1_S1_S1_PKiPfP15HIP_vector_typeIfLj2EEffffjfiS5_IjLj3EEiiiiiiiiiiiliiliiiiil: ; @_ZL18flash_attn_ext_f16ILi80ELi80ELi4ELi8ELb0ELb0EEvPKcS1_S1_S1_S1_PKiPfP15HIP_vector_typeIfLj2EEffffjfiS5_IjLj3EEiiiiiiiiiiiliiliiiiil
; %bb.0:
	s_load_dwordx2 s[4:5], s[0:1], 0x80
	s_load_dwordx4 s[20:23], s[0:1], 0x64
	s_mov_b32 s28, s2
                                        ; implicit-def: $vgpr166 : SGPR spill to VGPR lane
	s_load_dword s29, s[0:1], 0xd0
	s_mov_b32 s6, 0
	s_waitcnt lgkmcnt(0)
	s_abs_i32 s2, s5
	v_cvt_f32_u32_e32 v1, s2
	s_sub_i32 s8, 0, s2
	s_abs_i32 s7, s21
	s_xor_b32 s3, s21, s5
	v_rcp_iflag_f32_e32 v1, v1
	s_ashr_i32 s3, s3, 31
	v_mul_f32_e32 v1, 0x4f7ffffe, v1
	v_cvt_u32_f32_e32 v1, v1
	s_nop 0
	v_readfirstlane_b32 s9, v1
	s_mul_i32 s8, s8, s9
	s_mul_hi_u32 s8, s9, s8
	s_add_i32 s9, s9, s8
	s_mul_hi_u32 s8, s7, s9
	s_mul_i32 s9, s8, s2
	s_sub_i32 s7, s7, s9
	s_add_i32 s10, s8, 1
	s_sub_i32 s9, s7, s2
	s_cmp_ge_u32 s7, s2
	s_cselect_b32 s8, s10, s8
	s_cselect_b32 s7, s9, s7
	s_add_i32 s9, s8, 1
	s_cmp_ge_u32 s7, s2
	s_cselect_b32 s2, s9, s8
	s_add_i32 s4, s4, 63
	s_xor_b32 s2, s2, s3
	s_ashr_i32 s7, s4, 31
	s_sub_i32 s3, s2, s3
	s_lshr_b32 s2, s7, 26
	s_add_i32 s4, s4, s2
	s_add_i32 s2, s20, 3
	s_lshr_b32 s7, s2, 2
	s_add_i32 s2, s3, 7
	s_ashr_i32 s62, s4, 6
	s_ashr_i32 s4, s2, 31
	s_lshr_b32 s4, s4, 29
	s_add_i32 s2, s2, s4
	s_ashr_i32 s2, s2, 3
	v_writelane_b32 v166, s7, 0
	s_mul_i32 s4, s7, s62
	v_writelane_b32 v166, s4, 1
	s_mul_i32 s2, s4, s2
	;; [unrolled: 2-line block ×4, first 2 shown]
	s_ashr_i32 s10, s2, 31
	s_mul_i32 s4, s10, s28
	s_mul_hi_u32 s5, s2, s28
	s_add_i32 s7, s5, s4
	s_cmp_lg_u64 s[6:7], 0
	s_mul_i32 s6, s2, s28
	s_cbranch_scc0 .LBB9_5
; %bb.1:
	s_add_u32 s4, s29, 0
	s_addc_u32 s5, 0, 0
	s_xor_b64 s[8:9], s[4:5], 0
	v_cvt_f32_u32_e32 v1, s8
	v_cvt_f32_u32_e32 v2, s9
	s_sub_u32 s11, 0, s8
	s_subb_u32 s14, 0, s9
	v_fmamk_f32 v1, v2, 0x4f800000, v1
	v_rcp_f32_e32 v1, v1
	s_nop 0
	v_mul_f32_e32 v1, 0x5f7ffffc, v1
	v_mul_f32_e32 v2, 0x2f800000, v1
	v_trunc_f32_e32 v2, v2
	v_fmamk_f32 v1, v2, 0xcf800000, v1
	v_cvt_u32_f32_e32 v2, v2
	v_cvt_u32_f32_e32 v1, v1
	v_readfirstlane_b32 s15, v2
	v_readfirstlane_b32 s12, v1
	s_mul_i32 s13, s11, s15
	s_mul_hi_u32 s17, s11, s12
	s_mul_i32 s16, s14, s12
	s_add_i32 s13, s17, s13
	s_add_i32 s13, s13, s16
	s_mul_i32 s18, s11, s12
	s_mul_i32 s17, s12, s13
	s_mul_hi_u32 s19, s12, s18
	s_mul_hi_u32 s16, s12, s13
	s_add_u32 s17, s19, s17
	s_addc_u32 s16, 0, s16
	s_mul_hi_u32 s22, s15, s18
	s_mul_i32 s18, s15, s18
	s_add_u32 s17, s17, s18
	s_mul_hi_u32 s19, s15, s13
	s_addc_u32 s16, s16, s22
	s_addc_u32 s17, s19, 0
	s_mul_i32 s13, s15, s13
	s_add_u32 s13, s16, s13
	s_addc_u32 s16, 0, s17
	s_add_u32 s17, s12, s13
	s_cselect_b64 s[12:13], -1, 0
	s_cmp_lg_u64 s[12:13], 0
	s_addc_u32 s15, s15, s16
	s_mul_i32 s12, s11, s15
	s_mul_hi_u32 s13, s11, s17
	s_add_i32 s12, s13, s12
	s_mul_i32 s14, s14, s17
	s_add_i32 s12, s12, s14
	s_mul_i32 s11, s11, s17
	s_mul_hi_u32 s14, s15, s11
	s_mul_i32 s16, s15, s11
	s_mul_i32 s19, s17, s12
	s_mul_hi_u32 s11, s17, s11
	s_mul_hi_u32 s18, s17, s12
	s_add_u32 s11, s11, s19
	s_addc_u32 s18, 0, s18
	s_add_u32 s11, s11, s16
	s_mul_hi_u32 s13, s15, s12
	s_addc_u32 s11, s18, s14
	s_addc_u32 s13, s13, 0
	s_mul_i32 s12, s15, s12
	s_add_u32 s11, s11, s12
	s_addc_u32 s14, 0, s13
	s_add_u32 s11, s17, s11
	s_cselect_b64 s[12:13], -1, 0
	s_cmp_lg_u64 s[12:13], 0
	s_addc_u32 s16, s15, s14
	s_ashr_i32 s12, s7, 31
	s_add_u32 s14, s6, s12
	s_mov_b32 s13, s12
	s_addc_u32 s15, s7, s12
	s_xor_b64 s[14:15], s[14:15], s[12:13]
	s_mul_i32 s17, s14, s16
	s_mul_hi_u32 s18, s14, s11
	s_mul_hi_u32 s7, s14, s16
	s_add_u32 s17, s18, s17
	s_addc_u32 s7, 0, s7
	s_mul_hi_u32 s19, s15, s11
	s_mul_i32 s11, s15, s11
	s_add_u32 s11, s17, s11
	s_mul_hi_u32 s18, s15, s16
	s_addc_u32 s7, s7, s19
	s_addc_u32 s11, s18, 0
	s_mul_i32 s16, s15, s16
	s_add_u32 s7, s7, s16
	s_addc_u32 s11, 0, s11
	s_mul_i32 s16, s8, s11
	s_mul_hi_u32 s17, s8, s7
	s_add_i32 s16, s17, s16
	s_mul_i32 s17, s9, s7
	s_add_i32 s22, s16, s17
	s_sub_i32 s18, s15, s22
	s_mul_i32 s16, s8, s7
	s_sub_u32 s14, s14, s16
	s_cselect_b64 s[16:17], -1, 0
	s_cmp_lg_u64 s[16:17], 0
	s_subb_u32 s24, s18, s9
	s_sub_u32 s25, s14, s8
	s_cselect_b64 s[18:19], -1, 0
	s_cmp_lg_u64 s[18:19], 0
	s_subb_u32 s18, s24, 0
	s_cmp_ge_u32 s18, s9
	s_cselect_b32 s19, -1, 0
	s_cmp_ge_u32 s25, s8
	s_cselect_b32 s24, -1, 0
	s_cmp_eq_u32 s18, s9
	s_cselect_b32 s18, s24, s19
	s_add_u32 s19, s7, 1
	s_addc_u32 s24, s11, 0
	s_add_u32 s25, s7, 2
	s_addc_u32 s26, s11, 0
	s_cmp_lg_u32 s18, 0
	s_cselect_b32 s18, s25, s19
	s_cselect_b32 s19, s26, s24
	s_cmp_lg_u64 s[16:17], 0
	s_subb_u32 s15, s15, s22
	s_cmp_ge_u32 s15, s9
	s_cselect_b32 s16, -1, 0
	s_cmp_ge_u32 s14, s8
	s_cselect_b32 s8, -1, 0
	s_cmp_eq_u32 s15, s9
	s_cselect_b32 s8, s8, s16
	s_cmp_lg_u32 s8, 0
	s_cselect_b32 s9, s19, s11
	s_cselect_b32 s8, s18, s7
	s_xor_b64 s[12:13], s[12:13], 0
	s_xor_b64 s[8:9], s[8:9], s[12:13]
	s_sub_u32 s60, s8, s12
	s_load_dwordx2 s[58:59], s[0:1], 0x74
	v_cvt_f32_u32_e32 v1, s29
	s_cbranch_execnz .LBB9_3
.LBB9_2:
	v_rcp_iflag_f32_e32 v2, v1
	s_sub_i32 s4, 0, s29
	v_mul_f32_e32 v2, 0x4f7ffffe, v2
	v_cvt_u32_f32_e32 v2, v2
	s_nop 0
	v_readfirstlane_b32 s5, v2
	s_mul_i32 s4, s4, s5
	s_mul_hi_u32 s4, s5, s4
	s_add_i32 s5, s5, s4
	s_mul_hi_u32 s4, s6, s5
	s_mul_i32 s7, s4, s29
	s_sub_i32 s6, s6, s7
	s_add_i32 s5, s4, 1
	s_sub_i32 s7, s6, s29
	s_cmp_ge_u32 s6, s29
	s_cselect_b32 s4, s5, s4
	s_cselect_b32 s6, s7, s6
	s_add_i32 s5, s4, 1
	s_cmp_ge_u32 s6, s29
	s_cselect_b32 s60, s5, s4
.LBB9_3:
	s_add_i32 s4, s28, 1
	s_mul_i32 s5, s10, s4
	s_mul_hi_u32 s6, s2, s4
	s_add_i32 s9, s6, s5
	s_mov_b32 s8, 0
	s_cmp_lg_u64 s[8:9], 0
	s_mul_i32 s2, s2, s4
	s_cbranch_scc0 .LBB9_6
; %bb.4:
	s_add_u32 s4, s29, 0
	s_addc_u32 s5, 0, 0
	s_xor_b64 s[6:7], s[4:5], 0
	v_cvt_f32_u32_e32 v2, s6
	v_cvt_f32_u32_e32 v3, s7
	s_sub_u32 s8, 0, s6
	s_subb_u32 s12, 0, s7
	s_mov_b64 s[4:5], 0
	v_fmamk_f32 v2, v3, 0x4f800000, v2
	v_rcp_f32_e32 v2, v2
	s_nop 0
	v_mul_f32_e32 v2, 0x5f7ffffc, v2
	v_mul_f32_e32 v3, 0x2f800000, v2
	v_trunc_f32_e32 v3, v3
	v_fmamk_f32 v2, v3, 0xcf800000, v2
	v_cvt_u32_f32_e32 v3, v3
	v_cvt_u32_f32_e32 v2, v2
	v_readfirstlane_b32 s13, v3
	v_readfirstlane_b32 s10, v2
	s_mul_i32 s11, s8, s13
	s_mul_hi_u32 s15, s8, s10
	s_mul_i32 s14, s12, s10
	s_add_i32 s11, s15, s11
	s_add_i32 s11, s11, s14
	s_mul_i32 s16, s8, s10
	s_mul_i32 s15, s10, s11
	s_mul_hi_u32 s17, s10, s16
	s_mul_hi_u32 s14, s10, s11
	s_add_u32 s15, s17, s15
	s_addc_u32 s14, 0, s14
	s_mul_hi_u32 s18, s13, s16
	s_mul_i32 s16, s13, s16
	s_add_u32 s15, s15, s16
	s_mul_hi_u32 s17, s13, s11
	s_addc_u32 s14, s14, s18
	s_addc_u32 s15, s17, 0
	s_mul_i32 s11, s13, s11
	s_add_u32 s11, s14, s11
	s_addc_u32 s14, 0, s15
	s_add_u32 s15, s10, s11
	s_cselect_b64 s[10:11], -1, 0
	s_cmp_lg_u64 s[10:11], 0
	s_addc_u32 s13, s13, s14
	s_mul_i32 s10, s8, s13
	s_mul_hi_u32 s11, s8, s15
	s_add_i32 s10, s11, s10
	s_mul_i32 s12, s12, s15
	s_add_i32 s10, s10, s12
	s_mul_i32 s8, s8, s15
	s_mul_hi_u32 s12, s13, s8
	s_mul_i32 s14, s13, s8
	s_mul_i32 s17, s15, s10
	s_mul_hi_u32 s8, s15, s8
	s_mul_hi_u32 s16, s15, s10
	s_add_u32 s8, s8, s17
	s_addc_u32 s16, 0, s16
	s_add_u32 s8, s8, s14
	s_mul_hi_u32 s11, s13, s10
	s_addc_u32 s8, s16, s12
	s_addc_u32 s11, s11, 0
	s_mul_i32 s10, s13, s10
	s_add_u32 s8, s8, s10
	s_addc_u32 s12, 0, s11
	s_add_u32 s14, s15, s8
	s_cselect_b64 s[10:11], -1, 0
	s_cmp_lg_u64 s[10:11], 0
	s_addc_u32 s12, s13, s12
	s_ashr_i32 s10, s9, 31
	s_add_u32 s8, s2, s10
	s_mov_b32 s11, s10
	s_addc_u32 s9, s9, s10
	s_xor_b64 s[8:9], s[8:9], s[10:11]
	s_mul_i32 s15, s8, s12
	s_mul_hi_u32 s16, s8, s14
	s_mul_hi_u32 s13, s8, s12
	s_add_u32 s15, s16, s15
	s_addc_u32 s13, 0, s13
	s_mul_hi_u32 s17, s9, s14
	s_mul_i32 s14, s9, s14
	s_add_u32 s14, s15, s14
	s_mul_hi_u32 s16, s9, s12
	s_addc_u32 s13, s13, s17
	s_addc_u32 s14, s16, 0
	s_mul_i32 s12, s9, s12
	s_add_u32 s16, s13, s12
	s_addc_u32 s17, 0, s14
	s_mul_i32 s12, s6, s17
	s_mul_hi_u32 s13, s6, s16
	s_add_i32 s12, s13, s12
	s_mul_i32 s13, s7, s16
	s_add_i32 s18, s12, s13
	s_sub_i32 s14, s9, s18
	s_mul_i32 s12, s6, s16
	s_sub_u32 s8, s8, s12
	s_cselect_b64 s[12:13], -1, 0
	s_cmp_lg_u64 s[12:13], 0
	s_subb_u32 s19, s14, s7
	s_sub_u32 s22, s8, s6
	s_cselect_b64 s[14:15], -1, 0
	s_cmp_lg_u64 s[14:15], 0
	s_subb_u32 s14, s19, 0
	s_cmp_ge_u32 s14, s7
	s_cselect_b32 s15, -1, 0
	s_cmp_ge_u32 s22, s6
	s_cselect_b32 s19, -1, 0
	s_cmp_eq_u32 s14, s7
	s_cselect_b32 s14, s19, s15
	s_add_u32 s15, s16, 1
	s_addc_u32 s19, s17, 0
	s_add_u32 s22, s16, 2
	s_addc_u32 s24, s17, 0
	s_cmp_lg_u32 s14, 0
	s_cselect_b32 s14, s22, s15
	s_cselect_b32 s15, s24, s19
	s_cmp_lg_u64 s[12:13], 0
	s_subb_u32 s9, s9, s18
	s_cmp_ge_u32 s9, s7
	s_cselect_b32 s12, -1, 0
	s_cmp_ge_u32 s8, s6
	s_cselect_b32 s6, -1, 0
	s_cmp_eq_u32 s9, s7
	s_cselect_b32 s6, s6, s12
	s_cmp_lg_u32 s6, 0
	s_cselect_b32 s7, s15, s17
	s_cselect_b32 s6, s14, s16
	s_xor_b64 s[8:9], s[10:11], 0
	s_xor_b64 s[6:7], s[6:7], s[8:9]
	s_sub_u32 s64, s6, s8
	s_branch .LBB9_7
.LBB9_5:
                                        ; implicit-def: $sgpr60_sgpr61
	s_load_dwordx2 s[58:59], s[0:1], 0x74
	v_cvt_f32_u32_e32 v1, s29
	s_branch .LBB9_2
.LBB9_6:
	s_mov_b64 s[4:5], -1
                                        ; implicit-def: $sgpr64_sgpr65
.LBB9_7:
	s_load_dwordx2 s[6:7], s[0:1], 0x5c
	s_andn2_b64 vcc, exec, s[4:5]
	s_waitcnt lgkmcnt(0)
	v_writelane_b32 v166, s6, 4
	s_nop 1
	v_writelane_b32 v166, s7, 5
	s_cbranch_vccnz .LBB9_9
; %bb.8:
	v_rcp_iflag_f32_e32 v1, v1
	s_sub_i32 s4, 0, s29
	v_mul_f32_e32 v1, 0x4f7ffffe, v1
	v_cvt_u32_f32_e32 v1, v1
	s_nop 0
	v_readfirstlane_b32 s5, v1
	s_mul_i32 s4, s4, s5
	s_mul_hi_u32 s4, s5, s4
	s_add_i32 s5, s5, s4
	s_mul_hi_u32 s4, s2, s5
	s_mul_i32 s6, s4, s29
	s_sub_i32 s2, s2, s6
	s_add_i32 s5, s4, 1
	s_sub_i32 s6, s2, s29
	s_cmp_ge_u32 s2, s29
	s_cselect_b32 s4, s5, s4
	s_cselect_b32 s2, s6, s2
	s_add_i32 s5, s4, 1
	s_cmp_ge_u32 s2, s29
	s_cselect_b32 s64, s5, s4
.LBB9_9:
	s_abs_i32 s65, s62
	v_cvt_f32_u32_e32 v1, s65
	s_load_dwordx16 s[36:51], s[0:1], 0x0
	s_load_dword s2, s[0:1], 0x40
	s_load_dwordx2 s[4:5], s[0:1], 0x8c
	s_load_dwordx4 s[24:27], s[0:1], 0x98
	s_load_dwordx2 s[52:53], s[0:1], 0xa8
	s_load_dwordx2 s[14:15], s[0:1], 0xb8
	;; [unrolled: 1-line block ×3, first 2 shown]
	s_waitcnt lgkmcnt(0)
	s_mov_b32 s1, s5
	s_ashr_i32 s30, s4, 2
	v_rcp_iflag_f32_e32 v1, v1
	s_sub_i32 s4, 0, s65
	v_writelane_b32 v166, s0, 6
	s_ashr_i32 s61, s23, 3
	v_mul_f32_e32 v1, 0x4f7ffffe, v1
	v_cvt_u32_f32_e32 v1, v1
	v_writelane_b32 v166, s1, 7
	s_ashr_i32 s1, s62, 31
	v_writelane_b32 v166, s1, 8
	v_readfirstlane_b32 s56, v1
	s_mul_i32 s4, s4, s56
	s_mul_hi_u32 s4, s56, s4
	s_abs_i32 s1, s60
	s_add_i32 s56, s56, s4
	s_mul_hi_u32 s4, s1, s56
	s_mul_i32 s4, s4, s65
	s_sub_i32 s1, s1, s4
	s_ashr_i32 s18, s58, 3
	s_ashr_i32 s34, s15, 1
	;; [unrolled: 1-line block ×4, first 2 shown]
	s_sub_i32 s4, s1, s65
	s_cmp_ge_u32 s1, s65
	s_cselect_b32 s1, s4, s1
	s_sub_i32 s4, s1, s65
	s_cmp_ge_u32 s1, s65
	s_cselect_b32 s1, s4, s1
	s_xor_b32 s1, s1, s0
	s_sub_i32 s90, s1, s0
	s_sub_i32 s0, s64, s60
	s_add_i32 s4, s0, s90
	s_min_i32 s68, s62, s4
	s_cmp_gt_i32 s64, s60
	s_cselect_b64 s[12:13], -1, 0
	s_cmp_le_i32 s64, s60
	s_cselect_b64 s[0:1], -1, 0
	s_cmp_gt_i32 s62, s4
	v_cvt_f16_f32_e32 v1, s2
	s_cselect_b64 s[4:5], -1, 0
	s_or_b64 s[0:1], s[4:5], s[0:1]
	v_bfe_u32 v31, v0, 5, 5
	v_bfe_u32 v27, v0, 10, 10
	s_mov_b32 s67, 0
	s_and_b64 vcc, exec, s[0:1]
	v_lshl_add_u32 v63, v27, 1, v31
	v_and_b32_e32 v26, 31, v0
	v_lshlrev_b32_e32 v37, 3, v27
	v_lshlrev_b32_e32 v35, 4, v27
	v_mbcnt_lo_u32_b32 v61, -1, 0
	s_cbranch_vccz .LBB9_12
; %bb.10:
	s_andn2_b64 vcc, exec, s[12:13]
	s_cbranch_vccz .LBB9_205
.LBB9_11:
	s_endpgm
.LBB9_12:
	v_and_b32_e32 v4, 0x3ff, v0
	v_and_b32_e32 v8, 15, v0
	v_bfe_u32 v10, v0, 1, 9
	v_lshlrev_b32_e32 v12, 1, v4
	v_mul_u32_u24_e32 v9, 0xb0, v8
	v_and_b32_e32 v11, 0x78, v10
	v_and_b32_e32 v30, 62, v12
	v_add3_u32 v65, 0, v9, v11
	v_mul_u32_u24_e32 v9, 0x90, v63
	v_lshlrev_b32_e32 v12, 1, v30
	v_bfe_u32 v2, v0, 3, 7
	v_add3_u32 v69, 0, v9, v12
	v_lshl_add_u32 v9, v27, 5, v10
	v_lshlrev_b32_e32 v10, 2, v4
	v_add_u32_e32 v3, v37, v2
	s_movk_i32 s4, 0xb0
	v_and_b32_e32 v7, 0x7f0, v37
	v_and_b32_e32 v36, 4, v10
	v_mad_u32_u24 v5, v3, s4, 0
	v_mad_u32_u24 v67, v7, s4, v65
	v_and_b32_e32 v34, 28, v10
	v_mad_u32_u24 v10, v9, s4, 0
	v_lshlrev_b32_e32 v13, 2, v36
	s_movk_i32 s4, 0x80
	v_add3_u32 v71, v10, v13, s4
	v_lshrrev_b32_e32 v10, 2, v0
	v_and_b32_e32 v12, 16, v35
	v_and_b32_e32 v10, 60, v10
	v_and_or_b32 v7, v0, 8, v7
	s_movk_i32 s5, 0x90
	v_add_u32_e32 v13, v10, v12
	v_lshrrev_b32_e32 v7, 3, v7
	v_add_u16_e32 v10, v10, v12
	v_mad_u32_u24 v7, v7, s5, 0
	v_lshrrev_b16_e32 v10, 1, v10
	s_cmp_eq_u64 s[44:45], 0
	v_lshl_add_u32 v73, v10, 2, v7
	v_lshlrev_b32_e32 v10, 1, v2
	v_writelane_b32 v166, s29, 9
	s_cselect_b64 s[0:1], -1, 0
	v_lshl_add_u32 v7, v13, 1, v7
	v_or_b32_e32 v13, 3, v10
	v_or_b32_e32 v14, 2, v10
	v_and_b32_e32 v10, 60, v10
	v_and_b32_e32 v15, 8, v37
	s_movk_i32 s4, 0x160
	v_writelane_b32 v166, s0, 10
	s_cmp_lg_u64 s[46:47], 0
	v_mul_u32_u24_e32 v10, 0xb0, v10
	v_mad_u32_u24 v15, v15, s4, 0
	v_lshlrev_b32_e32 v16, 1, v8
	v_writelane_b32 v166, s1, 11
	s_cselect_b64 s[0:1], -1, 0
	v_add3_u32 v102, v15, v10, v16
	v_bfe_u32 v10, v0, 10, 1
	v_writelane_b32 v166, s0, 12
	v_cmp_eq_u32_e64 s[4:5], 0, v10
	v_and_b32_e32 v10, 0x400, v0
	v_writelane_b32 v166, s1, 13
	v_cmp_ne_u32_e64 s[6:7], 0, v10
	v_or_b32_e32 v8, v35, v8
	s_lshl_b32 s66, s28, 5
	v_writelane_b32 v166, s6, 14
	v_mul_u32_u24_e32 v8, 0xb0, v8
	s_ashr_i32 s35, s34, 31
	s_ashr_i32 s31, s30, 31
	;; [unrolled: 1-line block ×3, first 2 shown]
	v_mul_u32_u24_e32 v13, 0xb0, v13
	v_mul_u32_u24_e32 v14, 0xb0, v14
	v_writelane_b32 v166, s7, 15
	s_lshl_b64 s[6:7], s[66:67], 3
	v_add3_u32 v105, 0, v8, v11
	v_add_u32_e32 v8, v31, v27
	v_add3_u32 v103, v15, v14, v16
	v_add3_u32 v104, v15, v13, v16
	s_add_u32 s8, s50, s6
	v_lshlrev_b32_e32 v11, 1, v8
	v_and_b32_e32 v13, 15, v8
	s_movk_i32 s6, 0x3e0
	v_add_u32_e32 v14, 4, v8
	v_and_or_b32 v11, v11, s6, v13
	v_lshlrev_b32_e32 v15, 1, v14
	v_and_b32_e32 v16, 15, v14
	s_movk_i32 s6, 0x7e0
	v_and_or_b32 v15, v15, s6, v16
	v_add_u32_e32 v16, 8, v8
	v_lshlrev_b32_e32 v17, 1, v16
	v_and_b32_e32 v18, 15, v16
	v_and_or_b32 v17, v17, s6, v18
	v_add_u32_e32 v18, 12, v8
	v_lshlrev_b32_e32 v19, 1, v18
	v_and_b32_e32 v20, 15, v18
	v_and_or_b32 v19, v19, s6, v20
	v_add_u32_e32 v20, 16, v8
	v_writelane_b32 v166, s28, 16
	v_lshlrev_b32_e32 v21, 1, v20
	v_and_or_b32 v13, v21, s6, v13
	v_add_u32_e32 v21, 20, v8
	v_readlane_b32 s13, v166, 3
	s_addc_u32 s9, s51, s7
	v_lshlrev_b32_e32 v22, 1, v21
	v_and_b32_e32 v23, 15, v21
	s_abs_i32 s63, s13
	v_and_or_b32 v22, v22, s6, v23
	v_add_u32_e32 v23, 24, v8
	v_cvt_f32_u32_e32 v40, s63
	v_lshlrev_b32_e32 v24, 1, v23
	v_and_b32_e32 v25, 15, v23
	v_and_or_b32 v24, v24, s6, v25
	v_add_u32_e32 v25, 28, v8
	v_lshlrev_b32_e32 v38, 1, v25
	v_and_b32_e32 v39, 15, v25
	v_and_or_b32 v52, v38, s6, v39
	v_rcp_iflag_f32_e32 v39, v40
	v_readlane_b32 s12, v166, 2
	s_abs_i32 s72, s12
	v_cvt_f32_u32_e32 v40, s72
	v_mul_f32_e32 v39, 0x4f7ffffe, v39
	v_cvt_u32_f32_e32 v39, v39
	v_or_b32_e32 v10, v37, v4
	v_lshl_add_u32 v2, v27, 2, v2
	v_lshlrev_b32_e32 v32, 3, v10
	v_and_b32_e32 v10, 15, v2
	v_lshlrev_b32_e32 v38, 1, v2
	s_movk_i32 s6, 0xfe0
	v_add_u32_e32 v54, 16, v2
	v_readlane_b32 s11, v166, 1
	v_and_or_b32 v53, v38, s6, v10
	v_lshlrev_b32_e32 v38, 1, v54
	s_movk_i32 s6, 0x1fe0
	s_abs_i32 s73, s11
	s_abs_i32 s33, s14
	v_and_or_b32 v10, v38, s6, v10
	v_readfirstlane_b32 s6, v39
	v_rcp_iflag_f32_e32 v38, v40
	v_cvt_f32_u32_e32 v39, s73
	v_cvt_f32_u32_e32 v40, s33
	v_and_b32_e32 v28, 7, v0
	v_lshlrev_b32_e32 v6, 2, v28
	s_mov_b32 s10, s14
	v_add_u32_e32 v29, v5, v6
	v_writelane_b32 v166, s10, 17
	v_lshl_add_u32 v106, v34, 2, v5
	v_rcp_iflag_f32_e32 v5, v39
	v_mul_f32_e32 v38, 0x4f7ffffe, v38
	v_rcp_iflag_f32_e32 v39, v40
	v_writelane_b32 v166, s11, 18
	v_cvt_u32_f32_e32 v38, v38
	v_cmp_gt_u32_e64 s[14:15], 16, v4
	v_mov_b32_e32 v33, 0
	v_mul_f32_e32 v39, 0x4f7ffffe, v39
	v_writelane_b32 v166, s14, 19
	v_cvt_u32_f32_e32 v40, v39
	v_readfirstlane_b32 s7, v38
	v_writelane_b32 v166, s15, 20
	v_cmp_gt_u32_e64 s[14:15], 32, v4
	v_lshl_add_u64 v[38:39], s[8:9], 0, v[32:33]
	s_ashr_i32 s9, s13, 31
	v_writelane_b32 v166, s14, 21
	v_mul_f32_e32 v5, 0x4f7ffffe, v5
	v_cvt_u32_f32_e32 v5, v5
	v_writelane_b32 v166, s15, 22
	v_writelane_b32 v166, s9, 23
	s_sub_i32 s9, 0, s63
	s_mul_i32 s9, s9, s6
	s_mul_hi_u32 s9, s6, s9
	s_add_i32 s6, s6, s9
	v_writelane_b32 v166, s6, 24
	s_ashr_i32 s6, s12, 31
	v_writelane_b32 v166, s6, 25
	s_sub_i32 s6, 0, s72
	s_mul_i32 s6, s6, s7
	s_mul_hi_u32 s6, s7, s6
	s_add_i32 s6, s7, s6
	v_writelane_b32 v166, s6, 26
	s_ashr_i32 s6, s11, 31
	v_readfirstlane_b32 s10, v5
	v_and_b32_e32 v5, 1, v0
	v_writelane_b32 v166, s6, 27
	s_sub_i32 s6, 0, s73
	v_readfirstlane_b32 s8, v40
	v_lshlrev_b32_e32 v32, 4, v5
	v_mul_lo_u32 v40, s30, v3
	v_add_u32_e32 v5, 32, v3
	v_lshrrev_b32_e32 v110, 3, v3
	v_mul_lo_u32 v50, s22, v3
	v_add_u32_e32 v3, v35, v4
	s_mul_i32 s6, s6, s10
	v_mul_u32_u24_e32 v111, 0xb0, v3
	v_add_u32_e32 v3, v35, v26
	s_mul_hi_u32 s6, s10, s6
	v_mul_u32_u24_e32 v112, 0xb0, v3
	v_add_u32_e32 v3, 8, v63
	s_add_i32 s6, s10, s6
	v_lshrrev_b32_e32 v114, 3, v3
	v_add_u32_e32 v3, 16, v63
	v_writelane_b32 v166, s6, 28
	s_sub_i32 s6, 0, s33
	v_mul_lo_u32 v46, s22, v9
	v_lshrrev_b32_e32 v115, 3, v3
	v_add_u32_e32 v3, 24, v63
	s_mul_i32 s6, s6, s8
	v_ashrrev_i32_e32 v47, 31, v46
	v_lshrrev_b32_e32 v116, 3, v3
	v_lshrrev_b32_e32 v128, 3, v2
	s_mul_hi_u32 s6, s8, s6
	v_lshlrev_b32_e32 v2, 2, v26
	v_mov_b32_e32 v3, v33
	v_mul_lo_u32 v44, s30, v9
	v_mul_u32_u24_e32 v127, 0xb0, v52
	v_mul_u32_u24_e32 v129, 0xb0, v53
	s_add_i32 s6, s8, s6
	v_add_u32_e32 v132, 0, v2
	v_lshl_add_u64 v[52:53], s[42:43], 0, v[2:3]
	v_lshl_add_u64 v[2:3], v[46:47], 2, v[32:33]
	v_ashrrev_i32_e32 v45, 31, v44
	v_writelane_b32 v166, s6, 29
	s_mov_b32 s6, s34
	v_lshl_add_u64 v[2:3], s[40:41], 0, v[2:3]
	s_mov_b64 s[74:75], 0x80
	v_lshrrev_b32_e32 v130, 3, v54
	v_writelane_b32 v166, s6, 30
	v_lshl_add_u64 v[54:55], v[2:3], 0, s[74:75]
	v_lshl_add_u64 v[2:3], v[44:45], 2, v[32:33]
	v_lshl_add_u32 v42, s30, 5, v40
	v_mul_lo_u32 v48, s22, v5
	v_writelane_b32 v166, s7, 31
	s_lshl_b64 s[6:7], s[34:35], 1
	v_lshl_add_u64 v[2:3], s[38:39], 0, v[2:3]
	v_bfe_u32 v60, v4, 3, 3
	s_mov_b32 s2, 0x10001
	v_ashrrev_i32_e32 v41, 31, v40
	v_ashrrev_i32_e32 v43, 31, v42
	;; [unrolled: 1-line block ×4, first 2 shown]
	v_writelane_b32 v166, s6, 32
	v_lshl_add_u64 v[58:59], v[2:3], 0, s[74:75]
	v_mul_lo_u32 v2, s18, v60
	v_and_b32_e32 v136, 7, v63
	v_cmp_gt_u32_e64 s[0:1], 4, v63
	v_cmp_gt_u32_e64 s[16:17], 64, v9
	v_mul_u32_u24_e32 v107, 0xb0, v12
	v_add_u32_e32 v108, 64, v7
	v_add_u32_e32 v109, 0x44, v7
	;; [unrolled: 1-line block ×3, first 2 shown]
	v_mul_u32_u24_e32 v117, 0xb0, v11
	v_mul_u32_u24_e32 v118, 0xb0, v15
	v_lshrrev_b32_e32 v119, 3, v16
	v_mul_u32_u24_e32 v120, 0xb0, v17
	v_mul_u32_u24_e32 v121, 0xb0, v19
	v_lshrrev_b32_e32 v122, 3, v20
	;; [unrolled: 3-line block ×3, first 2 shown]
	v_mul_u32_u24_e32 v126, 0xb0, v24
	v_mul_u32_u24_e32 v131, 0xb0, v10
	v_writelane_b32 v166, s7, 33
	s_lshl_b64 s[76:77], s[22:23], 8
	v_lshlrev_b32_e32 v56, 4, v28
	v_mov_b32_e32 v57, v33
	s_lshl_b64 s[78:79], s[30:31], 8
	s_mov_b32 s69, 0x3fb8aa3b
	s_mov_b32 s70, 0xc2ce8ed0
	;; [unrolled: 1-line block ×5, first 2 shown]
	v_mul_lo_u32 v133, v1, s2
	v_add3_u32 v62, v2, v28, 32
	v_add_u32_e32 v134, 0x1600, v106
	v_lshrrev_b32_e32 v135, 3, v63
	v_mul_u32_u24_e32 v137, 0xb0, v63
	v_lshrrev_b32_e32 v138, 3, v8
	v_and_b32_e32 v64, 7, v8
	v_lshrrev_b32_e32 v139, 3, v14
	v_and_b32_e32 v66, 7, v14
	;; [unrolled: 2-line block ×5, first 2 shown]
	v_mbcnt_hi_u32_b32 v143, -1, v61
	v_mov_b32_e32 v144, 0x7f800000
	v_mad_u64_u32 v[74:75], s[6:7], v136, s18, v[26:27]
	v_lshl_add_u64 v[76:77], v[50:51], 2, s[40:41]
	v_lshl_add_u64 v[78:79], v[48:49], 2, s[40:41]
	v_lshl_add_u64 v[80:81], v[40:41], 2, s[38:39]
	v_lshl_add_u64 v[82:83], v[42:43], 2, s[38:39]
	v_writelane_b32 v166, s18, 34
	s_branch .LBB9_15
.LBB9_13:                               ;   in Loop: Header=BB9_15 Depth=1
	s_or_b64 exec, exec, s[82:83]
	s_barrier
.LBB9_14:                               ;   in Loop: Header=BB9_15 Depth=1
	s_add_i32 s2, s60, s62
	s_abs_i32 s7, s2
	s_mul_hi_u32 s8, s7, s56
	s_mul_i32 s8, s8, s65
	s_sub_i32 s7, s7, s8
	s_ashr_i32 s6, s2, 31
	s_sub_i32 s8, s7, s65
	s_cmp_ge_u32 s7, s65
	s_cselect_b32 s7, s8, s7
	s_sub_i32 s8, s7, s65
	s_cmp_ge_u32 s7, s65
	s_cselect_b32 s7, s8, s7
	s_xor_b32 s7, s7, s6
	s_sub_i32 s6, s6, s7
	s_add_i32 s60, s2, s6
	s_sub_i32 s2, s64, s60
	s_min_i32 s68, s62, s2
	s_cmp_gt_i32 s64, s60
	s_cselect_b64 s[12:13], -1, 0
	s_cmp_le_i32 s62, s2
	s_cselect_b64 s[6:7], -1, 0
	s_and_b64 s[6:7], s[6:7], s[12:13]
	s_mov_b32 s90, 0
	s_and_b64 vcc, exec, s[6:7]
	s_cbranch_vccz .LBB9_204
.LBB9_15:                               ; =>This Loop Header: Depth=1
                                        ;     Child Loop BB9_136 Depth 2
                                        ;     Child Loop BB9_41 Depth 2
	s_ashr_i32 s2, s60, 31
	v_readlane_b32 s6, v166, 23
	s_xor_b32 s2, s2, s6
	s_abs_i32 s6, s60
	v_readlane_b32 s7, v166, 24
	s_mul_hi_u32 s7, s6, s7
	s_mul_i32 s8, s7, s63
	s_sub_i32 s6, s6, s8
	s_add_i32 s8, s7, 1
	s_sub_i32 s9, s6, s63
	s_cmp_ge_u32 s6, s63
	s_cselect_b32 s7, s8, s7
	s_cselect_b32 s6, s9, s6
	s_add_i32 s8, s7, 1
	s_cmp_ge_u32 s6, s63
	s_cselect_b32 s6, s8, s7
	s_xor_b32 s6, s6, s2
	s_sub_i32 s2, s6, s2
	v_readlane_b32 s6, v166, 3
	s_mul_i32 s6, s2, s6
	s_sub_i32 s6, s60, s6
	s_ashr_i32 s7, s6, 31
	v_readlane_b32 s8, v166, 25
	s_xor_b32 s7, s7, s8
	s_abs_i32 s8, s6
	v_readlane_b32 s9, v166, 26
	s_mul_hi_u32 s9, s8, s9
	s_mul_i32 s11, s9, s72
	s_sub_i32 s8, s8, s11
	s_add_i32 s11, s9, 1
	s_sub_i32 s12, s8, s72
	s_cmp_ge_u32 s8, s72
	s_cselect_b32 s9, s11, s9
	s_cselect_b32 s8, s12, s8
	s_add_i32 s11, s9, 1
	s_cmp_ge_u32 s8, s72
	s_cselect_b32 s8, s11, s9
	s_xor_b32 s8, s8, s7
	s_sub_i32 s8, s8, s7
	v_readlane_b32 s7, v166, 2
	s_mul_i32 s7, s8, s7
	s_sub_i32 s7, s6, s7
	;; [unrolled: 21-line block ×3, first 2 shown]
	s_ashr_i32 s9, s7, 31
	v_readlane_b32 s11, v166, 8
	s_abs_i32 s7, s7
	s_xor_b32 s9, s9, s11
	s_mul_hi_u32 s11, s7, s56
	s_mul_i32 s12, s11, s65
	s_sub_i32 s7, s7, s12
	s_add_i32 s12, s11, 1
	s_sub_i32 s13, s7, s65
	s_cmp_ge_u32 s7, s65
	s_cselect_b32 s11, s12, s11
	s_cselect_b32 s7, s13, s7
	s_add_i32 s12, s11, 1
	s_cmp_ge_u32 s7, s65
	s_cselect_b32 s7, s12, s11
	v_readlane_b32 s12, v166, 12
	s_xor_b32 s7, s7, s9
	v_readlane_b32 s13, v166, 13
	s_andn2_b64 vcc, exec, s[12:13]
	s_sub_i32 s9, s7, s9
	s_cbranch_vccnz .LBB9_17
; %bb.16:                               ;   in Loop: Header=BB9_15 Depth=1
	v_readlane_b32 s7, v166, 0
	s_mul_i32 s7, s2, s7
	s_add_i32 s12, s9, s7
	s_ashr_i32 s13, s12, 31
	s_lshl_b64 s[12:13], s[12:13], 2
	s_add_u32 s12, s46, s12
	s_addc_u32 s13, s47, s13
	global_load_dword v2, v33, s[12:13]
	s_waitcnt vmcnt(0)
	v_readfirstlane_b32 s7, v2
	s_ashr_i32 s11, s7, 31
	s_lshr_b32 s11, s11, 26
	s_add_i32 s7, s7, s11
	s_ashr_i32 s7, s7, 6
	s_min_i32 s68, s68, s7
.LBB9_17:                               ;   in Loop: Header=BB9_15 Depth=1
	s_mul_i32 s7, s8, s3
	s_lshl_b32 s11, s6, 3
	s_mul_i32 s6, s2, s59
	s_add_i32 s12, s11, s7
	s_ashr_i32 s7, s6, 31
	s_add_u32 s6, s36, s6
	s_mul_i32 s13, s12, s58
	s_addc_u32 s7, s37, s7
	s_ashr_i32 s14, s13, 31
	s_add_u32 s86, s6, s13
	s_addc_u32 s87, s7, s14
	s_ashr_i32 s13, s2, 31
	s_mul_hi_u32 s6, s24, s2
	s_mul_i32 s7, s24, s13
	s_add_i32 s6, s6, s7
	s_mul_i32 s7, s25, s2
	v_readlane_b32 s18, v166, 6
	s_add_i32 s57, s6, s7
	s_mul_i32 s6, s24, s2
	v_readlane_b32 s19, v166, 7
	s_add_u32 s14, s38, s6
	s_mul_i32 s7, s8, s19
	s_addc_u32 s15, s39, s57
	s_ashr_i32 s97, s7, 31
	s_add_u32 s34, s14, s7
	s_addc_u32 s35, s15, s97
	s_abs_i32 s14, s2
	v_readlane_b32 s15, v166, 29
	s_mul_hi_u32 s15, s14, s15
	s_mul_i32 s15, s15, s33
	s_sub_i32 s14, s14, s15
	s_sub_i32 s15, s14, s33
	s_cmp_ge_u32 s14, s33
	s_cselect_b32 s14, s15, s14
	s_sub_i32 s15, s14, s33
	s_cmp_ge_u32 s14, s33
	s_cselect_b32 s14, s15, s14
	s_xor_b32 s14, s14, s13
	s_sub_i32 s14, s14, s13
	s_ashr_i32 s15, s14, 31
	s_mul_i32 s15, s54, s15
	s_mul_hi_u32 s18, s54, s14
	s_add_i32 s15, s18, s15
	s_mul_i32 s18, s55, s14
	s_add_i32 s89, s15, s18
	s_mul_i32 s88, s54, s14
	s_mul_i32 s14, s20, s21
	s_add_u32 s84, s42, s88
	s_mul_i32 s14, s14, s2
	s_addc_u32 s85, s43, s89
	s_add_i32 s14, s12, s14
	s_mul_i32 s66, s14, 40
	s_lshl_b64 s[14:15], s[66:67], 3
	s_add_u32 s80, s48, s14
	s_mul_hi_u32 s14, s52, s2
	s_mul_i32 s13, s52, s13
	s_addc_u32 s81, s49, s15
	s_add_i32 s13, s14, s13
	s_mul_i32 s14, s53, s2
	s_add_i32 s66, s13, s14
	s_mul_i32 s98, s52, s2
	s_add_u32 s2, s40, s98
	s_mul_i32 s99, s8, s27
	s_addc_u32 s13, s41, s66
	s_ashr_i32 s8, s99, 31
	s_add_u32 s96, s2, s99
	s_addc_u32 s2, s13, s8
	s_ashr_i32 s13, s12, 31
	s_lshl_b64 s[12:13], s[12:13], 2
	s_add_u32 s14, s44, s12
	s_addc_u32 s15, s45, s13
	v_readlane_b32 s12, v166, 10
	v_readlane_b32 s13, v166, 11
	s_and_b64 s[12:13], s[12:13], exec
	s_cselect_b32 s83, 0, s15
	s_cselect_b32 s82, 0, s14
	s_cmp_lg_u32 s90, 0
	v_or_b32_e32 v75, s11, v136
	s_cbranch_scc0 .LBB9_47
; %bb.18:                               ;   in Loop: Header=BB9_15 Depth=1
	s_lshl_b32 s28, s9, 2
	v_add_u32_e32 v2, s28, v135
	v_cmp_le_i32_e64 s[12:13], s20, v2
	v_cmp_le_i32_e64 s[14:15], s3, v75
	v_cmp_gt_i32_e32 vcc, s3, v75
	s_or_b64 s[12:13], s[12:13], s[14:15]
	s_and_saveexec_b64 s[14:15], s[12:13]
	s_xor_b64 s[12:13], exec, s[14:15]
; %bb.19:                               ;   in Loop: Header=BB9_15 Depth=1
	v_add_u32_e32 v2, v132, v137
	ds_write_b32 v2, v33
                                        ; implicit-def: $vgpr2
; %bb.20:                               ;   in Loop: Header=BB9_15 Depth=1
	s_andn2_saveexec_b64 s[12:13], s[12:13]
	s_cbranch_execz .LBB9_22
; %bb.21:                               ;   in Loop: Header=BB9_15 Depth=1
	v_mad_u64_u32 v[2:3], s[14:15], v2, s61, v[74:75]
	v_ashrrev_i32_e32 v3, 31, v2
	v_lshl_add_u64 v[2:3], v[2:3], 3, s[86:87]
	global_load_dwordx2 v[2:3], v[2:3], off
	s_waitcnt vmcnt(0)
	v_cvt_pk_f16_f32 v2, v2, v3
	v_pk_mul_f16 v2, v2, v133
	v_add_u32_e32 v3, v132, v137
	ds_write_b32 v3, v2
.LBB9_22:                               ;   in Loop: Header=BB9_15 Depth=1
	s_or_b64 exec, exec, s[12:13]
	v_add_u32_e32 v2, s28, v114
	v_cmp_le_i32_e64 s[12:13], s20, v2
	s_xor_b64 s[14:15], vcc, -1
	s_or_b64 s[12:13], s[12:13], s[14:15]
	s_and_saveexec_b64 s[18:19], s[12:13]
	s_xor_b64 s[12:13], exec, s[18:19]
; %bb.23:                               ;   in Loop: Header=BB9_15 Depth=1
	v_add_u32_e32 v2, v132, v137
	ds_write_b32 v2, v33 offset:1408
                                        ; implicit-def: $vgpr2
; %bb.24:                               ;   in Loop: Header=BB9_15 Depth=1
	s_andn2_saveexec_b64 s[12:13], s[12:13]
	s_cbranch_execz .LBB9_26
; %bb.25:                               ;   in Loop: Header=BB9_15 Depth=1
	v_mad_u64_u32 v[2:3], s[18:19], v2, s61, v[74:75]
	v_ashrrev_i32_e32 v3, 31, v2
	v_lshl_add_u64 v[2:3], v[2:3], 3, s[86:87]
	global_load_dwordx2 v[2:3], v[2:3], off
	s_waitcnt vmcnt(0)
	v_cvt_pk_f16_f32 v2, v2, v3
	v_pk_mul_f16 v2, v2, v133
	v_add_u32_e32 v3, v132, v137
	ds_write_b32 v3, v2 offset:1408
.LBB9_26:                               ;   in Loop: Header=BB9_15 Depth=1
	s_or_b64 exec, exec, s[12:13]
	v_add_u32_e32 v2, s28, v115
	v_cmp_le_i32_e32 vcc, s20, v2
	s_or_b64 s[12:13], vcc, s[14:15]
	s_and_saveexec_b64 s[18:19], s[12:13]
	s_xor_b64 s[12:13], exec, s[18:19]
; %bb.27:                               ;   in Loop: Header=BB9_15 Depth=1
	v_add_u32_e32 v2, v132, v137
	ds_write_b32 v2, v33 offset:2816
                                        ; implicit-def: $vgpr2
; %bb.28:                               ;   in Loop: Header=BB9_15 Depth=1
	s_andn2_saveexec_b64 s[12:13], s[12:13]
	s_cbranch_execz .LBB9_30
; %bb.29:                               ;   in Loop: Header=BB9_15 Depth=1
	v_mad_u64_u32 v[2:3], s[18:19], v2, s61, v[74:75]
	v_ashrrev_i32_e32 v3, 31, v2
	v_lshl_add_u64 v[2:3], v[2:3], 3, s[86:87]
	global_load_dwordx2 v[2:3], v[2:3], off
	s_waitcnt vmcnt(0)
	v_cvt_pk_f16_f32 v2, v2, v3
	v_pk_mul_f16 v2, v2, v133
	v_add_u32_e32 v3, v132, v137
	ds_write_b32 v3, v2 offset:2816
.LBB9_30:                               ;   in Loop: Header=BB9_15 Depth=1
	s_or_b64 exec, exec, s[12:13]
	v_add_u32_e32 v2, s28, v116
	v_cmp_le_i32_e32 vcc, s20, v2
	s_or_b64 s[12:13], vcc, s[14:15]
	s_and_saveexec_b64 s[14:15], s[12:13]
	s_xor_b64 s[12:13], exec, s[14:15]
; %bb.31:                               ;   in Loop: Header=BB9_15 Depth=1
	v_add_u32_e32 v2, v132, v137
	ds_write_b32 v2, v33 offset:4224
                                        ; implicit-def: $vgpr2
; %bb.32:                               ;   in Loop: Header=BB9_15 Depth=1
	s_andn2_saveexec_b64 s[12:13], s[12:13]
	s_cbranch_execz .LBB9_34
; %bb.33:                               ;   in Loop: Header=BB9_15 Depth=1
	v_mad_u64_u32 v[2:3], s[14:15], v2, s61, v[74:75]
	v_ashrrev_i32_e32 v3, 31, v2
	v_lshl_add_u64 v[2:3], v[2:3], 3, s[86:87]
	global_load_dwordx2 v[2:3], v[2:3], off
	s_waitcnt vmcnt(0)
	v_cvt_pk_f16_f32 v2, v2, v3
	v_pk_mul_f16 v2, v2, v133
	v_add_u32_e32 v3, v132, v137
	ds_write_b32 v3, v2 offset:4224
.LBB9_34:                               ;   in Loop: Header=BB9_15 Depth=1
	s_or_b64 exec, exec, s[12:13]
	v_add_u32_e32 v2, s28, v110
	v_or_b32_e32 v3, s11, v60
	v_cmp_le_i32_e64 s[12:13], s20, v2
	v_cmp_le_i32_e64 s[14:15], s3, v3
	v_cmp_gt_i32_e32 vcc, s3, v3
	s_or_b64 s[12:13], s[12:13], s[14:15]
	s_and_saveexec_b64 s[14:15], s[12:13]
	s_xor_b64 s[12:13], exec, s[14:15]
; %bb.35:                               ;   in Loop: Header=BB9_15 Depth=1
	ds_write_b32 v29, v33 offset:128
                                        ; implicit-def: $vgpr2
; %bb.36:                               ;   in Loop: Header=BB9_15 Depth=1
	s_andn2_saveexec_b64 s[12:13], s[12:13]
	s_cbranch_execz .LBB9_38
; %bb.37:                               ;   in Loop: Header=BB9_15 Depth=1
	v_mad_u64_u32 v[2:3], s[14:15], v2, s61, v[62:63]
	v_ashrrev_i32_e32 v3, 31, v2
	v_lshl_add_u64 v[2:3], v[2:3], 3, s[86:87]
	global_load_dwordx2 v[2:3], v[2:3], off
	s_waitcnt vmcnt(0)
	v_cvt_pk_f16_f32 v2, v2, v3
	v_pk_mul_f16 v2, v2, v133
	ds_write_b32 v29, v2 offset:128
.LBB9_38:                               ;   in Loop: Header=BB9_15 Depth=1
	s_or_b64 exec, exec, s[12:13]
	s_waitcnt lgkmcnt(0)
	s_barrier
	ds_read2_b64 v[6:9], v67 offset1:4
	ds_read2_b64 v[2:5], v67 offset0:8 offset1:12
	ds_read_b64 v[84:85], v67 offset:128
	s_add_i32 s29, s68, -1
	s_cmp_ge_i32 s90, s29
	s_waitcnt lgkmcnt(0)
	s_barrier
	s_cbranch_scc1 .LBB9_48
; %bb.39:                               ;   in Loop: Header=BB9_15 Depth=1
	v_add_u32_e32 v10, s28, v63
	v_readlane_b32 s12, v166, 4
	v_readlane_b32 s13, v166, 5
	v_lshlrev_b32_e32 v32, 1, v30
	v_mul_hi_u32 v11, s12, v10
	v_add_u32_e32 v11, v10, v11
	v_lshrrev_b32_e32 v11, s13, v11
	v_mul_lo_u32 v11, v11, s20
	v_readlane_b32 s12, v166, 30
	v_sub_u32_e32 v10, v10, v11
	v_readlane_b32 s13, v166, 31
	v_mad_i64_i32 v[10:11], s[12:13], v10, s12, 0
	v_lshl_add_u64 v[10:11], v[10:11], 1, s[84:85]
	v_lshl_add_u64 v[86:87], v[10:11], 0, v[32:33]
	v_and_b32_e32 v10, 64, v143
	v_add_u32_e32 v10, 64, v10
	v_xor_b32_e32 v11, 32, v143
	v_cmp_lt_i32_e64 s[12:13], v11, v10
	s_lshl_b32 s18, s90, 6
	v_mov_b32_e32 v88, 0
	v_cndmask_b32_e64 v11, v143, v11, s[12:13]
	v_lshlrev_b32_e32 v91, 2, v11
	v_xor_b32_e32 v11, 16, v143
	v_cmp_lt_i32_e64 s[12:13], v11, v10
	v_mov_b32_e32 v12, 0xfeffffff
	v_mov_b32_e32 v93, 0
	v_cndmask_b32_e64 v10, v143, v11, s[12:13]
	v_lshlrev_b32_e32 v92, 2, v10
	v_mov_b32_e32 v16, 0
	v_mov_b32_e32 v11, 0
	;; [unrolled: 1-line block ×9, first 2 shown]
	s_ashr_i32 s19, s18, 31
	s_and_saveexec_b64 s[12:13], s[0:1]
	s_cbranch_execz .LBB9_41
.LBB9_40:                               ;   in Loop: Header=BB9_15 Depth=1
	v_lshl_add_u64 v[24:25], s[18:19], 1, v[86:87]
	global_load_dword v13, v[24:25], off
	s_waitcnt vmcnt(0)
	ds_write_b32 v69, v13 offset:11264
.LBB9_41:                               ;   Parent Loop BB9_15 Depth=1
                                        ; =>  This Inner Loop Header: Depth=2
	s_or_b64 exec, exec, s[12:13]
	s_mul_hi_i32 s13, s18, s30
	s_mul_i32 s12, s18, s30
	s_lshl_b64 s[12:13], s[12:13], 2
	s_add_u32 s12, s34, s12
	s_addc_u32 s13, s35, s13
	s_and_saveexec_b64 s[14:15], s[16:17]
	s_cbranch_execz .LBB9_43
; %bb.42:                               ;   in Loop: Header=BB9_41 Depth=2
	v_lshl_add_u64 v[24:25], v[44:45], 2, s[12:13]
	v_lshlrev_b32_e32 v32, 2, v36
	v_lshl_add_u64 v[24:25], v[24:25], 0, v[32:33]
	global_load_dwordx4 v[94:97], v[24:25], off offset:128
	s_waitcnt vmcnt(0)
	ds_write_b128 v71, v[94:97]
.LBB9_43:                               ;   in Loop: Header=BB9_41 Depth=2
	s_or_b64 exec, exec, s[14:15]
	v_lshl_add_u64 v[24:25], v[40:41], 2, s[12:13]
	v_lshlrev_b32_e32 v32, 2, v34
	v_lshl_add_u64 v[94:95], v[42:43], 2, s[12:13]
	v_lshl_add_u64 v[24:25], v[24:25], 0, v[32:33]
	;; [unrolled: 1-line block ×3, first 2 shown]
	global_load_dwordx4 v[94:97], v[24:25], off
	s_nop 0
	global_load_dwordx4 v[98:101], v[98:99], off
	v_add_u32_e32 v13, v65, v107
	v_add_u32_e32 v17, 0x1000, v13
	s_mul_hi_i32 s13, s18, s22
	s_mul_i32 s12, s18, s22
	s_lshl_b64 s[12:13], s[12:13], 2
	s_add_u32 s14, s96, s12
	s_addc_u32 s15, s2, s13
	s_waitcnt vmcnt(1)
	ds_write_b128 v106, v[94:97]
	s_waitcnt vmcnt(0)
	ds_write_b128 v134, v[98:101]
	s_waitcnt lgkmcnt(0)
	s_barrier
	ds_read2_b64 v[94:97], v13 offset1:4
	ds_read2_b64 v[146:149], v17 offset0:192 offset1:196
	s_waitcnt lgkmcnt(1)
	v_mfma_f32_16x16x16_f16 v[98:101], v[94:95], v[6:7], 0
	s_waitcnt lgkmcnt(0)
	v_mfma_f32_16x16x16_f16 v[150:153], v[146:147], v[6:7], 0
	v_mfma_f32_16x16x16_f16 v[94:97], v[96:97], v[8:9], v[98:101]
	s_nop 4
	ds_read2_b64 v[98:101], v13 offset0:8 offset1:12
	v_mfma_f32_16x16x16_f16 v[146:149], v[148:149], v[8:9], v[150:153]
	s_nop 2
	ds_read2_b64 v[150:153], v17 offset0:200 offset1:204
	s_waitcnt lgkmcnt(1)
	v_mfma_f32_16x16x16_f16 v[94:97], v[98:99], v[2:3], v[94:97]
	v_add_u32_e32 v17, 0x2c00, v73
	ds_read_b64 v[24:25], v13 offset:128
	ds_read_b64 v[154:155], v13 offset:5760
	s_waitcnt lgkmcnt(0)
	v_mfma_f32_16x16x16_f16 v[146:149], v[150:151], v[2:3], v[146:149]
	s_barrier
	ds_read2_b32 v[150:151], v17 offset1:1
	v_mfma_f32_16x16x16_f16 v[94:97], v[100:101], v[4:5], v[94:97]
	ds_read_b32 v13, v108 offset:11264
	ds_read_b32 v17, v109 offset:11264
	s_waitcnt lgkmcnt(2)
	v_cvt_f32_f16_e32 v18, v150
	v_mfma_f32_16x16x16_f16 v[98:101], v[152:153], v[4:5], v[146:149]
	v_cvt_f32_f16_sdwa v21, v150 dst_sel:DWORD dst_unused:UNUSED_PAD src0_sel:WORD_1
	v_cvt_f32_f16_e32 v89, v151
	v_cvt_f32_f16_sdwa v90, v151 dst_sel:DWORD dst_unused:UNUSED_PAD src0_sel:WORD_1
	v_mfma_f32_16x16x16_f16 v[94:97], v[24:25], v[84:85], v[94:97]
	s_waitcnt lgkmcnt(1)
	v_cvt_f32_f16_e32 v145, v13
	v_cvt_f32_f16_sdwa v13, v13 dst_sel:DWORD dst_unused:UNUSED_PAD src0_sel:WORD_1
	s_waitcnt lgkmcnt(0)
	v_cvt_f32_f16_e32 v146, v17
	v_mfma_f32_16x16x16_f16 v[98:101], v[154:155], v[84:85], v[98:101]
	v_cvt_f32_f16_sdwa v147, v17 dst_sel:DWORD dst_unused:UNUSED_PAD src0_sel:WORD_1
	s_nop 0
	v_add_f32_e32 v94, v94, v18
	v_add_f32_e32 v24, v95, v21
	;; [unrolled: 1-line block ×10, first 2 shown]
	v_max3_f32 v90, v12, v90, v95
	v_add_f32_e32 v17, v100, v146
	v_add_f32_e32 v13, v101, v147
	;; [unrolled: 1-line block ×4, first 2 shown]
	v_max3_f32 v90, v90, v96, v97
	v_add_f32_e32 v100, 0x40051340, v17
	v_add_f32_e32 v101, 0x40051340, v13
	v_max3_f32 v90, v90, v98, v99
	v_max3_f32 v90, v90, v100, v101
	ds_bpermute_b32 v95, v91, v90
	s_waitcnt lgkmcnt(0)
	v_max_f32_e32 v95, v95, v95
	v_max_f32_e32 v90, v90, v95
	ds_bpermute_b32 v95, v92, v90
	s_and_saveexec_b64 s[12:13], s[16:17]
	s_cbranch_execz .LBB9_45
; %bb.44:                               ;   in Loop: Header=BB9_41 Depth=2
	v_lshl_add_u64 v[96:97], v[46:47], 2, s[14:15]
	v_lshlrev_b32_e32 v98, 2, v36
	v_mov_b32_e32 v99, v33
	v_lshl_add_u64 v[96:97], v[96:97], 0, v[98:99]
	global_load_dwordx4 v[96:99], v[96:97], off offset:128
	s_waitcnt vmcnt(0)
	ds_write_b128 v71, v[96:99]
.LBB9_45:                               ;   in Loop: Header=BB9_41 Depth=2
	s_or_b64 exec, exec, s[12:13]
	s_waitcnt lgkmcnt(0)
	v_max_f32_e32 v95, v95, v95
	v_max_f32_e32 v90, v90, v90
	;; [unrolled: 1-line block ×3, first 2 shown]
	v_sub_f32_e32 v94, v94, v90
	v_mul_f32_e32 v95, 0x3fb8aa3b, v94
	v_fma_f32 v96, v94, s69, -v95
	v_rndne_f32_e32 v97, v95
	v_fmac_f32_e32 v96, 0x32a5705f, v94
	v_sub_f32_e32 v95, v95, v97
	v_add_f32_e32 v95, v95, v96
	v_exp_f32_e32 v95, v95
	v_cvt_i32_f32_e32 v96, v97
	v_cmp_ngt_f32_e64 s[12:13], s70, v94
	v_sub_f32_e32 v89, v89, v90
	v_sub_f32_e32 v21, v21, v90
	v_ldexp_f32 v95, v95, v96
	v_sub_f32_e32 v96, v24, v90
	v_mul_f32_e32 v24, 0x3fb8aa3b, v96
	v_fma_f32 v97, v96, s69, -v24
	v_rndne_f32_e32 v98, v24
	v_fmac_f32_e32 v97, 0x32a5705f, v96
	v_sub_f32_e32 v24, v24, v98
	v_add_f32_e32 v24, v24, v97
	v_exp_f32_e32 v97, v24
	v_cvt_i32_f32_e32 v98, v98
	v_cndmask_b32_e64 v24, 0, v95, s[12:13]
	v_sub_f32_e32 v95, v25, v90
	v_mul_f32_e32 v25, 0x3fb8aa3b, v95
	v_cmp_nlt_f32_e64 s[12:13], s71, v94
	v_ldexp_f32 v94, v97, v98
	v_fma_f32 v97, v95, s69, -v25
	v_rndne_f32_e32 v98, v25
	v_fmac_f32_e32 v97, 0x32a5705f, v95
	v_sub_f32_e32 v25, v25, v98
	v_add_f32_e32 v25, v25, v97
	v_exp_f32_e32 v97, v25
	v_cvt_i32_f32_e32 v98, v98
	v_cndmask_b32_e64 v24, v144, v24, s[12:13]
	v_cmp_ngt_f32_e64 s[12:13], s70, v96
	v_mul_f32_e32 v145, 0x3fb8aa3b, v21
	v_fma_f32 v150, v21, s69, -v145
	v_cndmask_b32_e64 v25, 0, v94, s[12:13]
	v_cmp_nlt_f32_e64 s[12:13], s71, v96
	v_mul_f32_e32 v96, 0x3fb8aa3b, v89
	v_ldexp_f32 v94, v97, v98
	v_fma_f32 v97, v89, s69, -v96
	v_rndne_f32_e32 v98, v96
	v_fmac_f32_e32 v97, 0x32a5705f, v89
	v_sub_f32_e32 v96, v96, v98
	v_add_f32_e32 v96, v96, v97
	v_cndmask_b32_e64 v25, v144, v25, s[12:13]
	v_cmp_ngt_f32_e64 s[12:13], s70, v95
	v_exp_f32_e32 v97, v96
	v_cvt_i32_f32_e32 v98, v98
	v_cndmask_b32_e64 v94, 0, v94, s[12:13]
	v_cmp_nlt_f32_e64 s[12:13], s71, v95
	v_fmac_f32_e32 v150, 0x32a5705f, v21
	v_ldexp_f32 v97, v97, v98
	v_cndmask_b32_e64 v96, v144, v94, s[12:13]
	v_lshl_add_u64 v[94:95], v[50:51], 2, s[14:15]
	v_lshl_add_u64 v[94:95], v[94:95], 0, v[32:33]
	global_load_dwordx4 v[98:101], v[94:95], off
	v_lshl_add_u64 v[94:95], v[48:49], 2, s[14:15]
	v_lshl_add_u64 v[94:95], v[94:95], 0, v[32:33]
	global_load_dwordx4 v[146:149], v[94:95], off
	v_rndne_f32_e32 v32, v145
	v_sub_f32_e32 v94, v145, v32
	v_add_f32_e32 v94, v94, v150
	v_exp_f32_e32 v94, v94
	v_cvt_i32_f32_e32 v32, v32
	v_cmp_ngt_f32_e64 s[12:13], s70, v89
	v_sub_f32_e32 v18, v18, v90
	v_sub_f32_e32 v17, v17, v90
	v_cndmask_b32_e64 v95, 0, v97, s[12:13]
	v_cmp_nlt_f32_e64 s[12:13], s71, v89
	v_mul_f32_e32 v89, 0x3fb8aa3b, v18
	v_ldexp_f32 v32, v94, v32
	v_cndmask_b32_e64 v97, v144, v95, s[12:13]
	v_fma_f32 v94, v18, s69, -v89
	v_rndne_f32_e32 v95, v89
	v_fmac_f32_e32 v94, 0x32a5705f, v18
	v_sub_f32_e32 v89, v89, v95
	v_add_f32_e32 v89, v89, v94
	v_exp_f32_e32 v89, v89
	v_cvt_i32_f32_e32 v94, v95
	v_cmp_ngt_f32_e64 s[12:13], s70, v21
	v_sub_f32_e32 v13, v13, v90
	v_sub_f32_e32 v12, v12, v90
	v_cndmask_b32_e64 v32, 0, v32, s[12:13]
	v_cmp_nlt_f32_e64 s[12:13], s71, v21
	v_ldexp_f32 v21, v89, v94
	v_cmp_ngt_f32_e64 s[14:15], s70, v12
	v_cndmask_b32_e64 v145, v144, v32, s[12:13]
	v_mul_f32_e32 v32, 0x3fb8aa3b, v17
	v_fma_f32 v89, v17, s69, -v32
	v_rndne_f32_e32 v94, v32
	v_fmac_f32_e32 v89, 0x32a5705f, v17
	v_sub_f32_e32 v32, v32, v94
	v_add_f32_e32 v32, v32, v89
	v_exp_f32_e32 v32, v32
	v_cvt_i32_f32_e32 v89, v94
	v_cmp_ngt_f32_e64 s[12:13], s70, v18
	s_add_i32 s90, s90, 1
	s_add_i32 s18, s18, 64
	v_cndmask_b32_e64 v21, 0, v21, s[12:13]
	v_cmp_nlt_f32_e64 s[12:13], s71, v18
	v_ldexp_f32 v18, v32, v89
	s_cmp_lt_i32 s90, s29
	v_cndmask_b32_e64 v150, v144, v21, s[12:13]
	v_cmp_ngt_f32_e64 s[12:13], s70, v17
	s_waitcnt vmcnt(1)
	ds_write_b128 v106, v[98:101]
	s_waitcnt vmcnt(0)
	ds_write_b128 v134, v[146:149]
	v_cndmask_b32_e64 v18, 0, v18, s[12:13]
	v_cmp_nlt_f32_e64 s[12:13], s71, v17
	v_mul_f32_e32 v17, 0x3fb8aa3b, v13
	v_fma_f32 v21, v13, s69, -v17
	v_rndne_f32_e32 v32, v17
	v_fmac_f32_e32 v21, 0x32a5705f, v13
	v_sub_f32_e32 v17, v17, v32
	v_add_f32_e32 v17, v17, v21
	v_cvt_i32_f32_e32 v21, v32
	v_mul_f32_e32 v32, 0x3fb8aa3b, v12
	v_fma_f32 v89, v12, s69, -v32
	v_rndne_f32_e32 v94, v32
	v_fmac_f32_e32 v89, 0x32a5705f, v12
	v_sub_f32_e32 v32, v32, v94
	v_add_f32_e32 v32, v32, v89
	v_exp_f32_e32 v89, v32
	v_cvt_i32_f32_e32 v94, v94
	v_cndmask_b32_e64 v32, v144, v18, s[12:13]
	v_exp_f32_e32 v17, v17
	v_cmp_ngt_f32_e64 s[12:13], s70, v13
	v_ldexp_f32 v18, v89, v94
	v_cndmask_b32_e64 v18, 0, v18, s[14:15]
	v_cmp_nlt_f32_e64 s[14:15], s71, v12
	v_ldexp_f32 v17, v17, v21
	v_cndmask_b32_e64 v17, 0, v17, s[12:13]
	v_cndmask_b32_e64 v18, v144, v18, s[14:15]
	v_cmp_le_f32_e64 s[14:15], s26, v12
	v_cmp_nlt_f32_e64 s[12:13], s71, v13
	s_waitcnt lgkmcnt(0)
	v_cndmask_b32_e64 v94, 0, v18, s[14:15]
	v_cvt_f16_f32_e32 v12, v94
	v_cndmask_b32_e64 v95, v144, v17, s[12:13]
	s_barrier
	v_mul_u32_u24_e32 v151, 0x10001, v12
	v_pk_mul_f16 v18, v88, v151
	v_pk_mul_f16 v21, v16, v151
	ds_read_u16 v16, v102 offset:176
	ds_read_u16 v17, v103
	ds_read_u16 v88, v104
	;; [unrolled: 1-line block ×3, first 2 shown]
	v_pk_mul_f16 v11, v11, v151
	v_pk_mul_f16 v13, v10, v151
	v_cvt_f32_f16_e32 v10, v11
	s_waitcnt lgkmcnt(1)
	v_perm_b32 v17, v88, v17, s10
	s_waitcnt lgkmcnt(0)
	v_perm_b32 v16, v16, v89, s10
	v_cvt_f32_f16_sdwa v11, v11 dst_sel:DWORD dst_unused:UNUSED_PAD src0_sel:WORD_1
	v_cvt_f32_f16_e32 v12, v13
	v_cvt_f32_f16_sdwa v13, v13 dst_sel:DWORD dst_unused:UNUSED_PAD src0_sel:WORD_1
	v_cvt_pk_f16_f32 v147, v96, v97
	v_cvt_pk_f16_f32 v146, v24, v25
	ds_read_u16 v101, v103 offset:32
	ds_read_u16 v148, v104 offset:32
	v_mfma_f32_16x16x16_f16 v[10:13], v[16:17], v[146:147], v[10:13]
	ds_read_u16 v16, v102 offset:5632
	ds_read_u16 v17, v103 offset:5632
	;; [unrolled: 1-line block ×5, first 2 shown]
	v_cvt_f32_f16_e32 v98, v18
	s_nop 1
	v_cvt_f16_f32_e32 v10, v10
	v_cvt_f16_f32_e32 v11, v11
	v_cvt_f16_f32_e32 v12, v12
	v_cvt_f16_f32_e32 v13, v13
	s_waitcnt lgkmcnt(2)
	v_perm_b32 v17, v88, v17, s10
	s_waitcnt lgkmcnt(1)
	v_perm_b32 v16, v89, v16, s10
	v_cvt_f32_f16_e32 v10, v10
	v_cvt_f32_f16_e32 v11, v11
	;; [unrolled: 1-line block ×4, first 2 shown]
	v_cvt_pk_f16_f32 v89, v32, v95
	v_cvt_pk_f16_f32 v88, v145, v150
	v_cvt_f32_f16_sdwa v99, v18 dst_sel:DWORD dst_unused:UNUSED_PAD src0_sel:WORD_1
	v_cvt_f32_f16_e32 v100, v21
	v_mfma_f32_16x16x16_f16 v[10:13], v[16:17], v[88:89], v[10:13]
	ds_read_u16 v16, v102 offset:208
	v_perm_b32 v17, v148, v101, s10
	v_cvt_f32_f16_sdwa v101, v21 dst_sel:DWORD dst_unused:UNUSED_PAD src0_sel:WORD_1
	s_waitcnt lgkmcnt(0)
	v_perm_b32 v16, v16, v149, s10
	s_nop 1
	v_mfma_f32_16x16x16_f16 v[98:101], v[16:17], v[146:147], v[98:101]
	v_cvt_pk_f16_f32 v11, v10, v11
	v_cvt_pk_f16_f32 v10, v12, v13
	s_nop 5
	v_cvt_f16_f32_e32 v21, v101
	ds_read_u16 v101, v102 offset:5664
	ds_read_u16 v148, v103 offset:5664
	;; [unrolled: 1-line block ×4, first 2 shown]
	v_cvt_f16_f32_e32 v16, v98
	v_cvt_f16_f32_e32 v17, v99
	;; [unrolled: 1-line block ×3, first 2 shown]
	v_cvt_f32_f16_e32 v98, v16
	v_cvt_f32_f16_e32 v99, v17
	s_waitcnt lgkmcnt(1)
	v_perm_b32 v17, v149, v148, s10
	s_waitcnt lgkmcnt(0)
	v_perm_b32 v16, v152, v101, s10
	v_cvt_f32_f16_e32 v100, v18
	v_cvt_f32_f16_e32 v101, v21
	v_pk_mul_f16 v18, v15, v151
	v_pk_mul_f16 v21, v14, v151
	v_mfma_f32_16x16x16_f16 v[14:17], v[16:17], v[88:89], v[98:101]
	s_nop 2
	ds_read_u16 v101, v102 offset:64
	ds_read_u16 v148, v103 offset:64
	;; [unrolled: 1-line block ×4, first 2 shown]
	v_cvt_f32_f16_e32 v98, v18
	v_cvt_f32_f16_sdwa v99, v18 dst_sel:DWORD dst_unused:UNUSED_PAD src0_sel:WORD_1
	v_cvt_f32_f16_e32 v100, v21
	s_waitcnt lgkmcnt(1)
	v_perm_b32 v149, v149, v148, s10
	s_waitcnt lgkmcnt(0)
	v_perm_b32 v148, v152, v101, s10
	v_cvt_f32_f16_sdwa v101, v21 dst_sel:DWORD dst_unused:UNUSED_PAD src0_sel:WORD_1
	v_cvt_pk_f16_f32 v16, v16, v17
	s_nop 0
	v_mfma_f32_16x16x16_f16 v[98:101], v[148:149], v[146:147], v[98:101]
	ds_read_u16 v148, v102 offset:5696
	ds_read_u16 v149, v103 offset:5696
	;; [unrolled: 1-line block ×4, first 2 shown]
	s_nop 3
	v_cvt_f16_f32_e32 v18, v98
	v_cvt_f16_f32_e32 v21, v99
	;; [unrolled: 1-line block ×4, first 2 shown]
	s_waitcnt lgkmcnt(1)
	v_perm_b32 v149, v152, v149, s10
	s_waitcnt lgkmcnt(0)
	v_perm_b32 v148, v153, v148, s10
	v_cvt_f32_f16_e32 v98, v18
	v_cvt_f32_f16_e32 v99, v21
	v_cvt_f32_f16_e32 v100, v100
	v_cvt_f32_f16_e32 v101, v101
	v_pk_mul_f16 v152, v20, v151
	v_pk_mul_f16 v153, v19, v151
	v_mfma_f32_16x16x16_f16 v[18:21], v[148:149], v[88:89], v[98:101]
	s_nop 2
	ds_read_u16 v101, v102 offset:96
	ds_read_u16 v148, v103 offset:96
	;; [unrolled: 1-line block ×4, first 2 shown]
	v_cvt_f32_f16_e32 v98, v152
	v_cvt_f32_f16_sdwa v99, v152 dst_sel:DWORD dst_unused:UNUSED_PAD src0_sel:WORD_1
	v_cvt_f32_f16_e32 v100, v153
	s_waitcnt lgkmcnt(1)
	v_perm_b32 v149, v149, v148, s10
	s_waitcnt lgkmcnt(0)
	v_perm_b32 v148, v154, v101, s10
	v_cvt_f32_f16_sdwa v101, v153 dst_sel:DWORD dst_unused:UNUSED_PAD src0_sel:WORD_1
	v_add_f32_e32 v152, v24, v25
	v_add_f32_e32 v96, v96, v152
	v_mfma_f32_16x16x16_f16 v[98:101], v[148:149], v[146:147], v[98:101]
	ds_read_u16 v148, v102 offset:5728
	ds_read_u16 v149, v103 offset:5728
	;; [unrolled: 1-line block ×4, first 2 shown]
	v_add_f32_e32 v96, v97, v96
	v_add_f32_e32 v96, v145, v96
	s_nop 1
	v_cvt_f16_f32_e32 v24, v98
	v_cvt_f16_f32_e32 v25, v99
	v_cvt_f16_f32_e32 v100, v100
	v_cvt_f16_f32_e32 v101, v101
	v_cvt_f32_f16_e32 v98, v24
	v_cvt_f32_f16_e32 v99, v25
	s_waitcnt lgkmcnt(1)
	v_perm_b32 v25, v153, v149, s10
	s_waitcnt lgkmcnt(0)
	v_perm_b32 v24, v154, v148, s10
	v_cvt_f32_f16_e32 v100, v100
	v_cvt_f32_f16_e32 v101, v101
	v_pk_mul_f16 v148, v23, v151
	v_pk_mul_f16 v151, v22, v151
	v_mfma_f32_16x16x16_f16 v[22:25], v[24:25], v[88:89], v[98:101]
	s_nop 2
	ds_read_u16 v101, v102 offset:128
	ds_read_u16 v149, v103 offset:128
	;; [unrolled: 1-line block ×4, first 2 shown]
	v_cvt_f32_f16_e32 v98, v148
	v_cvt_f32_f16_sdwa v99, v148 dst_sel:DWORD dst_unused:UNUSED_PAD src0_sel:WORD_1
	v_cvt_f32_f16_e32 v100, v151
	s_waitcnt lgkmcnt(1)
	v_perm_b32 v149, v152, v149, s10
	s_waitcnt lgkmcnt(0)
	v_perm_b32 v148, v153, v101, s10
	v_cvt_f32_f16_sdwa v101, v151 dst_sel:DWORD dst_unused:UNUSED_PAD src0_sel:WORD_1
	v_add_f32_e32 v96, v150, v96
	v_add_f32_e32 v32, v32, v96
	v_mfma_f32_16x16x16_f16 v[146:149], v[148:149], v[146:147], v[98:101]
	v_add_f32_e32 v95, v95, v32
	v_fmac_f32_e32 v95, v93, v94
	s_nop 5
	v_cvt_f16_f32_e32 v97, v149
	ds_read_u16 v98, v102 offset:5760
	ds_read_u16 v145, v103 offset:5760
	;; [unrolled: 1-line block ×4, first 2 shown]
	v_cvt_f16_f32_e32 v99, v146
	v_cvt_f16_f32_e32 v100, v147
	;; [unrolled: 1-line block ×3, first 2 shown]
	s_waitcnt lgkmcnt(0)
	v_cvt_f32_f16_e32 v146, v99
	v_perm_b32 v99, v149, v145, s10
	v_perm_b32 v98, v150, v98, s10
	v_cvt_f32_f16_e32 v147, v100
	v_cvt_f32_f16_e32 v148, v101
	;; [unrolled: 1-line block ×3, first 2 shown]
	s_barrier
	s_nop 0
	v_mfma_f32_16x16x16_f16 v[96:99], v[98:99], v[88:89], v[146:149]
	v_cvt_pk_f16_f32 v88, v14, v15
	v_cvt_pk_f16_f32 v15, v18, v19
	v_cvt_pk_f16_f32 v14, v20, v21
	v_cvt_pk_f16_f32 v20, v22, v23
	v_cvt_pk_f16_f32 v19, v24, v25
	s_nop 2
	v_cvt_pk_f16_f32 v23, v96, v97
	v_cvt_pk_f16_f32 v22, v98, v99
	s_cbranch_scc0 .LBB9_49
; %bb.46:                               ;   in Loop: Header=BB9_41 Depth=2
	v_mov_b32_e32 v93, v95
	v_mov_b32_e32 v12, v90
	s_ashr_i32 s19, s18, 31
	s_and_saveexec_b64 s[12:13], s[0:1]
	s_cbranch_execnz .LBB9_40
	s_branch .LBB9_41
.LBB9_47:                               ;   in Loop: Header=BB9_15 Depth=1
	s_cbranch_execz .LBB9_14
	s_branch .LBB9_113
.LBB9_48:                               ;   in Loop: Header=BB9_15 Depth=1
	v_mov_b32_e32 v90, 0xfeffffff
	v_mov_b32_e32 v95, 0
	;; [unrolled: 1-line block ×12, first 2 shown]
.LBB9_49:                               ;   in Loop: Header=BB9_15 Depth=1
	s_lshl_b32 s14, s90, 6
	s_ashr_i32 s15, s14, 31
	s_and_saveexec_b64 s[12:13], s[0:1]
	s_cbranch_execz .LBB9_51
; %bb.50:                               ;   in Loop: Header=BB9_15 Depth=1
	v_or_b32_e32 v12, s28, v63
	v_readlane_b32 s90, v166, 4
	v_readlane_b32 s91, v166, 5
	s_lshl_b64 s[18:19], s[14:15], 1
	v_mul_hi_u32 v13, s90, v12
	v_add_u32_e32 v13, v12, v13
	v_lshrrev_b32_e32 v13, s91, v13
	v_mul_lo_u32 v13, v13, s20
	v_readlane_b32 s90, v166, 30
	s_add_u32 s18, s84, s18
	v_sub_u32_e32 v12, v12, v13
	v_readlane_b32 s91, v166, 31
	s_addc_u32 s19, s85, s19
	v_mad_i64_i32 v[12:13], s[90:91], v12, s90, 0
	v_lshl_add_u64 v[12:13], v[12:13], 1, s[18:19]
	v_lshlrev_b32_e32 v32, 1, v30
	v_lshl_add_u64 v[12:13], v[12:13], 0, v[32:33]
	global_load_dword v12, v[12:13], off
	s_waitcnt vmcnt(0)
	ds_write_b32 v69, v12 offset:11264
.LBB9_51:                               ;   in Loop: Header=BB9_15 Depth=1
	s_or_b64 exec, exec, s[12:13]
	s_mul_hi_i32 s13, s14, s30
	s_mul_i32 s12, s14, s30
	s_lshl_b64 s[12:13], s[12:13], 2
	s_add_u32 s12, s34, s12
	s_addc_u32 s13, s35, s13
	s_and_saveexec_b64 s[18:19], s[16:17]
	s_cbranch_execz .LBB9_53
; %bb.52:                               ;   in Loop: Header=BB9_15 Depth=1
	v_lshl_add_u64 v[12:13], v[44:45], 2, s[12:13]
	v_lshlrev_b32_e32 v32, 2, v36
	v_lshl_add_u64 v[12:13], v[12:13], 0, v[32:33]
	global_load_dwordx4 v[96:99], v[12:13], off offset:128
	s_waitcnt vmcnt(0)
	ds_write_b128 v71, v[96:99]
.LBB9_53:                               ;   in Loop: Header=BB9_15 Depth=1
	s_or_b64 exec, exec, s[18:19]
	v_lshl_add_u64 v[12:13], v[40:41], 2, s[12:13]
	v_lshlrev_b32_e32 v32, 2, v34
	v_lshl_add_u64 v[12:13], v[12:13], 0, v[32:33]
	v_lshl_add_u64 v[24:25], v[42:43], 2, s[12:13]
	;; [unrolled: 1-line block ×3, first 2 shown]
	global_load_dwordx4 v[96:99], v[12:13], off
	global_load_dwordx4 v[146:149], v[24:25], off
	v_add_u32_e32 v17, v65, v107
	v_add_u32_e32 v12, 0x1000, v17
	;; [unrolled: 1-line block ×3, first 2 shown]
	v_and_b32_e32 v13, 64, v143
	v_add_u32_e32 v25, 64, v13
	v_xor_b32_e32 v21, 32, v143
	v_cmp_lt_i32_e64 s[12:13], v21, v25
	s_waitcnt vmcnt(1)
	ds_write_b128 v106, v[96:99]
	s_waitcnt vmcnt(0)
	ds_write_b128 v134, v[146:149]
	s_waitcnt lgkmcnt(0)
	s_barrier
	ds_read2_b64 v[96:99], v17 offset1:4
	ds_read2_b64 v[150:153], v12 offset0:192 offset1:196
	s_waitcnt lgkmcnt(1)
	v_mfma_f32_16x16x16_f16 v[146:149], v[96:97], v[6:7], 0
	ds_read2_b64 v[158:161], v17 offset0:8 offset1:12
	v_cndmask_b32_e64 v21, v143, v21, s[12:13]
	v_lshlrev_b32_e32 v24, 2, v21
	v_mfma_f32_16x16x16_f16 v[96:99], v[98:99], v[8:9], v[146:149]
	s_nop 3
	ds_read2_b64 v[146:149], v12 offset0:200 offset1:204
	s_waitcnt lgkmcnt(2)
	v_mfma_f32_16x16x16_f16 v[154:157], v[150:151], v[6:7], 0
	ds_read_b64 v[12:13], v17 offset:128
	ds_read_b64 v[86:87], v17 offset:5760
	s_waitcnt lgkmcnt(0)
	s_barrier
	v_mfma_f32_16x16x16_f16 v[6:9], v[152:153], v[8:9], v[154:157]
	ds_read2_b32 v[92:93], v18 offset1:1
	ds_read_b32 v17, v108 offset:11264
	ds_read_b32 v18, v109 offset:11264
	v_mfma_f32_16x16x16_f16 v[96:99], v[158:159], v[2:3], v[96:99]
	s_waitcnt lgkmcnt(2)
	v_cvt_f32_f16_e32 v21, v92
	v_mfma_f32_16x16x16_f16 v[6:9], v[146:147], v[2:3], v[6:9]
	v_cvt_f32_f16_sdwa v89, v92 dst_sel:DWORD dst_unused:UNUSED_PAD src0_sel:WORD_1
	v_cvt_f32_f16_sdwa v91, v93 dst_sel:DWORD dst_unused:UNUSED_PAD src0_sel:WORD_1
	s_waitcnt lgkmcnt(1)
	v_cvt_f32_f16_e32 v92, v17
	v_mfma_f32_16x16x16_f16 v[96:99], v[160:161], v[4:5], v[96:99]
	v_mfma_f32_16x16x16_f16 v[2:5], v[148:149], v[4:5], v[6:9]
	;; [unrolled: 1-line block ×3, first 2 shown]
	s_nop 1
	v_cvt_f32_f16_e32 v6, v93
	v_cvt_f32_f16_sdwa v12, v17 dst_sel:DWORD dst_unused:UNUSED_PAD src0_sel:WORD_1
	s_waitcnt lgkmcnt(0)
	v_cvt_f32_f16_e32 v13, v18
	v_mfma_f32_16x16x16_f16 v[84:87], v[86:87], v[84:85], v[2:5]
	v_cvt_f32_f16_sdwa v17, v18 dst_sel:DWORD dst_unused:UNUSED_PAD src0_sel:WORD_1
	v_add_f32_e32 v9, v96, v21
	v_add_f32_e32 v8, v97, v89
	;; [unrolled: 1-line block ×4, first 2 shown]
	s_nop 2
	v_add_f32_e32 v4, v85, v12
	v_add_f32_e32 v3, v86, v13
	;; [unrolled: 1-line block ×8, first 2 shown]
	v_max3_f32 v12, v90, v12, v13
	v_add_f32_e32 v21, 0x40051340, v5
	v_add_f32_e32 v84, 0x40051340, v4
	v_max3_f32 v12, v12, v17, v18
	v_add_f32_e32 v85, 0x40051340, v3
	v_add_f32_e32 v86, 0x40051340, v2
	v_max3_f32 v12, v12, v21, v84
	v_max3_f32 v12, v12, v85, v86
	ds_bpermute_b32 v13, v24, v12
	v_xor_b32_e32 v17, 16, v143
	v_cmp_lt_i32_e64 s[12:13], v17, v25
	s_waitcnt lgkmcnt(0)
	v_max_f32_e32 v13, v13, v13
	v_cndmask_b32_e64 v17, v143, v17, s[12:13]
	v_lshlrev_b32_e32 v21, 2, v17
	v_max_f32_e32 v12, v12, v13
	ds_bpermute_b32 v13, v21, v12
	s_mul_hi_i32 s13, s14, s22
	s_mul_i32 s12, s14, s22
	s_lshl_b64 s[12:13], s[12:13], 2
	s_add_u32 s14, s96, s12
	s_addc_u32 s15, s2, s13
	s_and_saveexec_b64 s[12:13], s[16:17]
	s_cbranch_execz .LBB9_55
; %bb.54:                               ;   in Loop: Header=BB9_15 Depth=1
	v_lshl_add_u64 v[84:85], v[46:47], 2, s[14:15]
	v_lshlrev_b32_e32 v86, 2, v36
	v_mov_b32_e32 v87, v33
	v_lshl_add_u64 v[84:85], v[84:85], 0, v[86:87]
	global_load_dwordx4 v[84:87], v[84:85], off offset:128
	s_waitcnt vmcnt(0)
	ds_write_b128 v71, v[84:87]
.LBB9_55:                               ;   in Loop: Header=BB9_15 Depth=1
	s_or_b64 exec, exec, s[12:13]
	s_waitcnt lgkmcnt(0)
	v_max_f32_e32 v13, v13, v13
	v_max_f32_e32 v12, v12, v12
	;; [unrolled: 1-line block ×3, first 2 shown]
	v_sub_f32_e32 v9, v9, v18
	v_mul_f32_e32 v12, 0x3fb8aa3b, v9
	v_fma_f32 v13, v9, s69, -v12
	v_rndne_f32_e32 v17, v12
	v_fmac_f32_e32 v13, 0x32a5705f, v9
	v_sub_f32_e32 v12, v12, v17
	v_add_f32_e32 v12, v12, v13
	v_exp_f32_e32 v12, v12
	v_cvt_i32_f32_e32 v13, v17
	v_sub_f32_e32 v8, v8, v18
	v_cmp_ngt_f32_e64 s[12:13], s70, v9
	v_sub_f32_e32 v7, v7, v18
	v_ldexp_f32 v12, v12, v13
	v_mul_f32_e32 v13, 0x3fb8aa3b, v8
	v_fma_f32 v17, v8, s69, -v13
	v_rndne_f32_e32 v25, v13
	v_fmac_f32_e32 v17, 0x32a5705f, v8
	v_sub_f32_e32 v13, v13, v25
	v_add_f32_e32 v13, v13, v17
	v_exp_f32_e32 v13, v13
	v_cvt_i32_f32_e32 v17, v25
	v_cndmask_b32_e64 v12, 0, v12, s[12:13]
	v_cmp_nlt_f32_e64 s[12:13], s71, v9
	v_sub_f32_e32 v89, v6, v18
	v_ldexp_f32 v9, v13, v17
	v_cndmask_b32_e64 v25, v144, v12, s[12:13]
	v_mul_f32_e32 v12, 0x3fb8aa3b, v7
	v_fma_f32 v13, v7, s69, -v12
	v_rndne_f32_e32 v17, v12
	v_fmac_f32_e32 v13, 0x32a5705f, v7
	v_sub_f32_e32 v12, v12, v17
	v_add_f32_e32 v12, v12, v13
	v_exp_f32_e32 v12, v12
	v_cvt_i32_f32_e32 v13, v17
	v_cmp_ngt_f32_e64 s[12:13], s70, v8
	v_mul_f32_e32 v6, 0x3fb8aa3b, v89
	v_sub_f32_e32 v5, v5, v18
	v_cndmask_b32_e64 v9, 0, v9, s[12:13]
	v_cmp_nlt_f32_e64 s[12:13], s71, v8
	v_sub_f32_e32 v4, v4, v18
	v_sub_f32_e32 v3, v3, v18
	v_cndmask_b32_e64 v17, v144, v9, s[12:13]
	v_ldexp_f32 v9, v12, v13
	v_fma_f32 v12, v89, s69, -v6
	v_rndne_f32_e32 v13, v6
	v_fmac_f32_e32 v12, 0x32a5705f, v89
	v_sub_f32_e32 v6, v6, v13
	v_add_f32_e32 v6, v6, v12
	v_exp_f32_e32 v6, v6
	v_cvt_i32_f32_e32 v12, v13
	v_cmp_ngt_f32_e64 s[12:13], s70, v7
	v_add_f32_e32 v8, v25, v17
	v_sub_f32_e32 v2, v2, v18
	v_cndmask_b32_e64 v9, 0, v9, s[12:13]
	v_cmp_nlt_f32_e64 s[12:13], s71, v7
	v_ldexp_f32 v6, v6, v12
	v_sub_f32_e32 v90, v90, v18
	v_cndmask_b32_e64 v91, v144, v9, s[12:13]
	v_cmp_ngt_f32_e64 s[12:13], s70, v89
	v_add_f32_e32 v92, v91, v8
	v_lshl_add_u64 v[8:9], v[48:49], 2, s[14:15]
	v_cndmask_b32_e64 v93, 0, v6, s[12:13]
	v_mul_f32_e32 v6, 0x3fb8aa3b, v5
	v_fma_f32 v7, v5, s69, -v6
	v_rndne_f32_e32 v94, v6
	v_fmac_f32_e32 v7, 0x32a5705f, v5
	v_sub_f32_e32 v6, v6, v94
	v_add_f32_e32 v6, v6, v7
	v_exp_f32_e32 v96, v6
	v_lshl_add_u64 v[6:7], v[50:51], 2, s[14:15]
	v_lshl_add_u64 v[6:7], v[6:7], 0, v[32:33]
	;; [unrolled: 1-line block ×3, first 2 shown]
	global_load_dwordx4 v[6:9], v[6:7], off
	s_nop 0
	global_load_dwordx4 v[84:87], v[12:13], off
	v_cmp_nlt_f32_e64 s[12:13], s71, v89
	v_mul_f32_e32 v89, 0x3fb8aa3b, v4
	v_cvt_i32_f32_e32 v12, v94
	v_cndmask_b32_e64 v13, v144, v93, s[12:13]
	v_add_f32_e32 v32, v13, v92
	v_fma_f32 v92, v4, s69, -v89
	v_rndne_f32_e32 v93, v89
	v_fmac_f32_e32 v92, 0x32a5705f, v4
	v_sub_f32_e32 v89, v89, v93
	v_add_f32_e32 v89, v89, v92
	v_exp_f32_e32 v89, v89
	v_cvt_i32_f32_e32 v92, v93
	v_ldexp_f32 v12, v96, v12
	v_cmp_ngt_f32_e64 s[12:13], s70, v5
	s_cmp_lg_u64 s[82:83], 0
	s_waitcnt vmcnt(1)
	ds_write_b128 v106, v[6:9]
	s_waitcnt vmcnt(0)
	ds_write_b128 v134, v[84:87]
	v_cndmask_b32_e64 v12, 0, v12, s[12:13]
	v_cmp_nlt_f32_e64 s[12:13], s71, v5
	s_waitcnt lgkmcnt(0)
	s_barrier
	v_cndmask_b32_e64 v12, v144, v12, s[12:13]
	v_add_f32_e32 v5, v12, v32
	v_ldexp_f32 v32, v89, v92
	v_mul_f32_e32 v89, 0x3fb8aa3b, v3
	v_fma_f32 v92, v3, s69, -v89
	v_rndne_f32_e32 v93, v89
	v_fmac_f32_e32 v92, 0x32a5705f, v3
	v_sub_f32_e32 v89, v89, v93
	v_add_f32_e32 v89, v89, v92
	v_exp_f32_e32 v89, v89
	v_cvt_i32_f32_e32 v92, v93
	v_cmp_ngt_f32_e64 s[12:13], s70, v4
	v_cvt_pk_f16_f32 v85, v91, v13
	s_nop 0
	v_cndmask_b32_e64 v32, 0, v32, s[12:13]
	v_cmp_nlt_f32_e64 s[12:13], s71, v4
	v_cvt_pk_f16_f32 v84, v25, v17
	s_nop 0
	v_cndmask_b32_e64 v32, v144, v32, s[12:13]
	v_add_f32_e32 v4, v32, v5
	v_ldexp_f32 v5, v89, v92
	v_cmp_ngt_f32_e64 s[12:13], s70, v3
	v_cvt_pk_f16_f32 v86, v12, v32
	s_nop 0
	v_cndmask_b32_e64 v5, 0, v5, s[12:13]
	v_cmp_nlt_f32_e64 s[12:13], s71, v3
	s_nop 1
	v_cndmask_b32_e64 v89, v144, v5, s[12:13]
	v_add_f32_e32 v3, v89, v4
	v_mul_f32_e32 v4, 0x3fb8aa3b, v2
	v_fma_f32 v5, v2, s69, -v4
	v_rndne_f32_e32 v92, v4
	v_fmac_f32_e32 v5, 0x32a5705f, v2
	v_sub_f32_e32 v4, v4, v92
	v_add_f32_e32 v4, v4, v5
	v_cvt_i32_f32_e32 v5, v92
	v_mul_f32_e32 v92, 0x3fb8aa3b, v90
	v_fma_f32 v93, v90, s69, -v92
	v_rndne_f32_e32 v94, v92
	v_fmac_f32_e32 v93, 0x32a5705f, v90
	v_sub_f32_e32 v92, v92, v94
	v_exp_f32_e32 v4, v4
	v_add_f32_e32 v92, v92, v93
	v_exp_f32_e32 v92, v92
	v_cvt_i32_f32_e32 v93, v94
	v_ldexp_f32 v4, v4, v5
	v_cmp_ngt_f32_e64 s[12:13], s70, v2
	v_ldexp_f32 v5, v92, v93
	s_nop 0
	v_cndmask_b32_e64 v4, 0, v4, s[12:13]
	v_cmp_ngt_f32_e64 s[12:13], s70, v90
	s_nop 1
	v_cndmask_b32_e64 v5, 0, v5, s[12:13]
	v_cmp_nlt_f32_e64 s[12:13], s71, v90
	s_nop 1
	v_cndmask_b32_e64 v5, v144, v5, s[12:13]
	v_cmp_le_f32_e64 s[12:13], s26, v90
	s_nop 1
	v_cndmask_b32_e64 v5, 0, v5, s[12:13]
	v_cvt_f16_f32_e32 v90, v5
	v_cmp_nlt_f32_e64 s[12:13], s71, v2
	v_mul_u32_u24_e32 v90, 0x10001, v90
	s_nop 0
	v_cndmask_b32_e64 v92, v144, v4, s[12:13]
	v_add_f32_e32 v93, v92, v3
	v_fmac_f32_e32 v93, v95, v5
	v_pk_mul_f16 v3, v11, v90
	v_pk_mul_f16 v5, v10, v90
	;; [unrolled: 1-line block ×3, first 2 shown]
	ds_read_u16 v6, v104
	ds_read_u16 v7, v103
	ds_read_u16 v11, v103 offset:32
	ds_read_u16 v88, v102 offset:5840
	;; [unrolled: 1-line block ×9, first 2 shown]
	s_waitcnt lgkmcnt(9)
	v_perm_b32 v7, v6, v7, s10
	ds_read_u16 v6, v102 offset:176
	ds_read_u16 v8, v102
	ds_read_u16 v101, v102 offset:32
	ds_read_u16 v145, v102 offset:208
	;; [unrolled: 1-line block ×6, first 2 shown]
	s_waitcnt lgkmcnt(6)
	v_perm_b32 v6, v6, v8, s10
	v_cvt_f32_f16_e32 v2, v3
	v_cvt_f32_f16_sdwa v3, v3 dst_sel:DWORD dst_unused:UNUSED_PAD src0_sel:WORD_1
	v_cvt_f32_f16_e32 v4, v5
	v_cvt_f32_f16_sdwa v5, v5 dst_sel:DWORD dst_unused:UNUSED_PAD src0_sel:WORD_1
	v_pk_mul_f16 v150, v15, v90
	v_cvt_pk_f16_f32 v87, v89, v92
	v_mfma_f32_16x16x16_f16 v[2:5], v[6:7], v[84:85], v[2:5]
	ds_read_u16 v6, v103 offset:5632
	ds_read_u16 v13, v103 offset:5664
	;; [unrolled: 1-line block ×13, first 2 shown]
	s_waitcnt lgkmcnt(7)
	v_perm_b32 v7, v7, v6, s10
	ds_read_u16 v6, v102 offset:5632
	ds_read_u16 v8, v102 offset:5808
	;; [unrolled: 1-line block ×8, first 2 shown]
	v_cvt_f16_f32_e32 v2, v2
	v_cvt_f16_f32_e32 v3, v3
	v_cvt_f16_f32_e32 v4, v4
	v_cvt_f16_f32_e32 v5, v5
	s_waitcnt lgkmcnt(6)
	v_perm_b32 v6, v8, v6, s10
	v_cvt_f32_f16_e32 v2, v2
	v_cvt_f32_f16_e32 v3, v3
	;; [unrolled: 1-line block ×4, first 2 shown]
	v_pk_mul_f16 v16, v16, v90
	v_perm_b32 v11, v99, v11, s10
	v_mfma_f32_16x16x16_f16 v[6:9], v[6:7], v[86:87], v[2:5]
	v_pk_mul_f16 v163, v14, v90
	v_pk_mul_f16 v32, v20, v90
	s_nop 0
	v_cvt_f32_f16_e32 v2, v10
	v_cvt_f32_f16_sdwa v3, v10 dst_sel:DWORD dst_unused:UNUSED_PAD src0_sel:WORD_1
	v_perm_b32 v10, v145, v101, s10
	v_cvt_f32_f16_e32 v4, v16
	v_cvt_f32_f16_sdwa v5, v16 dst_sel:DWORD dst_unused:UNUSED_PAD src0_sel:WORD_1
	v_cvt_f16_f32_e32 v16, v8
	v_cvt_f16_f32_e32 v20, v9
	v_mfma_f32_16x16x16_f16 v[2:5], v[10:11], v[84:85], v[2:5]
	v_perm_b32 v11, v15, v13, s10
	s_waitcnt lgkmcnt(5)
	v_perm_b32 v10, v88, v157, s10
	v_perm_b32 v9, v151, v94, s10
	;; [unrolled: 1-line block ×3, first 2 shown]
	s_nop 2
	v_cvt_f16_f32_e32 v2, v2
	v_cvt_f16_f32_e32 v3, v3
	;; [unrolled: 1-line block ×4, first 2 shown]
	v_cvt_f32_f16_e32 v2, v2
	v_cvt_f32_f16_e32 v3, v3
	v_cvt_f32_f16_e32 v4, v4
	v_cvt_f32_f16_e32 v5, v5
	v_pk_mul_f16 v19, v19, v90
	v_perm_b32 v20, v20, v16, s10
	v_mfma_f32_16x16x16_f16 v[12:15], v[10:11], v[86:87], v[2:5]
	v_pk_mul_f16 v23, v23, v90
	v_pk_mul_f16 v90, v22, v90
	s_nop 0
	v_cvt_f32_f16_e32 v2, v150
	v_cvt_f32_f16_sdwa v3, v150 dst_sel:DWORD dst_unused:UNUSED_PAD src0_sel:WORD_1
	v_cvt_f32_f16_e32 v4, v163
	v_cvt_f32_f16_sdwa v5, v163 dst_sel:DWORD dst_unused:UNUSED_PAD src0_sel:WORD_1
	s_nop 0
	v_cvt_f16_f32_e32 v10, v14
	v_cvt_f16_f32_e32 v11, v15
	v_mfma_f32_16x16x16_f16 v[2:5], v[8:9], v[84:85], v[2:5]
	v_perm_b32 v9, v152, v17, s10
	s_waitcnt lgkmcnt(4)
	v_perm_b32 v8, v95, v158, s10
	v_perm_b32 v89, v156, v91, s10
	s_waitcnt lgkmcnt(0)
	v_perm_b32 v88, v162, v149, s10
	s_nop 1
	v_cvt_f16_f32_e32 v2, v2
	v_cvt_f16_f32_e32 v3, v3
	;; [unrolled: 1-line block ×4, first 2 shown]
	v_cvt_f32_f16_e32 v2, v2
	v_cvt_f32_f16_e32 v3, v3
	;; [unrolled: 1-line block ×4, first 2 shown]
	v_perm_b32 v22, v11, v10, s10
	v_cvt_f32_f16_e32 v10, v90
	v_mfma_f32_16x16x16_f16 v[14:17], v[8:9], v[86:87], v[2:5]
	v_perm_b32 v9, v153, v96, s10
	v_perm_b32 v8, v159, v148, s10
	s_nop 0
	v_cvt_f32_f16_e32 v2, v32
	v_cvt_f32_f16_sdwa v3, v32 dst_sel:DWORD dst_unused:UNUSED_PAD src0_sel:WORD_1
	v_cvt_f32_f16_e32 v4, v19
	v_cvt_f32_f16_sdwa v5, v19 dst_sel:DWORD dst_unused:UNUSED_PAD src0_sel:WORD_1
	v_cvt_f32_f16_sdwa v11, v90 dst_sel:DWORD dst_unused:UNUSED_PAD src0_sel:WORD_1
	v_cvt_f16_f32_e32 v16, v16
	v_mfma_f32_16x16x16_f16 v[2:5], v[8:9], v[84:85], v[2:5]
	v_perm_b32 v9, v154, v25, s10
	v_perm_b32 v8, v97, v160, s10
	v_cvt_f16_f32_e32 v17, v17
	v_cvt_f16_f32_e32 v92, v6
	s_nop 3
	v_cvt_f16_f32_e32 v2, v2
	v_cvt_f16_f32_e32 v3, v3
	;; [unrolled: 1-line block ×4, first 2 shown]
	v_cvt_f32_f16_e32 v2, v2
	v_cvt_f32_f16_e32 v3, v3
	v_cvt_f32_f16_e32 v4, v4
	v_cvt_f32_f16_e32 v5, v5
	v_perm_b32 v16, v17, v16, s10
	v_cvt_f16_f32_e32 v94, v7
	v_mfma_f32_16x16x16_f16 v[2:5], v[8:9], v[86:87], v[2:5]
	v_cvt_f32_f16_e32 v8, v23
	v_cvt_f32_f16_sdwa v9, v23 dst_sel:DWORD dst_unused:UNUSED_PAD src0_sel:WORD_1
	v_cvt_f16_f32_e32 v95, v12
	v_cvt_f16_f32_e32 v32, v13
	v_mfma_f32_16x16x16_f16 v[8:11], v[88:89], v[84:85], v[8:11]
	s_nop 2
	v_cvt_f16_f32_e32 v17, v4
	v_cvt_f16_f32_e32 v19, v5
	;; [unrolled: 1-line block ×4, first 2 shown]
	s_nop 0
	v_cvt_f16_f32_e32 v4, v8
	v_cvt_f16_f32_e32 v5, v9
	;; [unrolled: 1-line block ×4, first 2 shown]
	v_cvt_f32_f16_e32 v8, v4
	v_cvt_f32_f16_e32 v9, v5
	v_perm_b32 v5, v155, v100, s10
	v_perm_b32 v4, v98, v161, s10
	v_cvt_f32_f16_e32 v10, v10
	v_cvt_f32_f16_e32 v11, v11
	v_perm_b32 v17, v19, v17, s10
	v_cvt_f16_f32_e32 v84, v2
	v_mfma_f32_16x16x16_f16 v[8:11], v[4:5], v[86:87], v[8:11]
	ds_bpermute_b32 v4, v24, v93
	v_cvt_f16_f32_e32 v85, v3
	s_cselect_b64 s[12:13], -1, 0
	s_and_b64 s[12:13], s[4:5], s[12:13]
	s_nop 3
	v_cvt_f16_f32_e32 v5, v8
	s_waitcnt lgkmcnt(0)
	v_add_f32_e32 v4, v93, v4
	ds_bpermute_b32 v19, v21, v4
	v_cvt_f16_f32_e32 v10, v10
	v_cvt_f16_f32_e32 v11, v11
	;; [unrolled: 1-line block ×3, first 2 shown]
	v_perm_b32 v23, v94, v92, s10
	s_waitcnt lgkmcnt(0)
	v_add_f32_e32 v19, v4, v19
	v_perm_b32 v10, v11, v10, s10
	v_perm_b32 v11, v32, v95, s10
	;; [unrolled: 1-line block ×5, first 2 shown]
	s_barrier
	s_and_saveexec_b64 s[14:15], s[12:13]
	s_cbranch_execz .LBB9_57
; %bb.56:                               ;   in Loop: Header=BB9_15 Depth=1
	v_lshlrev_b32_e32 v4, 2, v28
	global_load_dword v5, v4, s[82:83]
	v_max_f32_e32 v4, v18, v18
	v_cvt_pk_f16_f32 v6, v6, v7
	v_cvt_pk_f16_f32 v7, v12, v13
	v_cvt_pk_f16_f32 v12, v14, v15
	v_cvt_pk_f16_f32 v2, v2, v3
	v_cvt_pk_f16_f32 v3, v8, v9
	s_waitcnt vmcnt(0)
	v_max_f32_e32 v11, v5, v5
	v_max_f32_e32 v4, v4, v11
	v_sub_f32_e32 v11, v18, v4
	v_sub_f32_e32 v5, v5, v4
	v_mul_f32_e32 v13, 0x3fb8aa3b, v11
	v_mul_f32_e32 v14, 0x3fb8aa3b, v5
	v_fma_f32 v15, v11, s69, -v13
	v_rndne_f32_e32 v18, v13
	v_fma_f32 v23, v5, s69, -v14
	v_rndne_f32_e32 v24, v14
	v_fmac_f32_e32 v15, 0x32a5705f, v11
	v_sub_f32_e32 v13, v13, v18
	v_fmac_f32_e32 v23, 0x32a5705f, v5
	v_sub_f32_e32 v14, v14, v24
	v_add_f32_e32 v13, v13, v15
	v_cvt_i32_f32_e32 v18, v18
	v_add_f32_e32 v14, v14, v23
	v_exp_f32_e32 v13, v13
	v_cvt_i32_f32_e32 v24, v24
	v_exp_f32_e32 v14, v14
	v_cmp_ngt_f32_e64 s[12:13], s70, v11
	v_ldexp_f32 v8, v13, v18
	v_ldexp_f32 v9, v14, v24
	v_cndmask_b32_e64 v8, 0, v8, s[12:13]
	v_cmp_ngt_f32_e64 s[12:13], s70, v5
	s_nop 1
	v_cndmask_b32_e64 v9, 0, v9, s[12:13]
	v_cmp_nlt_f32_e64 s[12:13], s71, v11
	s_nop 1
	v_cndmask_b32_e64 v8, v144, v8, s[12:13]
	v_cmp_le_f32_e64 s[12:13], s26, v11
	s_nop 1
	v_cndmask_b32_e64 v8, 0, v8, s[12:13]
	v_cvt_f16_f32_e32 v11, v8
	v_cmp_nlt_f32_e64 s[12:13], s71, v5
	s_nop 1
	v_cndmask_b32_e64 v5, v144, v9, s[12:13]
	v_fmac_f32_e32 v5, v19, v8
	v_mul_u32_u24_e32 v8, 0x10001, v11
	v_pk_mul_f16 v23, v6, v8
	v_pk_mul_f16 v20, v20, v8
	;; [unrolled: 1-line block ×10, first 2 shown]
	v_mov_b64_e32 v[18:19], v[4:5]
.LBB9_57:                               ;   in Loop: Header=BB9_15 Depth=1
	s_or_b64 exec, exec, s[14:15]
	s_mov_b64 s[12:13], exec
	v_readlane_b32 s14, v166, 19
	v_readlane_b32 s15, v166, 20
	s_and_b64 s[14:15], s[12:13], s[14:15]
	s_mov_b64 exec, s[14:15]
; %bb.58:                               ;   in Loop: Header=BB9_15 Depth=1
	v_add_u32_e32 v2, 0, v111
	ds_write2_b32 v2, v18, v19 offset0:40 offset1:41
; %bb.59:                               ;   in Loop: Header=BB9_15 Depth=1
	s_or_b64 exec, exec, s[12:13]
	s_waitcnt lgkmcnt(0)
	s_barrier
	s_mov_b64 s[12:13], exec
	v_readlane_b32 s14, v166, 14
	v_readlane_b32 s15, v166, 15
	s_and_b64 s[14:15], s[12:13], s[14:15]
	s_xor_b64 s[12:13], s[14:15], s[12:13]
	s_mov_b64 exec, s[14:15]
	s_cbranch_execz .LBB9_61
; %bb.60:                               ;   in Loop: Header=BB9_15 Depth=1
	s_barrier
                                        ; implicit-def: $vgpr21
.LBB9_61:                               ;   in Loop: Header=BB9_15 Depth=1
	s_andn2_saveexec_b64 s[14:15], s[12:13]
	s_cbranch_execz .LBB9_67
; %bb.62:                               ;   in Loop: Header=BB9_15 Depth=1
	v_add_u32_e32 v3, 0, v112
	ds_read_b64 v[6:7], v3 offset:160
	s_waitcnt lgkmcnt(0)
	s_barrier
	ds_bpermute_b32 v2, v21, v6
	v_max_f32_e32 v4, v6, v6
	s_waitcnt lgkmcnt(0)
	v_max_f32_e32 v2, v2, v2
	v_max_f32_e32 v2, v4, v2
	v_sub_f32_e32 v4, v6, v2
	v_mul_f32_e32 v5, 0x3fb8aa3b, v4
	v_fma_f32 v6, v4, s69, -v5
	v_rndne_f32_e32 v8, v5
	v_fmac_f32_e32 v6, 0x32a5705f, v4
	v_sub_f32_e32 v5, v5, v8
	v_add_f32_e32 v5, v5, v6
	v_cvt_i32_f32_e32 v8, v8
	v_exp_f32_e32 v5, v5
	v_cmp_ngt_f32_e64 s[12:13], s70, v4
	v_ldexp_f32 v5, v5, v8
	s_nop 0
	v_cndmask_b32_e64 v5, 0, v5, s[12:13]
	v_cmp_nlt_f32_e64 s[12:13], s71, v4
	s_nop 1
	v_cndmask_b32_e64 v4, v144, v5, s[12:13]
	v_mul_f32_e32 v5, v7, v4
	ds_bpermute_b32 v5, v21, v5
	s_waitcnt lgkmcnt(0)
	v_fmac_f32_e32 v5, v7, v4
	s_mov_b64 s[12:13], exec
	v_readlane_b32 s18, v166, 21
	v_readlane_b32 s19, v166, 22
	s_and_b64 s[18:19], s[12:13], s[18:19]
	s_mov_b64 exec, s[18:19]
; %bb.63:                               ;   in Loop: Header=BB9_15 Depth=1
	ds_write_b64 v3, v[4:5] offset:160
; %bb.64:                               ;   in Loop: Header=BB9_15 Depth=1
	s_or_b64 exec, exec, s[12:13]
	s_mov_b64 s[12:13], exec
	v_readlane_b32 s18, v166, 19
	v_readlane_b32 s19, v166, 20
	s_and_b64 s[18:19], s[12:13], s[18:19]
	s_mov_b64 exec, s[18:19]
	s_cbranch_execz .LBB9_66
; %bb.65:                               ;   in Loop: Header=BB9_15 Depth=1
	v_mov_b32_e32 v3, v5
	global_store_dwordx2 v[38:39], v[2:3], off
.LBB9_66:                               ;   in Loop: Header=BB9_15 Depth=1
	s_or_b64 exec, exec, s[12:13]
.LBB9_67:                               ;   in Loop: Header=BB9_15 Depth=1
	s_or_b64 exec, exec, s[14:15]
	ds_write2_b32 v105, v23, v20 offset1:1
	ds_write2_b32 v105, v11, v22 offset0:8 offset1:9
	ds_write2_b32 v105, v24, v16 offset0:16 offset1:17
	;; [unrolled: 1-line block ×4, first 2 shown]
	s_waitcnt lgkmcnt(0)
	s_barrier
	s_and_saveexec_b64 s[90:91], s[4:5]
	s_cbranch_execz .LBB9_112
; %bb.68:                               ;   in Loop: Header=BB9_15 Depth=1
	v_add_u32_e32 v3, s28, v138
	v_or_b32_e32 v2, s11, v64
	v_cmp_gt_i32_e64 s[14:15], s20, v3
	v_cmp_gt_i32_e64 s[12:13], s3, v2
	s_and_b64 s[18:19], s[14:15], s[12:13]
	v_mov_b32_e32 v2, 0x47
	s_and_saveexec_b64 s[14:15], s[18:19]
	s_cbranch_execz .LBB9_70
; %bb.69:                               ;   in Loop: Header=BB9_15 Depth=1
	v_mad_u64_u32 v[2:3], s[18:19], v3, s21, v[64:65]
	v_add_u32_e32 v3, 0, v117
	v_add_u32_e32 v4, v132, v117
	;; [unrolled: 1-line block ×3, first 2 shown]
	ds_read2st64_b32 v[4:5], v4 offset1:11
	ds_read2st64_b32 v[6:7], v3 offset1:11
	v_mad_u64_u32 v[2:3], s[18:19], v2, 40, v[26:27]
	v_ashrrev_i32_e32 v3, 31, v2
	s_waitcnt lgkmcnt(1)
	v_cvt_f32_f16_e32 v8, v4
	v_cvt_f32_f16_sdwa v9, v4 dst_sel:DWORD dst_unused:UNUSED_PAD src0_sel:WORD_1
	v_cvt_f32_f16_e32 v4, v5
	v_cvt_f32_f16_sdwa v5, v5 dst_sel:DWORD dst_unused:UNUSED_PAD src0_sel:WORD_1
	v_lshl_add_u64 v[2:3], v[2:3], 3, s[80:81]
	s_waitcnt lgkmcnt(0)
	v_pk_fma_f32 v[8:9], v[6:7], v[8:9], 0 op_sel_hi:[0,1,0]
	v_mov_b32_e32 v6, v7
	v_pk_fma_f32 v[4:5], v[6:7], v[4:5], v[8:9] op_sel_hi:[0,1,1]
	global_store_dwordx2 v[2:3], v[4:5], off
	v_mov_b32_e32 v2, 0
.LBB9_70:                               ;   in Loop: Header=BB9_15 Depth=1
	s_or_b64 exec, exec, s[14:15]
	s_movk_i32 s14, 0x47
	v_cmp_gt_i32_e64 s[14:15], s14, v2
	s_mov_b64 s[18:19], -1
	s_and_saveexec_b64 s[92:93], s[14:15]
; %bb.71:                               ;   in Loop: Header=BB9_15 Depth=1
	v_cmp_eq_u32_e64 s[14:15], 0, v2
	s_orn2_b64 s[18:19], s[14:15], exec
; %bb.72:                               ;   in Loop: Header=BB9_15 Depth=1
	s_or_b64 exec, exec, s[92:93]
	s_and_saveexec_b64 s[92:93], s[18:19]
	s_cbranch_execz .LBB9_105
; %bb.73:                               ;   in Loop: Header=BB9_15 Depth=1
	v_add_u32_e32 v3, s28, v139
	v_or_b32_e32 v2, s11, v66
	v_cmp_gt_i32_e64 s[14:15], s20, v3
	v_cmp_gt_i32_e64 s[18:19], s3, v2
	s_and_b64 s[18:19], s[14:15], s[18:19]
	v_mov_b32_e32 v2, 0x47
	s_and_saveexec_b64 s[14:15], s[18:19]
	s_cbranch_execz .LBB9_75
; %bb.74:                               ;   in Loop: Header=BB9_15 Depth=1
	v_mad_u64_u32 v[2:3], s[18:19], v3, s21, v[66:67]
	v_add_u32_e32 v3, 0, v118
	v_add_u32_e32 v4, v132, v118
	;; [unrolled: 1-line block ×3, first 2 shown]
	ds_read2st64_b32 v[4:5], v4 offset1:11
	ds_read2st64_b32 v[6:7], v3 offset1:11
	v_mad_u64_u32 v[2:3], s[18:19], v2, 40, v[26:27]
	v_ashrrev_i32_e32 v3, 31, v2
	s_waitcnt lgkmcnt(1)
	v_cvt_f32_f16_e32 v8, v4
	v_cvt_f32_f16_sdwa v9, v4 dst_sel:DWORD dst_unused:UNUSED_PAD src0_sel:WORD_1
	v_cvt_f32_f16_e32 v4, v5
	v_cvt_f32_f16_sdwa v5, v5 dst_sel:DWORD dst_unused:UNUSED_PAD src0_sel:WORD_1
	v_lshl_add_u64 v[2:3], v[2:3], 3, s[80:81]
	s_waitcnt lgkmcnt(0)
	v_pk_fma_f32 v[8:9], v[6:7], v[8:9], 0 op_sel_hi:[0,1,0]
	v_mov_b32_e32 v6, v7
	v_pk_fma_f32 v[4:5], v[6:7], v[4:5], v[8:9] op_sel_hi:[0,1,1]
	global_store_dwordx2 v[2:3], v[4:5], off
	v_mov_b32_e32 v2, 0
.LBB9_75:                               ;   in Loop: Header=BB9_15 Depth=1
	s_or_b64 exec, exec, s[14:15]
	s_movk_i32 s14, 0x47
	v_cmp_gt_i32_e64 s[14:15], s14, v2
	s_mov_b64 s[18:19], -1
	s_and_saveexec_b64 s[94:95], s[14:15]
; %bb.76:                               ;   in Loop: Header=BB9_15 Depth=1
	v_cmp_eq_u32_e64 s[14:15], 0, v2
	s_orn2_b64 s[18:19], s[14:15], exec
; %bb.77:                               ;   in Loop: Header=BB9_15 Depth=1
	s_or_b64 exec, exec, s[94:95]
	s_and_b64 exec, exec, s[18:19]
	s_cbranch_execz .LBB9_105
; %bb.78:                               ;   in Loop: Header=BB9_15 Depth=1
	v_add_u32_e32 v3, s28, v119
	v_cmp_gt_i32_e64 s[14:15], s20, v3
	s_and_b64 s[18:19], s[14:15], s[12:13]
	v_mov_b32_e32 v2, 0x47
	s_and_saveexec_b64 s[14:15], s[18:19]
	s_cbranch_execz .LBB9_80
; %bb.79:                               ;   in Loop: Header=BB9_15 Depth=1
	v_mad_u64_u32 v[2:3], s[18:19], v3, s21, v[64:65]
	v_add_u32_e32 v3, 0, v120
	v_add_u32_e32 v4, v132, v120
	;; [unrolled: 1-line block ×3, first 2 shown]
	ds_read2st64_b32 v[4:5], v4 offset1:11
	ds_read2st64_b32 v[6:7], v3 offset1:11
	v_mad_u64_u32 v[2:3], s[18:19], v2, 40, v[26:27]
	v_ashrrev_i32_e32 v3, 31, v2
	s_waitcnt lgkmcnt(1)
	v_cvt_f32_f16_e32 v8, v4
	v_cvt_f32_f16_sdwa v9, v4 dst_sel:DWORD dst_unused:UNUSED_PAD src0_sel:WORD_1
	v_cvt_f32_f16_e32 v4, v5
	v_cvt_f32_f16_sdwa v5, v5 dst_sel:DWORD dst_unused:UNUSED_PAD src0_sel:WORD_1
	v_lshl_add_u64 v[2:3], v[2:3], 3, s[80:81]
	s_waitcnt lgkmcnt(0)
	v_pk_fma_f32 v[8:9], v[6:7], v[8:9], 0 op_sel_hi:[0,1,0]
	v_mov_b32_e32 v6, v7
	v_pk_fma_f32 v[4:5], v[6:7], v[4:5], v[8:9] op_sel_hi:[0,1,1]
	global_store_dwordx2 v[2:3], v[4:5], off
	v_mov_b32_e32 v2, 0
.LBB9_80:                               ;   in Loop: Header=BB9_15 Depth=1
	s_or_b64 exec, exec, s[14:15]
	s_movk_i32 s14, 0x47
	v_cmp_gt_i32_e64 s[14:15], s14, v2
	s_mov_b64 s[18:19], -1
	s_and_saveexec_b64 s[94:95], s[14:15]
; %bb.81:                               ;   in Loop: Header=BB9_15 Depth=1
	v_cmp_eq_u32_e64 s[14:15], 0, v2
	s_orn2_b64 s[18:19], s[14:15], exec
; %bb.82:                               ;   in Loop: Header=BB9_15 Depth=1
	s_or_b64 exec, exec, s[94:95]
	s_and_b64 exec, exec, s[18:19]
	s_cbranch_execz .LBB9_105
; %bb.83:                               ;   in Loop: Header=BB9_15 Depth=1
	v_add_u32_e32 v3, s28, v140
	v_or_b32_e32 v2, s11, v68
	v_cmp_gt_i32_e64 s[14:15], s20, v3
	v_cmp_gt_i32_e64 s[18:19], s3, v2
	s_and_b64 s[18:19], s[14:15], s[18:19]
	v_mov_b32_e32 v2, 0x47
	s_and_saveexec_b64 s[14:15], s[18:19]
	s_cbranch_execz .LBB9_85
; %bb.84:                               ;   in Loop: Header=BB9_15 Depth=1
	v_mad_u64_u32 v[2:3], s[18:19], v3, s21, v[68:69]
	v_add_u32_e32 v3, 0, v121
	v_add_u32_e32 v4, v132, v121
	;; [unrolled: 1-line block ×3, first 2 shown]
	ds_read2st64_b32 v[4:5], v4 offset1:11
	ds_read2st64_b32 v[6:7], v3 offset1:11
	v_mad_u64_u32 v[2:3], s[18:19], v2, 40, v[26:27]
	v_ashrrev_i32_e32 v3, 31, v2
	s_waitcnt lgkmcnt(1)
	v_cvt_f32_f16_e32 v8, v4
	v_cvt_f32_f16_sdwa v9, v4 dst_sel:DWORD dst_unused:UNUSED_PAD src0_sel:WORD_1
	v_cvt_f32_f16_e32 v4, v5
	v_cvt_f32_f16_sdwa v5, v5 dst_sel:DWORD dst_unused:UNUSED_PAD src0_sel:WORD_1
	v_lshl_add_u64 v[2:3], v[2:3], 3, s[80:81]
	s_waitcnt lgkmcnt(0)
	v_pk_fma_f32 v[8:9], v[6:7], v[8:9], 0 op_sel_hi:[0,1,0]
	v_mov_b32_e32 v6, v7
	v_pk_fma_f32 v[4:5], v[6:7], v[4:5], v[8:9] op_sel_hi:[0,1,1]
	global_store_dwordx2 v[2:3], v[4:5], off
	v_mov_b32_e32 v2, 0
.LBB9_85:                               ;   in Loop: Header=BB9_15 Depth=1
	s_or_b64 exec, exec, s[14:15]
	s_movk_i32 s14, 0x47
	v_cmp_gt_i32_e64 s[14:15], s14, v2
	s_mov_b64 s[18:19], -1
	s_and_saveexec_b64 s[94:95], s[14:15]
; %bb.86:                               ;   in Loop: Header=BB9_15 Depth=1
	v_cmp_eq_u32_e64 s[14:15], 0, v2
	s_orn2_b64 s[18:19], s[14:15], exec
; %bb.87:                               ;   in Loop: Header=BB9_15 Depth=1
	s_or_b64 exec, exec, s[94:95]
	s_and_b64 exec, exec, s[18:19]
	s_cbranch_execz .LBB9_105
; %bb.88:                               ;   in Loop: Header=BB9_15 Depth=1
	v_add_u32_e32 v3, s28, v122
	v_cmp_gt_i32_e64 s[14:15], s20, v3
	s_and_b64 s[18:19], s[14:15], s[12:13]
	v_mov_b32_e32 v2, 0x47
	s_and_saveexec_b64 s[14:15], s[18:19]
	s_cbranch_execz .LBB9_90
; %bb.89:                               ;   in Loop: Header=BB9_15 Depth=1
	v_mad_u64_u32 v[2:3], s[18:19], v3, s21, v[64:65]
	v_add_u32_e32 v3, 0, v123
	v_add_u32_e32 v4, v132, v123
	;; [unrolled: 1-line block ×3, first 2 shown]
	ds_read2st64_b32 v[4:5], v4 offset1:11
	ds_read2st64_b32 v[6:7], v3 offset1:11
	v_mad_u64_u32 v[2:3], s[18:19], v2, 40, v[26:27]
	v_ashrrev_i32_e32 v3, 31, v2
	s_waitcnt lgkmcnt(1)
	v_cvt_f32_f16_e32 v8, v4
	v_cvt_f32_f16_sdwa v9, v4 dst_sel:DWORD dst_unused:UNUSED_PAD src0_sel:WORD_1
	v_cvt_f32_f16_e32 v4, v5
	v_cvt_f32_f16_sdwa v5, v5 dst_sel:DWORD dst_unused:UNUSED_PAD src0_sel:WORD_1
	v_lshl_add_u64 v[2:3], v[2:3], 3, s[80:81]
	s_waitcnt lgkmcnt(0)
	v_pk_fma_f32 v[8:9], v[6:7], v[8:9], 0 op_sel_hi:[0,1,0]
	v_mov_b32_e32 v6, v7
	v_pk_fma_f32 v[4:5], v[6:7], v[4:5], v[8:9] op_sel_hi:[0,1,1]
	global_store_dwordx2 v[2:3], v[4:5], off
	v_mov_b32_e32 v2, 0
.LBB9_90:                               ;   in Loop: Header=BB9_15 Depth=1
	s_or_b64 exec, exec, s[14:15]
	s_movk_i32 s14, 0x47
	v_cmp_gt_i32_e64 s[14:15], s14, v2
	s_mov_b64 s[18:19], -1
	s_and_saveexec_b64 s[94:95], s[14:15]
; %bb.91:                               ;   in Loop: Header=BB9_15 Depth=1
	v_cmp_eq_u32_e64 s[14:15], 0, v2
	s_orn2_b64 s[18:19], s[14:15], exec
; %bb.92:                               ;   in Loop: Header=BB9_15 Depth=1
	s_or_b64 exec, exec, s[94:95]
	s_and_b64 exec, exec, s[18:19]
	s_cbranch_execz .LBB9_105
; %bb.93:                               ;   in Loop: Header=BB9_15 Depth=1
	v_add_u32_e32 v3, s28, v141
	v_or_b32_e32 v2, s11, v70
	v_cmp_gt_i32_e64 s[14:15], s20, v3
	v_cmp_gt_i32_e64 s[18:19], s3, v2
	s_and_b64 s[18:19], s[14:15], s[18:19]
	v_mov_b32_e32 v2, 0x47
	s_and_saveexec_b64 s[14:15], s[18:19]
	s_cbranch_execz .LBB9_95
; %bb.94:                               ;   in Loop: Header=BB9_15 Depth=1
	v_mad_u64_u32 v[2:3], s[18:19], v3, s21, v[70:71]
	v_add_u32_e32 v3, 0, v124
	v_add_u32_e32 v4, v132, v124
	;; [unrolled: 1-line block ×3, first 2 shown]
	ds_read2st64_b32 v[4:5], v4 offset1:11
	ds_read2st64_b32 v[6:7], v3 offset1:11
	v_mad_u64_u32 v[2:3], s[18:19], v2, 40, v[26:27]
	v_ashrrev_i32_e32 v3, 31, v2
	s_waitcnt lgkmcnt(1)
	v_cvt_f32_f16_e32 v8, v4
	v_cvt_f32_f16_sdwa v9, v4 dst_sel:DWORD dst_unused:UNUSED_PAD src0_sel:WORD_1
	v_cvt_f32_f16_e32 v4, v5
	v_cvt_f32_f16_sdwa v5, v5 dst_sel:DWORD dst_unused:UNUSED_PAD src0_sel:WORD_1
	v_lshl_add_u64 v[2:3], v[2:3], 3, s[80:81]
	s_waitcnt lgkmcnt(0)
	v_pk_fma_f32 v[8:9], v[6:7], v[8:9], 0 op_sel_hi:[0,1,0]
	v_mov_b32_e32 v6, v7
	v_pk_fma_f32 v[4:5], v[6:7], v[4:5], v[8:9] op_sel_hi:[0,1,1]
	global_store_dwordx2 v[2:3], v[4:5], off
	v_mov_b32_e32 v2, 0
.LBB9_95:                               ;   in Loop: Header=BB9_15 Depth=1
	s_or_b64 exec, exec, s[14:15]
	s_movk_i32 s14, 0x47
	v_cmp_gt_i32_e64 s[14:15], s14, v2
	s_mov_b64 s[18:19], -1
	s_and_saveexec_b64 s[94:95], s[14:15]
; %bb.96:                               ;   in Loop: Header=BB9_15 Depth=1
	v_cmp_eq_u32_e64 s[14:15], 0, v2
	s_orn2_b64 s[18:19], s[14:15], exec
; %bb.97:                               ;   in Loop: Header=BB9_15 Depth=1
	s_or_b64 exec, exec, s[94:95]
	s_and_b64 exec, exec, s[18:19]
	s_cbranch_execz .LBB9_105
; %bb.98:                               ;   in Loop: Header=BB9_15 Depth=1
	v_add_u32_e32 v3, s28, v125
	v_cmp_gt_i32_e64 s[14:15], s20, v3
	s_and_b64 s[14:15], s[14:15], s[12:13]
	v_mov_b32_e32 v2, 0x47
	s_and_saveexec_b64 s[12:13], s[14:15]
	s_cbranch_execz .LBB9_100
; %bb.99:                               ;   in Loop: Header=BB9_15 Depth=1
	v_mad_u64_u32 v[2:3], s[14:15], v3, s21, v[64:65]
	v_add_u32_e32 v3, 0, v126
	v_add_u32_e32 v4, v132, v126
	;; [unrolled: 1-line block ×3, first 2 shown]
	ds_read2st64_b32 v[4:5], v4 offset1:11
	ds_read2st64_b32 v[6:7], v3 offset1:11
	v_mad_u64_u32 v[2:3], s[14:15], v2, 40, v[26:27]
	v_ashrrev_i32_e32 v3, 31, v2
	s_waitcnt lgkmcnt(1)
	v_cvt_f32_f16_e32 v8, v4
	v_cvt_f32_f16_sdwa v9, v4 dst_sel:DWORD dst_unused:UNUSED_PAD src0_sel:WORD_1
	v_cvt_f32_f16_e32 v4, v5
	v_cvt_f32_f16_sdwa v5, v5 dst_sel:DWORD dst_unused:UNUSED_PAD src0_sel:WORD_1
	v_lshl_add_u64 v[2:3], v[2:3], 3, s[80:81]
	s_waitcnt lgkmcnt(0)
	v_pk_fma_f32 v[8:9], v[6:7], v[8:9], 0 op_sel_hi:[0,1,0]
	v_mov_b32_e32 v6, v7
	v_pk_fma_f32 v[4:5], v[6:7], v[4:5], v[8:9] op_sel_hi:[0,1,1]
	global_store_dwordx2 v[2:3], v[4:5], off
	v_mov_b32_e32 v2, 0
.LBB9_100:                              ;   in Loop: Header=BB9_15 Depth=1
	s_or_b64 exec, exec, s[12:13]
	s_movk_i32 s12, 0x47
	v_cmp_gt_i32_e64 s[12:13], s12, v2
	s_mov_b64 s[14:15], -1
	s_and_saveexec_b64 s[18:19], s[12:13]
; %bb.101:                              ;   in Loop: Header=BB9_15 Depth=1
	v_cmp_eq_u32_e64 s[12:13], 0, v2
	s_orn2_b64 s[14:15], s[12:13], exec
; %bb.102:                              ;   in Loop: Header=BB9_15 Depth=1
	s_or_b64 exec, exec, s[18:19]
	s_and_b64 exec, exec, s[14:15]
	s_cbranch_execz .LBB9_105
; %bb.103:                              ;   in Loop: Header=BB9_15 Depth=1
	v_add_u32_e32 v2, s28, v142
	v_or_b32_e32 v3, s11, v72
	v_cmp_gt_i32_e64 s[12:13], s20, v2
	v_cmp_gt_i32_e64 s[14:15], s3, v3
	s_and_b64 s[12:13], s[12:13], s[14:15]
	s_and_b64 exec, exec, s[12:13]
	s_cbranch_execz .LBB9_105
; %bb.104:                              ;   in Loop: Header=BB9_15 Depth=1
	v_mad_u64_u32 v[2:3], s[12:13], v2, s21, v[72:73]
	v_add_u32_e32 v3, 0, v127
	v_add_u32_e32 v4, v132, v127
	;; [unrolled: 1-line block ×3, first 2 shown]
	ds_read2st64_b32 v[4:5], v4 offset1:11
	ds_read2st64_b32 v[6:7], v3 offset1:11
	v_mad_u64_u32 v[2:3], s[12:13], v2, 40, v[26:27]
	v_ashrrev_i32_e32 v3, 31, v2
	s_waitcnt lgkmcnt(1)
	v_cvt_f32_f16_e32 v8, v4
	v_cvt_f32_f16_sdwa v9, v4 dst_sel:DWORD dst_unused:UNUSED_PAD src0_sel:WORD_1
	v_cvt_f32_f16_e32 v4, v5
	v_cvt_f32_f16_sdwa v5, v5 dst_sel:DWORD dst_unused:UNUSED_PAD src0_sel:WORD_1
	v_lshl_add_u64 v[2:3], v[2:3], 3, s[80:81]
	s_waitcnt lgkmcnt(0)
	v_pk_fma_f32 v[8:9], v[6:7], v[8:9], 0 op_sel_hi:[0,1,0]
	v_mov_b32_e32 v6, v7
	v_pk_fma_f32 v[4:5], v[6:7], v[4:5], v[8:9] op_sel_hi:[0,1,1]
	global_store_dwordx2 v[2:3], v[4:5], off
.LBB9_105:                              ;   in Loop: Header=BB9_15 Depth=1
	s_or_b64 exec, exec, s[92:93]
	v_add_u32_e32 v3, s28, v128
	v_cmp_gt_i32_e64 s[12:13], s20, v3
	s_and_b64 s[14:15], s[12:13], vcc
	v_mov_b32_e32 v2, 0x47
	s_and_saveexec_b64 s[12:13], s[14:15]
	s_cbranch_execz .LBB9_107
; %bb.106:                              ;   in Loop: Header=BB9_15 Depth=1
	v_mad_u64_u32 v[2:3], s[14:15], v3, s21, v[60:61]
	v_mul_lo_u32 v6, v2, 40
	v_add_u32_e32 v2, v113, v129
	v_add_u32_e32 v2, 0x80, v2
	ds_read2st64_b32 v[2:3], v2 offset1:11
	v_add_u32_e32 v4, 0, v129
	v_add_u32_e32 v4, 0xa0, v4
	ds_read2st64_b32 v[4:5], v4 offset1:11
	v_ashrrev_i32_e32 v7, 31, v6
	s_waitcnt lgkmcnt(1)
	v_cvt_f32_f16_e32 v8, v2
	v_cvt_f32_f16_sdwa v9, v2 dst_sel:DWORD dst_unused:UNUSED_PAD src0_sel:WORD_1
	v_cvt_f32_f16_e32 v2, v3
	v_cvt_f32_f16_sdwa v3, v3 dst_sel:DWORD dst_unused:UNUSED_PAD src0_sel:WORD_1
	v_or_b32_e32 v6, v6, v28
	s_waitcnt lgkmcnt(0)
	v_pk_fma_f32 v[8:9], v[4:5], v[8:9], 0 op_sel_hi:[0,1,0]
	v_mov_b32_e32 v4, v5
	v_lshl_add_u64 v[6:7], v[6:7], 3, s[80:81]
	v_pk_fma_f32 v[2:3], v[4:5], v[2:3], v[8:9] op_sel_hi:[0,1,1]
	global_store_dwordx2 v[6:7], v[2:3], off offset:256
	v_mov_b32_e32 v2, 0
.LBB9_107:                              ;   in Loop: Header=BB9_15 Depth=1
	s_or_b64 exec, exec, s[12:13]
	s_movk_i32 s12, 0x47
	v_cmp_gt_i32_e64 s[12:13], s12, v2
	s_mov_b64 s[14:15], -1
	s_and_saveexec_b64 s[18:19], s[12:13]
; %bb.108:                              ;   in Loop: Header=BB9_15 Depth=1
	v_cmp_eq_u32_e64 s[12:13], 0, v2
	s_orn2_b64 s[14:15], s[12:13], exec
; %bb.109:                              ;   in Loop: Header=BB9_15 Depth=1
	s_or_b64 exec, exec, s[18:19]
	s_and_b64 exec, exec, s[14:15]
	s_cbranch_execz .LBB9_112
; %bb.110:                              ;   in Loop: Header=BB9_15 Depth=1
	v_add_u32_e32 v2, s28, v130
	v_cmp_gt_i32_e64 s[12:13], s20, v2
	s_and_b64 s[12:13], s[12:13], vcc
	s_and_b64 exec, exec, s[12:13]
	s_cbranch_execz .LBB9_112
; %bb.111:                              ;   in Loop: Header=BB9_15 Depth=1
	v_mad_u64_u32 v[2:3], s[12:13], v2, s21, v[60:61]
	v_mul_lo_u32 v6, v2, 40
	v_add_u32_e32 v2, v113, v131
	v_add_u32_e32 v2, 0x80, v2
	ds_read2st64_b32 v[2:3], v2 offset1:11
	v_add_u32_e32 v4, 0, v131
	v_add_u32_e32 v4, 0xa0, v4
	ds_read2st64_b32 v[4:5], v4 offset1:11
	v_ashrrev_i32_e32 v7, 31, v6
	s_waitcnt lgkmcnt(1)
	v_cvt_f32_f16_e32 v8, v2
	v_cvt_f32_f16_sdwa v9, v2 dst_sel:DWORD dst_unused:UNUSED_PAD src0_sel:WORD_1
	v_cvt_f32_f16_e32 v2, v3
	v_cvt_f32_f16_sdwa v3, v3 dst_sel:DWORD dst_unused:UNUSED_PAD src0_sel:WORD_1
	v_or_b32_e32 v6, v6, v28
	s_waitcnt lgkmcnt(0)
	v_pk_fma_f32 v[8:9], v[4:5], v[8:9], 0 op_sel_hi:[0,1,0]
	v_mov_b32_e32 v4, v5
	v_lshl_add_u64 v[6:7], v[6:7], 3, s[80:81]
	v_pk_fma_f32 v[2:3], v[4:5], v[2:3], v[8:9] op_sel_hi:[0,1,1]
	global_store_dwordx2 v[6:7], v[2:3], off offset:256
.LBB9_112:                              ;   in Loop: Header=BB9_15 Depth=1
	s_or_b64 exec, exec, s[90:91]
	s_barrier
	s_branch .LBB9_14
.LBB9_113:                              ;   in Loop: Header=BB9_15 Depth=1
	s_lshl_b32 s9, s9, 2
	v_add_u32_e32 v2, s9, v135
	v_cmp_le_i32_e64 s[12:13], s20, v2
	v_cmp_le_i32_e64 s[14:15], s3, v75
	v_cmp_gt_i32_e32 vcc, s3, v75
	s_or_b64 s[12:13], s[12:13], s[14:15]
	s_and_saveexec_b64 s[14:15], s[12:13]
	s_xor_b64 s[12:13], exec, s[14:15]
; %bb.114:                              ;   in Loop: Header=BB9_15 Depth=1
	v_add_u32_e32 v2, v132, v137
	ds_write_b32 v2, v33
                                        ; implicit-def: $vgpr2
; %bb.115:                              ;   in Loop: Header=BB9_15 Depth=1
	s_andn2_saveexec_b64 s[12:13], s[12:13]
	s_cbranch_execz .LBB9_117
; %bb.116:                              ;   in Loop: Header=BB9_15 Depth=1
	v_mad_u64_u32 v[2:3], s[14:15], v2, s61, v[74:75]
	v_ashrrev_i32_e32 v3, 31, v2
	v_lshl_add_u64 v[2:3], v[2:3], 3, s[86:87]
	global_load_dwordx2 v[2:3], v[2:3], off
	s_waitcnt vmcnt(0)
	v_cvt_pk_f16_f32 v2, v2, v3
	v_pk_mul_f16 v2, v2, v133
	v_add_u32_e32 v3, v132, v137
	ds_write_b32 v3, v2
.LBB9_117:                              ;   in Loop: Header=BB9_15 Depth=1
	s_or_b64 exec, exec, s[12:13]
	v_add_u32_e32 v2, s9, v114
	v_cmp_le_i32_e64 s[12:13], s20, v2
	s_xor_b64 s[14:15], vcc, -1
	s_or_b64 s[12:13], s[12:13], s[14:15]
	s_and_saveexec_b64 s[18:19], s[12:13]
	s_xor_b64 s[12:13], exec, s[18:19]
; %bb.118:                              ;   in Loop: Header=BB9_15 Depth=1
	v_add_u32_e32 v2, v132, v137
	ds_write_b32 v2, v33 offset:1408
                                        ; implicit-def: $vgpr2
; %bb.119:                              ;   in Loop: Header=BB9_15 Depth=1
	s_andn2_saveexec_b64 s[12:13], s[12:13]
	s_cbranch_execz .LBB9_121
; %bb.120:                              ;   in Loop: Header=BB9_15 Depth=1
	v_mad_u64_u32 v[2:3], s[18:19], v2, s61, v[74:75]
	v_ashrrev_i32_e32 v3, 31, v2
	v_lshl_add_u64 v[2:3], v[2:3], 3, s[86:87]
	global_load_dwordx2 v[2:3], v[2:3], off
	s_waitcnt vmcnt(0)
	v_cvt_pk_f16_f32 v2, v2, v3
	v_pk_mul_f16 v2, v2, v133
	v_add_u32_e32 v3, v132, v137
	ds_write_b32 v3, v2 offset:1408
.LBB9_121:                              ;   in Loop: Header=BB9_15 Depth=1
	s_or_b64 exec, exec, s[12:13]
	v_add_u32_e32 v2, s9, v115
	v_cmp_le_i32_e32 vcc, s20, v2
	s_or_b64 s[12:13], vcc, s[14:15]
	s_and_saveexec_b64 s[18:19], s[12:13]
	s_xor_b64 s[12:13], exec, s[18:19]
; %bb.122:                              ;   in Loop: Header=BB9_15 Depth=1
	v_add_u32_e32 v2, v132, v137
	ds_write_b32 v2, v33 offset:2816
                                        ; implicit-def: $vgpr2
; %bb.123:                              ;   in Loop: Header=BB9_15 Depth=1
	s_andn2_saveexec_b64 s[12:13], s[12:13]
	s_cbranch_execz .LBB9_125
; %bb.124:                              ;   in Loop: Header=BB9_15 Depth=1
	v_mad_u64_u32 v[2:3], s[18:19], v2, s61, v[74:75]
	v_ashrrev_i32_e32 v3, 31, v2
	v_lshl_add_u64 v[2:3], v[2:3], 3, s[86:87]
	global_load_dwordx2 v[2:3], v[2:3], off
	s_waitcnt vmcnt(0)
	v_cvt_pk_f16_f32 v2, v2, v3
	v_pk_mul_f16 v2, v2, v133
	v_add_u32_e32 v3, v132, v137
	ds_write_b32 v3, v2 offset:2816
.LBB9_125:                              ;   in Loop: Header=BB9_15 Depth=1
	s_or_b64 exec, exec, s[12:13]
	v_add_u32_e32 v2, s9, v116
	v_cmp_le_i32_e32 vcc, s20, v2
	s_or_b64 s[12:13], vcc, s[14:15]
	s_and_saveexec_b64 s[14:15], s[12:13]
	s_xor_b64 s[12:13], exec, s[14:15]
; %bb.126:                              ;   in Loop: Header=BB9_15 Depth=1
	v_add_u32_e32 v2, v132, v137
	ds_write_b32 v2, v33 offset:4224
                                        ; implicit-def: $vgpr2
; %bb.127:                              ;   in Loop: Header=BB9_15 Depth=1
	s_andn2_saveexec_b64 s[12:13], s[12:13]
	s_cbranch_execz .LBB9_129
; %bb.128:                              ;   in Loop: Header=BB9_15 Depth=1
	v_mad_u64_u32 v[2:3], s[14:15], v2, s61, v[74:75]
	v_ashrrev_i32_e32 v3, 31, v2
	v_lshl_add_u64 v[2:3], v[2:3], 3, s[86:87]
	global_load_dwordx2 v[2:3], v[2:3], off
	s_waitcnt vmcnt(0)
	v_cvt_pk_f16_f32 v2, v2, v3
	v_pk_mul_f16 v2, v2, v133
	v_add_u32_e32 v3, v132, v137
	ds_write_b32 v3, v2 offset:4224
.LBB9_129:                              ;   in Loop: Header=BB9_15 Depth=1
	s_or_b64 exec, exec, s[12:13]
	v_add_u32_e32 v2, s9, v110
	v_or_b32_e32 v3, s11, v60
	v_cmp_le_i32_e32 vcc, s20, v2
	v_cmp_le_i32_e64 s[14:15], s3, v3
	v_cmp_gt_i32_e64 s[12:13], s3, v3
	s_or_b64 s[14:15], vcc, s[14:15]
	s_and_saveexec_b64 s[18:19], s[14:15]
	s_xor_b64 s[14:15], exec, s[18:19]
; %bb.130:                              ;   in Loop: Header=BB9_15 Depth=1
	ds_write_b32 v29, v33 offset:128
                                        ; implicit-def: $vgpr2
; %bb.131:                              ;   in Loop: Header=BB9_15 Depth=1
	s_andn2_saveexec_b64 s[14:15], s[14:15]
	s_cbranch_execz .LBB9_133
; %bb.132:                              ;   in Loop: Header=BB9_15 Depth=1
	v_mad_u64_u32 v[2:3], s[18:19], v2, s61, v[62:63]
	v_ashrrev_i32_e32 v3, 31, v2
	v_lshl_add_u64 v[2:3], v[2:3], 3, s[86:87]
	global_load_dwordx2 v[2:3], v[2:3], off
	s_waitcnt vmcnt(0)
	v_cvt_pk_f16_f32 v2, v2, v3
	v_pk_mul_f16 v2, v2, v133
	ds_write_b32 v29, v2 offset:128
.LBB9_133:                              ;   in Loop: Header=BB9_15 Depth=1
	s_or_b64 exec, exec, s[14:15]
	s_waitcnt lgkmcnt(0)
	s_barrier
	ds_read2_b64 v[6:9], v67 offset1:4
	ds_read2_b64 v[2:5], v67 offset0:8 offset1:12
	ds_read_b64 v[84:85], v67 offset:128
	s_cmp_lt_i32 s68, 2
	s_waitcnt lgkmcnt(0)
	s_barrier
	s_cbranch_scc1 .LBB9_142
; %bb.134:                              ;   in Loop: Header=BB9_15 Depth=1
	v_add_u32_e32 v10, s9, v63
	v_readlane_b32 s14, v166, 4
	v_readlane_b32 s15, v166, 5
	s_add_i32 s18, s68, -1
	v_mul_hi_u32 v11, s14, v10
	v_add_u32_e32 v11, v10, v11
	v_lshrrev_b32_e32 v11, s15, v11
	v_mul_lo_u32 v11, v11, s20
	v_sub_u32_e32 v12, v10, v11
	v_and_b32_e32 v10, 64, v143
	v_add_u32_e32 v10, 64, v10
	v_xor_b32_e32 v11, 32, v143
	v_cmp_lt_i32_e32 vcc, v11, v10
	v_readlane_b32 s14, v166, 32
	v_readlane_b32 s15, v166, 33
	v_cndmask_b32_e32 v11, v143, v11, vcc
	v_lshlrev_b32_e32 v32, 2, v11
	v_xor_b32_e32 v11, 16, v143
	v_cmp_lt_i32_e32 vcc, v11, v10
	v_mov_b32_e32 v100, 0
	v_mov_b32_e32 v146, 0
	v_cndmask_b32_e32 v10, v143, v11, vcc
	v_lshlrev_b32_e32 v145, 2, v10
	v_mov_b64_e32 v[10:11], s[88:89]
	v_mad_i64_i32 v[10:11], s[14:15], s14, v12, v[10:11]
	s_add_u32 s14, s98, s99
	s_addc_u32 s15, s66, s8
	s_add_u32 s6, s6, s7
	s_addc_u32 s7, s57, s97
	v_lshl_add_u64 v[86:87], v[52:53], 0, v[10:11]
	v_lshl_add_u64 v[88:89], v[54:55], 0, s[14:15]
	;; [unrolled: 1-line block ×7, first 2 shown]
	v_mov_b32_e32 v12, 0xfeffffff
	s_mov_b32 s6, s18
	v_mov_b32_e32 v16, 0
	v_mov_b32_e32 v11, 0
	;; [unrolled: 1-line block ×9, first 2 shown]
	s_and_saveexec_b64 s[14:15], s[0:1]
	s_cbranch_execz .LBB9_136
.LBB9_135:                              ;   in Loop: Header=BB9_15 Depth=1
	global_load_dword v13, v[86:87], off
	s_waitcnt vmcnt(0)
	ds_write_b32 v69, v13 offset:11264
.LBB9_136:                              ;   Parent Loop BB9_15 Depth=1
                                        ; =>  This Inner Loop Header: Depth=2
	s_or_b64 exec, exec, s[14:15]
	s_and_saveexec_b64 s[14:15], s[16:17]
	s_cbranch_execz .LBB9_138
; %bb.137:                              ;   in Loop: Header=BB9_136 Depth=2
	global_load_dwordx4 v[148:151], v[98:99], off
	s_waitcnt vmcnt(0)
	ds_write_b128 v71, v[148:151]
.LBB9_138:                              ;   in Loop: Header=BB9_136 Depth=2
	s_or_b64 exec, exec, s[14:15]
	v_lshl_add_u64 v[24:25], v[94:95], 0, v[56:57]
	v_lshl_add_u64 v[152:153], v[96:97], 0, v[56:57]
	global_load_dwordx4 v[148:151], v[24:25], off
	s_nop 0
	global_load_dwordx4 v[152:155], v[152:153], off
	v_add_u32_e32 v13, v65, v107
	v_add_u32_e32 v17, 0x1000, v13
	s_waitcnt vmcnt(1)
	ds_write_b128 v106, v[148:151]
	s_waitcnt vmcnt(0)
	ds_write_b128 v134, v[152:155]
	s_waitcnt lgkmcnt(0)
	s_barrier
	ds_read2_b64 v[148:151], v13 offset1:4
	ds_read2_b64 v[156:159], v17 offset0:192 offset1:196
	s_waitcnt lgkmcnt(1)
	v_mfma_f32_16x16x16_f16 v[152:155], v[148:149], v[6:7], 0
	s_waitcnt lgkmcnt(0)
	v_mfma_f32_16x16x16_f16 v[160:163], v[156:157], v[6:7], 0
	v_mfma_f32_16x16x16_f16 v[148:151], v[150:151], v[8:9], v[152:155]
	s_nop 4
	ds_read2_b64 v[152:155], v13 offset0:8 offset1:12
	v_mfma_f32_16x16x16_f16 v[156:159], v[158:159], v[8:9], v[160:163]
	s_nop 2
	ds_read2_b64 v[160:163], v17 offset0:200 offset1:204
	s_waitcnt lgkmcnt(1)
	v_mfma_f32_16x16x16_f16 v[148:151], v[152:153], v[2:3], v[148:151]
	v_add_u32_e32 v17, 0x2c00, v73
	ds_read_b64 v[24:25], v13 offset:128
	ds_read_b64 v[164:165], v13 offset:5760
	s_waitcnt lgkmcnt(0)
	v_mfma_f32_16x16x16_f16 v[156:159], v[160:161], v[2:3], v[156:159]
	s_barrier
	ds_read2_b32 v[160:161], v17 offset1:1
	v_mfma_f32_16x16x16_f16 v[148:151], v[154:155], v[4:5], v[148:151]
	ds_read_b32 v13, v108 offset:11264
	ds_read_b32 v17, v109 offset:11264
	s_waitcnt lgkmcnt(2)
	v_cvt_f32_f16_e32 v18, v160
	v_mfma_f32_16x16x16_f16 v[152:155], v[162:163], v[4:5], v[156:159]
	v_cvt_f32_f16_sdwa v21, v160 dst_sel:DWORD dst_unused:UNUSED_PAD src0_sel:WORD_1
	v_cvt_f32_f16_e32 v75, v161
	v_cvt_f32_f16_sdwa v101, v161 dst_sel:DWORD dst_unused:UNUSED_PAD src0_sel:WORD_1
	v_mfma_f32_16x16x16_f16 v[148:151], v[24:25], v[84:85], v[148:151]
	s_waitcnt lgkmcnt(1)
	v_cvt_f32_f16_e32 v156, v13
	v_cvt_f32_f16_sdwa v13, v13 dst_sel:DWORD dst_unused:UNUSED_PAD src0_sel:WORD_1
	s_waitcnt lgkmcnt(0)
	v_cvt_f32_f16_e32 v157, v17
	v_mfma_f32_16x16x16_f16 v[152:155], v[164:165], v[84:85], v[152:155]
	v_cvt_f32_f16_sdwa v158, v17 dst_sel:DWORD dst_unused:UNUSED_PAD src0_sel:WORD_1
	s_nop 0
	v_add_f32_e32 v147, v148, v18
	v_add_f32_e32 v24, v149, v21
	;; [unrolled: 1-line block ×10, first 2 shown]
	v_max3_f32 v75, v12, v75, v148
	v_add_f32_e32 v17, v154, v157
	v_add_f32_e32 v13, v155, v158
	;; [unrolled: 1-line block ×4, first 2 shown]
	v_max3_f32 v75, v75, v149, v150
	v_add_f32_e32 v153, 0x40051340, v17
	v_max3_f32 v75, v75, v151, v152
	v_add_f32_e32 v148, 0x40051340, v13
	v_max3_f32 v75, v75, v153, v148
	ds_bpermute_b32 v148, v32, v75
	s_waitcnt lgkmcnt(0)
	v_max_f32_e32 v148, v148, v148
	v_max_f32_e32 v75, v75, v148
	ds_bpermute_b32 v148, v145, v75
	s_and_saveexec_b64 s[14:15], s[16:17]
	s_cbranch_execz .LBB9_140
; %bb.139:                              ;   in Loop: Header=BB9_136 Depth=2
	global_load_dwordx4 v[150:153], v[88:89], off
	s_waitcnt vmcnt(0)
	ds_write_b128 v71, v[150:153]
.LBB9_140:                              ;   in Loop: Header=BB9_136 Depth=2
	s_or_b64 exec, exec, s[14:15]
	s_waitcnt lgkmcnt(0)
	v_max_f32_e32 v148, v148, v148
	v_max_f32_e32 v75, v75, v75
	v_max_f32_e32 v75, v75, v148
	v_sub_f32_e32 v147, v147, v75
	v_mul_f32_e32 v148, 0x3fb8aa3b, v147
	v_fma_f32 v149, v147, s69, -v148
	v_rndne_f32_e32 v150, v148
	v_fmac_f32_e32 v149, 0x32a5705f, v147
	v_sub_f32_e32 v148, v148, v150
	v_add_f32_e32 v148, v148, v149
	v_exp_f32_e32 v148, v148
	v_cvt_i32_f32_e32 v149, v150
	v_cmp_ngt_f32_e32 vcc, s70, v147
	v_sub_f32_e32 v101, v101, v75
	v_sub_f32_e32 v21, v21, v75
	v_ldexp_f32 v148, v148, v149
	v_sub_f32_e32 v149, v24, v75
	v_mul_f32_e32 v24, 0x3fb8aa3b, v149
	v_fma_f32 v150, v149, s69, -v24
	v_rndne_f32_e32 v151, v24
	v_fmac_f32_e32 v150, 0x32a5705f, v149
	v_sub_f32_e32 v24, v24, v151
	v_add_f32_e32 v24, v24, v150
	v_exp_f32_e32 v150, v24
	v_cvt_i32_f32_e32 v151, v151
	v_cndmask_b32_e32 v24, 0, v148, vcc
	v_sub_f32_e32 v148, v25, v75
	v_mul_f32_e32 v25, 0x3fb8aa3b, v148
	v_cmp_nlt_f32_e32 vcc, s71, v147
	v_ldexp_f32 v147, v150, v151
	v_fma_f32 v150, v148, s69, -v25
	v_rndne_f32_e32 v151, v25
	v_fmac_f32_e32 v150, 0x32a5705f, v148
	v_sub_f32_e32 v25, v25, v151
	v_add_f32_e32 v25, v25, v150
	v_exp_f32_e32 v150, v25
	v_cvt_i32_f32_e32 v151, v151
	v_cndmask_b32_e32 v24, v144, v24, vcc
	v_cmp_ngt_f32_e32 vcc, s70, v149
	v_sub_f32_e32 v18, v18, v75
	v_sub_f32_e32 v17, v17, v75
	v_cndmask_b32_e32 v25, 0, v147, vcc
	v_cmp_nlt_f32_e32 vcc, s71, v149
	v_mul_f32_e32 v149, 0x3fb8aa3b, v101
	v_ldexp_f32 v147, v150, v151
	v_fma_f32 v150, v101, s69, -v149
	v_rndne_f32_e32 v151, v149
	v_fmac_f32_e32 v150, 0x32a5705f, v101
	v_sub_f32_e32 v149, v149, v151
	v_add_f32_e32 v149, v149, v150
	v_exp_f32_e32 v149, v149
	v_cvt_i32_f32_e32 v151, v151
	v_cndmask_b32_e32 v25, v144, v25, vcc
	v_cmp_ngt_f32_e32 vcc, s70, v148
	v_sub_f32_e32 v13, v13, v75
	v_sub_f32_e32 v12, v12, v75
	v_cndmask_b32_e32 v147, 0, v147, vcc
	v_cmp_nlt_f32_e32 vcc, s71, v148
	v_cmp_ngt_f32_e64 s[14:15], s70, v12
	s_add_i32 s6, s6, -1
	v_cndmask_b32_e32 v150, v144, v147, vcc
	v_ldexp_f32 v147, v149, v151
	v_lshl_add_u64 v[148:149], v[90:91], 0, v[56:57]
	global_load_dwordx4 v[152:155], v[148:149], off
	v_lshl_add_u64 v[148:149], v[92:93], 0, v[56:57]
	global_load_dwordx4 v[156:159], v[148:149], off
	v_mul_f32_e32 v151, 0x3fb8aa3b, v21
	v_fma_f32 v160, v21, s69, -v151
	v_rndne_f32_e32 v148, v151
	v_fmac_f32_e32 v160, 0x32a5705f, v21
	v_sub_f32_e32 v149, v151, v148
	v_add_f32_e32 v149, v149, v160
	v_exp_f32_e32 v149, v149
	v_cvt_i32_f32_e32 v148, v148
	v_cmp_ngt_f32_e32 vcc, s70, v101
	v_lshl_add_u64 v[86:87], v[86:87], 0, s[74:75]
	v_lshl_add_u64 v[88:89], v[88:89], 0, s[76:77]
	v_cndmask_b32_e32 v147, 0, v147, vcc
	v_cmp_nlt_f32_e32 vcc, s71, v101
	v_ldexp_f32 v101, v149, v148
	v_lshl_add_u64 v[90:91], v[90:91], 0, s[76:77]
	v_cndmask_b32_e32 v151, v144, v147, vcc
	v_mul_f32_e32 v147, 0x3fb8aa3b, v18
	v_fma_f32 v148, v18, s69, -v147
	v_rndne_f32_e32 v149, v147
	v_fmac_f32_e32 v148, 0x32a5705f, v18
	v_sub_f32_e32 v147, v147, v149
	v_add_f32_e32 v147, v147, v148
	v_exp_f32_e32 v147, v147
	v_cvt_i32_f32_e32 v148, v149
	v_cmp_ngt_f32_e32 vcc, s70, v21
	v_lshl_add_u64 v[92:93], v[92:93], 0, s[76:77]
	v_lshl_add_u64 v[94:95], v[94:95], 0, s[78:79]
	v_cndmask_b32_e32 v101, 0, v101, vcc
	v_cmp_nlt_f32_e32 vcc, s71, v21
	v_ldexp_f32 v21, v147, v148
	v_lshl_add_u64 v[96:97], v[96:97], 0, s[78:79]
	v_cndmask_b32_e32 v160, v144, v101, vcc
	v_mul_f32_e32 v101, 0x3fb8aa3b, v17
	v_fma_f32 v147, v17, s69, -v101
	v_rndne_f32_e32 v148, v101
	v_fmac_f32_e32 v147, 0x32a5705f, v17
	v_sub_f32_e32 v101, v101, v148
	v_add_f32_e32 v101, v101, v147
	v_exp_f32_e32 v101, v101
	v_cvt_i32_f32_e32 v147, v148
	v_cmp_ngt_f32_e32 vcc, s70, v18
	s_cmp_lg_u32 s6, 0
	v_lshl_add_u64 v[98:99], v[98:99], 0, s[78:79]
	v_cndmask_b32_e32 v21, 0, v21, vcc
	v_cmp_nlt_f32_e32 vcc, s71, v18
	v_ldexp_f32 v18, v101, v147
	s_waitcnt vmcnt(1)
	ds_write_b128 v106, v[152:155]
	s_waitcnt vmcnt(0)
	ds_write_b128 v134, v[156:159]
	v_cndmask_b32_e32 v161, v144, v21, vcc
	v_cmp_ngt_f32_e32 vcc, s70, v17
	s_waitcnt lgkmcnt(0)
	s_barrier
	v_cndmask_b32_e32 v18, 0, v18, vcc
	v_cmp_nlt_f32_e32 vcc, s71, v17
	v_mul_f32_e32 v17, 0x3fb8aa3b, v13
	v_fma_f32 v21, v13, s69, -v17
	v_rndne_f32_e32 v101, v17
	v_fmac_f32_e32 v21, 0x32a5705f, v13
	v_sub_f32_e32 v17, v17, v101
	v_add_f32_e32 v17, v17, v21
	v_cvt_i32_f32_e32 v21, v101
	v_mul_f32_e32 v101, 0x3fb8aa3b, v12
	v_fma_f32 v147, v12, s69, -v101
	v_rndne_f32_e32 v148, v101
	v_fmac_f32_e32 v147, 0x32a5705f, v12
	v_sub_f32_e32 v101, v101, v148
	v_add_f32_e32 v101, v101, v147
	v_exp_f32_e32 v101, v101
	v_cvt_i32_f32_e32 v148, v148
	v_cndmask_b32_e32 v147, v144, v18, vcc
	v_exp_f32_e32 v17, v17
	v_cmp_ngt_f32_e32 vcc, s70, v13
	v_ldexp_f32 v18, v101, v148
	v_cndmask_b32_e64 v18, 0, v18, s[14:15]
	v_cmp_nlt_f32_e64 s[14:15], s71, v12
	v_ldexp_f32 v17, v17, v21
	v_cndmask_b32_e32 v17, 0, v17, vcc
	v_cndmask_b32_e64 v18, v144, v18, s[14:15]
	v_cmp_le_f32_e64 s[14:15], s26, v12
	v_cmp_nlt_f32_e32 vcc, s71, v13
	s_nop 0
	v_cndmask_b32_e64 v148, 0, v18, s[14:15]
	v_cvt_f16_f32_e32 v12, v148
	v_cndmask_b32_e32 v149, v144, v17, vcc
	v_cvt_pk_f16_f32 v157, v150, v151
	v_cvt_pk_f16_f32 v156, v24, v25
	v_mul_u32_u24_e32 v162, 0x10001, v12
	v_pk_mul_f16 v18, v100, v162
	v_pk_mul_f16 v21, v16, v162
	ds_read_u16 v16, v102 offset:176
	ds_read_u16 v17, v103
	ds_read_u16 v100, v104
	;; [unrolled: 1-line block ×3, first 2 shown]
	v_pk_mul_f16 v11, v11, v162
	v_pk_mul_f16 v13, v10, v162
	v_cvt_f32_f16_e32 v10, v11
	s_waitcnt lgkmcnt(1)
	v_perm_b32 v17, v100, v17, s10
	s_waitcnt lgkmcnt(0)
	v_perm_b32 v16, v16, v101, s10
	v_cvt_f32_f16_sdwa v11, v11 dst_sel:DWORD dst_unused:UNUSED_PAD src0_sel:WORD_1
	v_cvt_f32_f16_e32 v12, v13
	v_cvt_f32_f16_sdwa v13, v13 dst_sel:DWORD dst_unused:UNUSED_PAD src0_sel:WORD_1
	ds_read_u16 v155, v103 offset:32
	ds_read_u16 v158, v104 offset:32
	v_mfma_f32_16x16x16_f16 v[10:13], v[16:17], v[156:157], v[10:13]
	ds_read_u16 v16, v102 offset:5632
	ds_read_u16 v17, v103 offset:5632
	;; [unrolled: 1-line block ×5, first 2 shown]
	v_cvt_f32_f16_e32 v152, v18
	s_nop 1
	v_cvt_f16_f32_e32 v10, v10
	v_cvt_f16_f32_e32 v11, v11
	;; [unrolled: 1-line block ×4, first 2 shown]
	s_waitcnt lgkmcnt(2)
	v_perm_b32 v17, v100, v17, s10
	s_waitcnt lgkmcnt(1)
	v_perm_b32 v16, v101, v16, s10
	v_cvt_f32_f16_e32 v10, v10
	v_cvt_f32_f16_e32 v11, v11
	;; [unrolled: 1-line block ×4, first 2 shown]
	v_cvt_pk_f16_f32 v101, v147, v149
	v_cvt_pk_f16_f32 v100, v160, v161
	v_cvt_f32_f16_sdwa v153, v18 dst_sel:DWORD dst_unused:UNUSED_PAD src0_sel:WORD_1
	v_cvt_f32_f16_e32 v154, v21
	v_mfma_f32_16x16x16_f16 v[10:13], v[16:17], v[100:101], v[10:13]
	ds_read_u16 v16, v102 offset:208
	v_perm_b32 v17, v158, v155, s10
	v_cvt_f32_f16_sdwa v155, v21 dst_sel:DWORD dst_unused:UNUSED_PAD src0_sel:WORD_1
	s_waitcnt lgkmcnt(0)
	v_perm_b32 v16, v16, v159, s10
	s_nop 1
	v_mfma_f32_16x16x16_f16 v[152:155], v[16:17], v[156:157], v[152:155]
	v_cvt_pk_f16_f32 v11, v10, v11
	v_cvt_pk_f16_f32 v10, v12, v13
	s_nop 5
	v_cvt_f16_f32_e32 v21, v155
	ds_read_u16 v155, v102 offset:5664
	ds_read_u16 v158, v103 offset:5664
	ds_read_u16 v159, v104 offset:5664
	ds_read_u16 v163, v102 offset:5840
	v_cvt_f16_f32_e32 v16, v152
	v_cvt_f16_f32_e32 v17, v153
	;; [unrolled: 1-line block ×3, first 2 shown]
	v_cvt_f32_f16_e32 v152, v16
	v_cvt_f32_f16_e32 v153, v17
	s_waitcnt lgkmcnt(1)
	v_perm_b32 v17, v159, v158, s10
	s_waitcnt lgkmcnt(0)
	v_perm_b32 v16, v163, v155, s10
	v_cvt_f32_f16_e32 v154, v18
	v_cvt_f32_f16_e32 v155, v21
	v_pk_mul_f16 v18, v15, v162
	v_pk_mul_f16 v21, v14, v162
	v_mfma_f32_16x16x16_f16 v[14:17], v[16:17], v[100:101], v[152:155]
	s_nop 2
	ds_read_u16 v155, v102 offset:64
	ds_read_u16 v158, v103 offset:64
	;; [unrolled: 1-line block ×4, first 2 shown]
	v_cvt_f32_f16_e32 v152, v18
	v_cvt_f32_f16_sdwa v153, v18 dst_sel:DWORD dst_unused:UNUSED_PAD src0_sel:WORD_1
	v_cvt_f32_f16_e32 v154, v21
	s_waitcnt lgkmcnt(1)
	v_perm_b32 v159, v159, v158, s10
	s_waitcnt lgkmcnt(0)
	v_perm_b32 v158, v163, v155, s10
	v_cvt_f32_f16_sdwa v155, v21 dst_sel:DWORD dst_unused:UNUSED_PAD src0_sel:WORD_1
	v_cvt_pk_f16_f32 v16, v16, v17
	s_nop 0
	v_mfma_f32_16x16x16_f16 v[152:155], v[158:159], v[156:157], v[152:155]
	ds_read_u16 v158, v102 offset:5696
	ds_read_u16 v159, v103 offset:5696
	;; [unrolled: 1-line block ×4, first 2 shown]
	s_nop 3
	v_cvt_f16_f32_e32 v18, v152
	v_cvt_f16_f32_e32 v21, v153
	;; [unrolled: 1-line block ×4, first 2 shown]
	s_waitcnt lgkmcnt(1)
	v_perm_b32 v159, v163, v159, s10
	s_waitcnt lgkmcnt(0)
	v_perm_b32 v158, v164, v158, s10
	v_cvt_f32_f16_e32 v152, v18
	v_cvt_f32_f16_e32 v153, v21
	;; [unrolled: 1-line block ×4, first 2 shown]
	v_pk_mul_f16 v163, v20, v162
	v_pk_mul_f16 v164, v19, v162
	v_mfma_f32_16x16x16_f16 v[18:21], v[158:159], v[100:101], v[152:155]
	s_nop 2
	ds_read_u16 v155, v102 offset:96
	ds_read_u16 v158, v103 offset:96
	;; [unrolled: 1-line block ×4, first 2 shown]
	v_cvt_f32_f16_e32 v152, v163
	v_cvt_f32_f16_sdwa v153, v163 dst_sel:DWORD dst_unused:UNUSED_PAD src0_sel:WORD_1
	v_cvt_f32_f16_e32 v154, v164
	s_waitcnt lgkmcnt(1)
	v_perm_b32 v159, v159, v158, s10
	s_waitcnt lgkmcnt(0)
	v_perm_b32 v158, v165, v155, s10
	v_cvt_f32_f16_sdwa v155, v164 dst_sel:DWORD dst_unused:UNUSED_PAD src0_sel:WORD_1
	v_add_f32_e32 v163, v24, v25
	v_add_f32_e32 v150, v150, v163
	v_mfma_f32_16x16x16_f16 v[152:155], v[158:159], v[156:157], v[152:155]
	ds_read_u16 v158, v102 offset:5728
	ds_read_u16 v159, v103 offset:5728
	;; [unrolled: 1-line block ×4, first 2 shown]
	v_add_f32_e32 v150, v151, v150
	v_add_f32_e32 v150, v160, v150
	s_nop 1
	v_cvt_f16_f32_e32 v24, v152
	v_cvt_f16_f32_e32 v25, v153
	;; [unrolled: 1-line block ×4, first 2 shown]
	v_cvt_f32_f16_e32 v152, v24
	v_cvt_f32_f16_e32 v153, v25
	s_waitcnt lgkmcnt(1)
	v_perm_b32 v25, v164, v159, s10
	s_waitcnt lgkmcnt(0)
	v_perm_b32 v24, v165, v158, s10
	v_cvt_f32_f16_e32 v154, v154
	v_cvt_f32_f16_e32 v155, v155
	v_pk_mul_f16 v158, v23, v162
	v_pk_mul_f16 v162, v22, v162
	v_mfma_f32_16x16x16_f16 v[22:25], v[24:25], v[100:101], v[152:155]
	s_nop 2
	ds_read_u16 v155, v102 offset:128
	ds_read_u16 v159, v103 offset:128
	;; [unrolled: 1-line block ×4, first 2 shown]
	v_cvt_f32_f16_e32 v152, v158
	v_cvt_f32_f16_sdwa v153, v158 dst_sel:DWORD dst_unused:UNUSED_PAD src0_sel:WORD_1
	v_cvt_f32_f16_e32 v154, v162
	s_waitcnt lgkmcnt(1)
	v_perm_b32 v159, v163, v159, s10
	s_waitcnt lgkmcnt(0)
	v_perm_b32 v158, v164, v155, s10
	v_cvt_f32_f16_sdwa v155, v162 dst_sel:DWORD dst_unused:UNUSED_PAD src0_sel:WORD_1
	v_add_f32_e32 v150, v161, v150
	v_add_f32_e32 v147, v147, v150
	v_mfma_f32_16x16x16_f16 v[154:157], v[158:159], v[156:157], v[152:155]
	s_nop 2
	ds_read_u16 v152, v102 offset:5760
	ds_read_u16 v159, v103 offset:5760
	;; [unrolled: 1-line block ×4, first 2 shown]
	v_add_f32_e32 v147, v149, v147
	v_fmac_f32_e32 v147, v146, v148
	v_cvt_f16_f32_e32 v153, v154
	v_cvt_f16_f32_e32 v154, v155
	v_cvt_f16_f32_e32 v155, v156
	v_cvt_f16_f32_e32 v151, v157
	v_cvt_f32_f16_e32 v156, v153
	s_waitcnt lgkmcnt(1)
	v_perm_b32 v153, v160, v159, s10
	s_waitcnt lgkmcnt(0)
	v_perm_b32 v152, v161, v152, s10
	v_cvt_f32_f16_e32 v157, v154
	v_cvt_f32_f16_e32 v158, v155
	;; [unrolled: 1-line block ×3, first 2 shown]
	s_barrier
	s_nop 0
	v_mfma_f32_16x16x16_f16 v[148:151], v[152:153], v[100:101], v[156:159]
	v_cvt_pk_f16_f32 v100, v14, v15
	v_cvt_pk_f16_f32 v15, v18, v19
	v_cvt_pk_f16_f32 v14, v20, v21
	v_cvt_pk_f16_f32 v20, v22, v23
	v_cvt_pk_f16_f32 v19, v24, v25
	s_nop 2
	v_cvt_pk_f16_f32 v23, v148, v149
	v_cvt_pk_f16_f32 v22, v150, v151
	s_cbranch_scc0 .LBB9_143
; %bb.141:                              ;   in Loop: Header=BB9_136 Depth=2
	v_mov_b32_e32 v146, v147
	v_mov_b32_e32 v12, v75
	s_and_saveexec_b64 s[14:15], s[0:1]
	s_cbranch_execnz .LBB9_135
	s_branch .LBB9_136
.LBB9_142:                              ;   in Loop: Header=BB9_15 Depth=1
	v_mov_b32_e32 v75, 0xfeffffff
	v_mov_b32_e32 v147, 0
	s_mov_b64 s[14:15], 0
	v_mov_b32_e32 v22, 0
	v_mov_b32_e32 v23, 0
	;; [unrolled: 1-line block ×10, first 2 shown]
	s_and_saveexec_b64 s[18:19], s[0:1]
	s_cbranch_execnz .LBB9_144
	s_branch .LBB9_145
.LBB9_143:                              ;   in Loop: Header=BB9_15 Depth=1
	s_lshl_b32 s66, s18, 6
	s_mov_b64 s[14:15], s[66:67]
	s_and_saveexec_b64 s[18:19], s[0:1]
	s_cbranch_execz .LBB9_145
.LBB9_144:                              ;   in Loop: Header=BB9_15 Depth=1
	v_or_b32_e32 v12, s9, v63
	v_readlane_b32 s28, v166, 4
	v_readlane_b32 s29, v166, 5
	s_lshl_b64 s[6:7], s[14:15], 1
	v_mul_hi_u32 v13, s28, v12
	v_add_u32_e32 v13, v12, v13
	v_lshrrev_b32_e32 v13, s29, v13
	v_mul_lo_u32 v13, v13, s20
	v_readlane_b32 s28, v166, 30
	s_add_u32 s6, s84, s6
	v_sub_u32_e32 v12, v12, v13
	v_readlane_b32 s29, v166, 31
	s_addc_u32 s7, s85, s7
	v_mad_i64_i32 v[12:13], s[28:29], v12, s28, 0
	v_lshl_add_u64 v[12:13], v[12:13], 1, s[6:7]
	v_lshlrev_b32_e32 v32, 1, v30
	v_lshl_add_u64 v[12:13], v[12:13], 0, v[32:33]
	global_load_dword v12, v[12:13], off
	s_waitcnt vmcnt(0)
	ds_write_b32 v69, v12 offset:11264
.LBB9_145:                              ;   in Loop: Header=BB9_15 Depth=1
	s_or_b64 exec, exec, s[18:19]
	s_mul_i32 s6, s14, s31
	s_mul_hi_u32 s7, s14, s30
	s_add_i32 s7, s7, s6
	s_mul_i32 s6, s14, s30
	s_lshl_b64 s[6:7], s[6:7], 2
	s_add_u32 s18, s34, s6
	s_addc_u32 s19, s35, s7
	s_and_saveexec_b64 s[84:85], s[16:17]
	s_cbranch_execz .LBB9_147
; %bb.146:                              ;   in Loop: Header=BB9_15 Depth=1
	v_lshl_add_u64 v[12:13], v[44:45], 2, s[18:19]
	v_lshlrev_b32_e32 v32, 2, v36
	v_lshl_add_u64 v[12:13], v[12:13], 0, v[32:33]
	global_load_dwordx4 v[86:89], v[12:13], off offset:128
	s_waitcnt vmcnt(0)
	ds_write_b128 v71, v[86:89]
.LBB9_147:                              ;   in Loop: Header=BB9_15 Depth=1
	s_or_b64 exec, exec, s[84:85]
	v_lshl_add_u64 v[12:13], v[40:41], 2, s[18:19]
	v_lshlrev_b32_e32 v32, 2, v34
	v_lshl_add_u64 v[12:13], v[12:13], 0, v[32:33]
	v_lshl_add_u64 v[24:25], v[42:43], 2, s[18:19]
	;; [unrolled: 1-line block ×3, first 2 shown]
	global_load_dwordx4 v[86:89], v[12:13], off
	global_load_dwordx4 v[90:93], v[24:25], off
	v_add_u32_e32 v17, v65, v107
	v_add_u32_e32 v12, 0x1000, v17
	;; [unrolled: 1-line block ×3, first 2 shown]
	v_and_b32_e32 v13, 64, v143
	v_xor_b32_e32 v21, 32, v143
	v_xor_b32_e32 v25, 16, v143
	s_mul_i32 s6, s14, s23
	s_mul_hi_u32 s7, s14, s22
	s_add_i32 s7, s7, s6
	s_mul_i32 s6, s14, s22
	s_lshl_b64 s[6:7], s[6:7], 2
	s_add_u32 s14, s96, s6
	s_addc_u32 s15, s2, s7
	s_waitcnt vmcnt(1)
	ds_write_b128 v106, v[86:89]
	s_waitcnt vmcnt(0)
	ds_write_b128 v134, v[90:93]
	s_waitcnt lgkmcnt(0)
	s_barrier
	ds_read2_b64 v[86:89], v17 offset1:4
	ds_read2_b64 v[94:97], v12 offset0:192 offset1:196
	s_waitcnt lgkmcnt(1)
	v_mfma_f32_16x16x16_f16 v[90:93], v[86:87], v[6:7], 0
	ds_read2_b64 v[152:155], v17 offset0:8 offset1:12
	v_mfma_f32_16x16x16_f16 v[86:89], v[88:89], v[8:9], v[90:93]
	s_nop 5
	ds_read2_b64 v[90:93], v12 offset0:200 offset1:204
	s_waitcnt lgkmcnt(2)
	v_mfma_f32_16x16x16_f16 v[148:151], v[94:95], v[6:7], 0
	v_mfma_f32_16x16x16_f16 v[6:9], v[96:97], v[8:9], v[148:151]
	v_add_u32_e32 v96, 64, v13
	ds_read_b64 v[12:13], v17 offset:128
	ds_read_b64 v[94:95], v17 offset:5760
	s_waitcnt lgkmcnt(0)
	v_mfma_f32_16x16x16_f16 v[86:89], v[152:153], v[2:3], v[86:89]
	s_barrier
	v_cmp_lt_i32_e32 vcc, v21, v96
	v_mfma_f32_16x16x16_f16 v[6:9], v[90:91], v[2:3], v[6:9]
	ds_read2_b32 v[90:91], v18 offset1:1
	ds_read_b32 v17, v108 offset:11264
	ds_read_b32 v18, v109 offset:11264
	v_cndmask_b32_e32 v21, v143, v21, vcc
	v_mfma_f32_16x16x16_f16 v[86:89], v[154:155], v[4:5], v[86:89]
	v_lshlrev_b32_e32 v24, 2, v21
	s_waitcnt lgkmcnt(2)
	v_cvt_f32_f16_e32 v21, v90
	v_cvt_f32_f16_sdwa v97, v90 dst_sel:DWORD dst_unused:UNUSED_PAD src0_sel:WORD_1
	v_mfma_f32_16x16x16_f16 v[2:5], v[92:93], v[4:5], v[6:9]
	v_cvt_f32_f16_sdwa v98, v91 dst_sel:DWORD dst_unused:UNUSED_PAD src0_sel:WORD_1
	s_waitcnt lgkmcnt(1)
	v_cvt_f32_f16_e32 v99, v17
	v_cmp_lt_i32_e32 vcc, v25, v96
	v_mfma_f32_16x16x16_f16 v[86:89], v[12:13], v[84:85], v[86:89]
	v_cvt_f32_f16_e32 v6, v91
	v_cvt_f32_f16_sdwa v12, v17 dst_sel:DWORD dst_unused:UNUSED_PAD src0_sel:WORD_1
	s_waitcnt lgkmcnt(0)
	v_cvt_f32_f16_e32 v13, v18
	v_mfma_f32_16x16x16_f16 v[90:93], v[94:95], v[84:85], v[2:5]
	v_cvt_f32_f16_sdwa v17, v18 dst_sel:DWORD dst_unused:UNUSED_PAD src0_sel:WORD_1
	s_nop 1
	v_add_f32_e32 v9, v86, v21
	v_add_f32_e32 v8, v87, v97
	;; [unrolled: 1-line block ×4, first 2 shown]
	s_nop 0
	v_add_f32_e32 v4, v91, v12
	v_add_f32_e32 v3, v92, v13
	;; [unrolled: 1-line block ×8, first 2 shown]
	v_max3_f32 v12, v75, v12, v13
	v_add_f32_e32 v21, 0x40051340, v5
	v_add_f32_e32 v84, 0x40051340, v4
	v_max3_f32 v12, v12, v17, v18
	v_add_f32_e32 v85, 0x40051340, v3
	v_add_f32_e32 v86, 0x40051340, v2
	v_max3_f32 v12, v12, v21, v84
	v_max3_f32 v12, v12, v85, v86
	ds_bpermute_b32 v13, v24, v12
	v_cndmask_b32_e32 v17, v143, v25, vcc
	v_lshlrev_b32_e32 v21, 2, v17
	s_waitcnt lgkmcnt(0)
	v_max_f32_e32 v13, v13, v13
	v_max_f32_e32 v12, v12, v13
	ds_bpermute_b32 v13, v21, v12
	s_and_saveexec_b64 s[18:19], s[16:17]
	s_cbranch_execz .LBB9_149
; %bb.148:                              ;   in Loop: Header=BB9_15 Depth=1
	v_lshl_add_u64 v[84:85], v[46:47], 2, s[14:15]
	v_lshlrev_b32_e32 v86, 2, v36
	v_mov_b32_e32 v87, v33
	v_lshl_add_u64 v[84:85], v[84:85], 0, v[86:87]
	global_load_dwordx4 v[84:87], v[84:85], off offset:128
	s_waitcnt vmcnt(0)
	ds_write_b128 v71, v[84:87]
.LBB9_149:                              ;   in Loop: Header=BB9_15 Depth=1
	s_or_b64 exec, exec, s[18:19]
	s_waitcnt lgkmcnt(0)
	v_max_f32_e32 v13, v13, v13
	v_max_f32_e32 v12, v12, v12
	;; [unrolled: 1-line block ×3, first 2 shown]
	v_sub_f32_e32 v9, v9, v18
	v_mul_f32_e32 v12, 0x3fb8aa3b, v9
	v_fma_f32 v13, v9, s69, -v12
	v_rndne_f32_e32 v17, v12
	v_fmac_f32_e32 v13, 0x32a5705f, v9
	v_sub_f32_e32 v12, v12, v17
	v_add_f32_e32 v12, v12, v13
	v_exp_f32_e32 v12, v12
	v_cvt_i32_f32_e32 v13, v17
	v_sub_f32_e32 v8, v8, v18
	v_cmp_ngt_f32_e32 vcc, s70, v9
	v_sub_f32_e32 v7, v7, v18
	v_ldexp_f32 v12, v12, v13
	v_mul_f32_e32 v13, 0x3fb8aa3b, v8
	v_fma_f32 v17, v8, s69, -v13
	v_rndne_f32_e32 v25, v13
	v_fmac_f32_e32 v17, 0x32a5705f, v8
	v_sub_f32_e32 v13, v13, v25
	v_add_f32_e32 v13, v13, v17
	v_exp_f32_e32 v13, v13
	v_cvt_i32_f32_e32 v17, v25
	v_cndmask_b32_e32 v12, 0, v12, vcc
	v_cmp_nlt_f32_e32 vcc, s71, v9
	v_sub_f32_e32 v88, v6, v18
	v_ldexp_f32 v9, v13, v17
	v_cndmask_b32_e32 v25, v144, v12, vcc
	v_mul_f32_e32 v12, 0x3fb8aa3b, v7
	v_fma_f32 v13, v7, s69, -v12
	v_rndne_f32_e32 v17, v12
	v_fmac_f32_e32 v13, 0x32a5705f, v7
	v_sub_f32_e32 v12, v12, v17
	v_add_f32_e32 v12, v12, v13
	v_exp_f32_e32 v12, v12
	v_cvt_i32_f32_e32 v13, v17
	v_cmp_ngt_f32_e32 vcc, s70, v8
	v_mul_f32_e32 v6, 0x3fb8aa3b, v88
	v_sub_f32_e32 v5, v5, v18
	v_cndmask_b32_e32 v9, 0, v9, vcc
	v_cmp_nlt_f32_e32 vcc, s71, v8
	v_sub_f32_e32 v4, v4, v18
	v_sub_f32_e32 v3, v3, v18
	v_cndmask_b32_e32 v17, v144, v9, vcc
	v_ldexp_f32 v9, v12, v13
	v_fma_f32 v12, v88, s69, -v6
	v_rndne_f32_e32 v13, v6
	v_fmac_f32_e32 v12, 0x32a5705f, v88
	v_sub_f32_e32 v6, v6, v13
	v_add_f32_e32 v6, v6, v12
	v_exp_f32_e32 v6, v6
	v_cvt_i32_f32_e32 v12, v13
	v_cmp_ngt_f32_e32 vcc, s70, v7
	v_add_f32_e32 v8, v25, v17
	v_sub_f32_e32 v2, v2, v18
	v_cndmask_b32_e32 v9, 0, v9, vcc
	v_cmp_nlt_f32_e32 vcc, s71, v7
	v_ldexp_f32 v6, v6, v12
	v_sub_f32_e32 v75, v75, v18
	v_cndmask_b32_e32 v89, v144, v9, vcc
	v_cmp_ngt_f32_e32 vcc, s70, v88
	v_add_f32_e32 v90, v89, v8
	v_lshl_add_u64 v[8:9], v[48:49], 2, s[14:15]
	v_cndmask_b32_e32 v91, 0, v6, vcc
	v_mul_f32_e32 v6, 0x3fb8aa3b, v5
	v_fma_f32 v7, v5, s69, -v6
	v_rndne_f32_e32 v92, v6
	v_fmac_f32_e32 v7, 0x32a5705f, v5
	v_sub_f32_e32 v6, v6, v92
	v_add_f32_e32 v6, v6, v7
	v_exp_f32_e32 v93, v6
	v_lshl_add_u64 v[6:7], v[50:51], 2, s[14:15]
	v_lshl_add_u64 v[6:7], v[6:7], 0, v[32:33]
	v_lshl_add_u64 v[12:13], v[8:9], 0, v[32:33]
	global_load_dwordx4 v[6:9], v[6:7], off
	s_nop 0
	global_load_dwordx4 v[84:87], v[12:13], off
	v_cmp_nlt_f32_e32 vcc, s71, v88
	v_mul_f32_e32 v88, 0x3fb8aa3b, v4
	v_cvt_i32_f32_e32 v12, v92
	v_cndmask_b32_e32 v13, v144, v91, vcc
	v_add_f32_e32 v32, v13, v90
	v_fma_f32 v90, v4, s69, -v88
	v_rndne_f32_e32 v91, v88
	v_fmac_f32_e32 v90, 0x32a5705f, v4
	v_sub_f32_e32 v88, v88, v91
	v_add_f32_e32 v88, v88, v90
	v_exp_f32_e32 v88, v88
	v_cvt_i32_f32_e32 v90, v91
	v_ldexp_f32 v12, v93, v12
	v_cmp_ngt_f32_e32 vcc, s70, v5
	s_cmp_lg_u64 s[82:83], 0
	s_cselect_b64 s[6:7], -1, 0
	v_cndmask_b32_e32 v12, 0, v12, vcc
	v_cmp_nlt_f32_e32 vcc, s71, v5
	s_and_b64 s[6:7], s[4:5], s[6:7]
	s_waitcnt vmcnt(1)
	ds_write_b128 v106, v[6:9]
	s_waitcnt vmcnt(0)
	ds_write_b128 v134, v[84:87]
	v_cndmask_b32_e32 v12, v144, v12, vcc
	v_add_f32_e32 v5, v12, v32
	v_ldexp_f32 v32, v88, v90
	v_mul_f32_e32 v88, 0x3fb8aa3b, v3
	v_fma_f32 v90, v3, s69, -v88
	v_rndne_f32_e32 v91, v88
	v_fmac_f32_e32 v90, 0x32a5705f, v3
	v_sub_f32_e32 v88, v88, v91
	v_add_f32_e32 v88, v88, v90
	v_exp_f32_e32 v88, v88
	v_cvt_i32_f32_e32 v90, v91
	v_cmp_ngt_f32_e32 vcc, s70, v4
	s_waitcnt lgkmcnt(0)
	s_barrier
	v_cndmask_b32_e32 v32, 0, v32, vcc
	v_cmp_nlt_f32_e32 vcc, s71, v4
	v_cvt_pk_f16_f32 v85, v89, v13
	s_nop 0
	v_cndmask_b32_e32 v32, v144, v32, vcc
	v_add_f32_e32 v4, v32, v5
	v_ldexp_f32 v5, v88, v90
	v_cmp_ngt_f32_e32 vcc, s70, v3
	v_cvt_pk_f16_f32 v84, v25, v17
	v_cvt_pk_f16_f32 v86, v12, v32
	v_cndmask_b32_e32 v5, 0, v5, vcc
	v_cmp_nlt_f32_e32 vcc, s71, v3
	s_nop 1
	v_cndmask_b32_e32 v88, v144, v5, vcc
	v_add_f32_e32 v3, v88, v4
	v_mul_f32_e32 v4, 0x3fb8aa3b, v2
	v_fma_f32 v5, v2, s69, -v4
	v_rndne_f32_e32 v90, v4
	v_fmac_f32_e32 v5, 0x32a5705f, v2
	v_sub_f32_e32 v4, v4, v90
	v_add_f32_e32 v4, v4, v5
	v_cvt_i32_f32_e32 v5, v90
	v_mul_f32_e32 v90, 0x3fb8aa3b, v75
	v_fma_f32 v91, v75, s69, -v90
	v_rndne_f32_e32 v92, v90
	v_fmac_f32_e32 v91, 0x32a5705f, v75
	v_sub_f32_e32 v90, v90, v92
	v_exp_f32_e32 v4, v4
	v_add_f32_e32 v90, v90, v91
	v_exp_f32_e32 v90, v90
	v_cvt_i32_f32_e32 v91, v92
	v_ldexp_f32 v4, v4, v5
	v_cmp_ngt_f32_e32 vcc, s70, v2
	v_ldexp_f32 v5, v90, v91
	s_nop 0
	v_cndmask_b32_e32 v4, 0, v4, vcc
	v_cmp_ngt_f32_e32 vcc, s70, v75
	s_nop 1
	v_cndmask_b32_e32 v5, 0, v5, vcc
	v_cmp_nlt_f32_e32 vcc, s71, v75
	s_nop 1
	v_cndmask_b32_e32 v5, v144, v5, vcc
	v_cmp_le_f32_e32 vcc, s26, v75
	s_nop 1
	v_cndmask_b32_e32 v5, 0, v5, vcc
	v_cvt_f16_f32_e32 v75, v5
	v_cmp_nlt_f32_e32 vcc, s71, v2
	v_mul_u32_u24_e32 v75, 0x10001, v75
	s_nop 0
	v_cndmask_b32_e32 v90, v144, v4, vcc
	v_add_f32_e32 v91, v90, v3
	v_pk_mul_f16 v3, v11, v75
	ds_read_u16 v6, v104
	ds_read_u16 v7, v103
	ds_read_u16 v11, v103 offset:32
	ds_read_u16 v92, v102 offset:5840
	ds_read_u16 v93, v103 offset:64
	ds_read_u16 v94, v102 offset:5872
	ds_read_u16 v95, v103 offset:96
	ds_read_u16 v96, v102 offset:5904
	ds_read_u16 v97, v102 offset:5936
	ds_read_u16 v98, v104 offset:32
	ds_read_u16 v99, v103 offset:5760
	v_fmac_f32_e32 v91, v147, v5
	v_pk_mul_f16 v5, v10, v75
	v_pk_mul_f16 v10, v100, v75
	s_waitcnt lgkmcnt(9)
	v_perm_b32 v7, v6, v7, s10
	ds_read_u16 v6, v102 offset:176
	ds_read_u16 v8, v102
	ds_read_u16 v100, v102 offset:32
	ds_read_u16 v101, v102 offset:208
	ds_read_u16 v145, v102 offset:64
	ds_read_u16 v146, v102 offset:240
	ds_read_u16 v147, v102 offset:96
	ds_read_u16 v148, v102 offset:128
	s_waitcnt lgkmcnt(6)
	v_perm_b32 v6, v6, v8, s10
	v_cvt_f32_f16_e32 v2, v3
	v_cvt_f32_f16_sdwa v3, v3 dst_sel:DWORD dst_unused:UNUSED_PAD src0_sel:WORD_1
	v_cvt_f32_f16_e32 v4, v5
	v_cvt_f32_f16_sdwa v5, v5 dst_sel:DWORD dst_unused:UNUSED_PAD src0_sel:WORD_1
	v_pk_mul_f16 v149, v15, v75
	v_cvt_pk_f16_f32 v87, v88, v90
	v_mfma_f32_16x16x16_f16 v[2:5], v[6:7], v[84:85], v[2:5]
	ds_read_u16 v6, v103 offset:5632
	ds_read_u16 v13, v103 offset:5664
	;; [unrolled: 1-line block ×13, first 2 shown]
	s_waitcnt lgkmcnt(7)
	v_perm_b32 v7, v7, v6, s10
	ds_read_u16 v6, v102 offset:5632
	ds_read_u16 v8, v102 offset:5808
	;; [unrolled: 1-line block ×8, first 2 shown]
	v_cvt_f16_f32_e32 v2, v2
	v_cvt_f16_f32_e32 v3, v3
	;; [unrolled: 1-line block ×4, first 2 shown]
	s_waitcnt lgkmcnt(6)
	v_perm_b32 v6, v8, v6, s10
	v_cvt_f32_f16_e32 v2, v2
	v_cvt_f32_f16_e32 v3, v3
	;; [unrolled: 1-line block ×4, first 2 shown]
	v_pk_mul_f16 v16, v16, v75
	v_perm_b32 v11, v98, v11, s10
	v_mfma_f32_16x16x16_f16 v[6:9], v[6:7], v[86:87], v[2:5]
	v_pk_mul_f16 v162, v14, v75
	v_pk_mul_f16 v32, v20, v75
	s_nop 0
	v_cvt_f32_f16_e32 v2, v10
	v_cvt_f32_f16_sdwa v3, v10 dst_sel:DWORD dst_unused:UNUSED_PAD src0_sel:WORD_1
	v_perm_b32 v10, v101, v100, s10
	v_cvt_f32_f16_e32 v4, v16
	v_cvt_f32_f16_sdwa v5, v16 dst_sel:DWORD dst_unused:UNUSED_PAD src0_sel:WORD_1
	v_cvt_f16_f32_e32 v16, v8
	v_cvt_f16_f32_e32 v20, v9
	v_mfma_f32_16x16x16_f16 v[2:5], v[10:11], v[84:85], v[2:5]
	v_perm_b32 v11, v15, v13, s10
	s_waitcnt lgkmcnt(5)
	v_perm_b32 v10, v92, v156, s10
	v_perm_b32 v9, v150, v93, s10
	;; [unrolled: 1-line block ×3, first 2 shown]
	s_nop 2
	v_cvt_f16_f32_e32 v2, v2
	v_cvt_f16_f32_e32 v3, v3
	;; [unrolled: 1-line block ×4, first 2 shown]
	v_cvt_f32_f16_e32 v2, v2
	v_cvt_f32_f16_e32 v3, v3
	;; [unrolled: 1-line block ×4, first 2 shown]
	v_pk_mul_f16 v19, v19, v75
	v_perm_b32 v20, v20, v16, s10
	v_mfma_f32_16x16x16_f16 v[12:15], v[10:11], v[86:87], v[2:5]
	v_pk_mul_f16 v23, v23, v75
	v_pk_mul_f16 v75, v22, v75
	s_nop 0
	v_cvt_f32_f16_e32 v2, v149
	v_cvt_f32_f16_sdwa v3, v149 dst_sel:DWORD dst_unused:UNUSED_PAD src0_sel:WORD_1
	v_cvt_f32_f16_e32 v4, v162
	v_cvt_f32_f16_sdwa v5, v162 dst_sel:DWORD dst_unused:UNUSED_PAD src0_sel:WORD_1
	s_nop 0
	v_cvt_f16_f32_e32 v10, v14
	v_cvt_f16_f32_e32 v11, v15
	v_mfma_f32_16x16x16_f16 v[2:5], v[8:9], v[84:85], v[2:5]
	v_perm_b32 v9, v151, v17, s10
	s_waitcnt lgkmcnt(4)
	v_perm_b32 v8, v94, v157, s10
	v_perm_b32 v89, v155, v89, s10
	s_waitcnt lgkmcnt(0)
	v_perm_b32 v88, v161, v148, s10
	s_nop 1
	v_cvt_f16_f32_e32 v2, v2
	v_cvt_f16_f32_e32 v3, v3
	;; [unrolled: 1-line block ×4, first 2 shown]
	v_cvt_f32_f16_e32 v2, v2
	v_cvt_f32_f16_e32 v3, v3
	;; [unrolled: 1-line block ×4, first 2 shown]
	v_perm_b32 v22, v11, v10, s10
	v_cvt_f32_f16_e32 v10, v75
	v_mfma_f32_16x16x16_f16 v[14:17], v[8:9], v[86:87], v[2:5]
	v_perm_b32 v9, v152, v95, s10
	v_perm_b32 v8, v158, v147, s10
	s_nop 0
	v_cvt_f32_f16_e32 v2, v32
	v_cvt_f32_f16_sdwa v3, v32 dst_sel:DWORD dst_unused:UNUSED_PAD src0_sel:WORD_1
	v_cvt_f32_f16_e32 v4, v19
	v_cvt_f32_f16_sdwa v5, v19 dst_sel:DWORD dst_unused:UNUSED_PAD src0_sel:WORD_1
	v_cvt_f32_f16_sdwa v11, v75 dst_sel:DWORD dst_unused:UNUSED_PAD src0_sel:WORD_1
	v_cvt_f16_f32_e32 v16, v16
	v_mfma_f32_16x16x16_f16 v[2:5], v[8:9], v[84:85], v[2:5]
	v_perm_b32 v9, v153, v25, s10
	v_perm_b32 v8, v96, v159, s10
	v_cvt_f16_f32_e32 v17, v17
	v_cvt_f16_f32_e32 v90, v6
	s_nop 3
	v_cvt_f16_f32_e32 v2, v2
	v_cvt_f16_f32_e32 v3, v3
	;; [unrolled: 1-line block ×4, first 2 shown]
	v_cvt_f32_f16_e32 v2, v2
	v_cvt_f32_f16_e32 v3, v3
	;; [unrolled: 1-line block ×4, first 2 shown]
	v_perm_b32 v16, v17, v16, s10
	v_cvt_f16_f32_e32 v92, v7
	v_mfma_f32_16x16x16_f16 v[2:5], v[8:9], v[86:87], v[2:5]
	v_cvt_f32_f16_e32 v8, v23
	v_cvt_f32_f16_sdwa v9, v23 dst_sel:DWORD dst_unused:UNUSED_PAD src0_sel:WORD_1
	v_cvt_f16_f32_e32 v93, v12
	v_cvt_f16_f32_e32 v32, v13
	v_mfma_f32_16x16x16_f16 v[8:11], v[88:89], v[84:85], v[8:11]
	s_nop 2
	v_cvt_f16_f32_e32 v4, v4
	v_cvt_f16_f32_e32 v5, v5
	v_perm_b32 v85, v154, v99, s10
	v_perm_b32 v84, v97, v160, s10
	s_nop 0
	v_cvt_f16_f32_e32 v8, v8
	v_cvt_f16_f32_e32 v9, v9
	;; [unrolled: 1-line block ×4, first 2 shown]
	v_cvt_f32_f16_e32 v8, v8
	v_cvt_f32_f16_e32 v9, v9
	;; [unrolled: 1-line block ×4, first 2 shown]
	v_perm_b32 v4, v5, v4, s10
	ds_bpermute_b32 v5, v24, v91
	v_mfma_f32_16x16x16_f16 v[8:11], v[84:85], v[86:87], v[8:11]
	v_cvt_f16_f32_e32 v94, v14
	v_cvt_f16_f32_e32 v25, v15
	s_waitcnt lgkmcnt(0)
	v_add_f32_e32 v17, v91, v5
	ds_bpermute_b32 v19, v21, v17
	v_cvt_f16_f32_e32 v23, v2
	v_cvt_f16_f32_e32 v75, v3
	s_nop 0
	v_cvt_f16_f32_e32 v24, v8
	v_cvt_f16_f32_e32 v10, v10
	;; [unrolled: 1-line block ×4, first 2 shown]
	s_waitcnt lgkmcnt(0)
	v_add_f32_e32 v19, v17, v19
	v_perm_b32 v17, v25, v94, s10
	v_perm_b32 v5, v11, v10, s10
	;; [unrolled: 1-line block ×6, first 2 shown]
	s_barrier
	s_and_saveexec_b64 s[14:15], s[6:7]
	s_cbranch_execz .LBB9_151
; %bb.150:                              ;   in Loop: Header=BB9_15 Depth=1
	v_lshlrev_b32_e32 v10, 2, v28
	global_load_dword v10, v10, s[82:83]
	v_cvt_pk_f16_f32 v11, v6, v7
	v_max_f32_e32 v6, v18, v18
	v_cvt_pk_f16_f32 v12, v12, v13
	v_cvt_pk_f16_f32 v13, v14, v15
	;; [unrolled: 1-line block ×4, first 2 shown]
	s_waitcnt vmcnt(0)
	v_max_f32_e32 v7, v10, v10
	v_max_f32_e32 v6, v6, v7
	v_sub_f32_e32 v7, v18, v6
	v_sub_f32_e32 v10, v10, v6
	v_mul_f32_e32 v14, 0x3fb8aa3b, v7
	v_mul_f32_e32 v15, 0x3fb8aa3b, v10
	v_fma_f32 v17, v7, s69, -v14
	v_rndne_f32_e32 v18, v14
	v_fma_f32 v23, v10, s69, -v15
	v_rndne_f32_e32 v24, v15
	v_fmac_f32_e32 v17, 0x32a5705f, v7
	v_sub_f32_e32 v14, v14, v18
	v_fmac_f32_e32 v23, 0x32a5705f, v10
	v_sub_f32_e32 v15, v15, v24
	v_add_f32_e32 v14, v14, v17
	v_cvt_i32_f32_e32 v18, v18
	v_add_f32_e32 v15, v15, v23
	v_exp_f32_e32 v14, v14
	v_cvt_i32_f32_e32 v24, v24
	v_exp_f32_e32 v15, v15
	v_cmp_ngt_f32_e32 vcc, s70, v7
	v_ldexp_f32 v8, v14, v18
	v_ldexp_f32 v9, v15, v24
	v_cndmask_b32_e32 v8, 0, v8, vcc
	v_cmp_ngt_f32_e32 vcc, s70, v10
	s_nop 1
	v_cndmask_b32_e32 v9, 0, v9, vcc
	v_cmp_nlt_f32_e32 vcc, s71, v7
	s_nop 1
	v_cndmask_b32_e32 v8, v144, v8, vcc
	v_cmp_le_f32_e32 vcc, s26, v7
	s_nop 1
	v_cndmask_b32_e32 v8, 0, v8, vcc
	v_cvt_f16_f32_e32 v14, v8
	v_cmp_nlt_f32_e32 vcc, s71, v10
	s_nop 1
	v_cndmask_b32_e32 v7, v144, v9, vcc
	v_fmac_f32_e32 v7, v19, v8
	v_mul_u32_u24_e32 v8, 0x10001, v14
	v_pk_mul_f16 v11, v11, v8
	v_pk_mul_f16 v20, v20, v8
	;; [unrolled: 1-line block ×10, first 2 shown]
	v_mov_b64_e32 v[18:19], v[6:7]
.LBB9_151:                              ;   in Loop: Header=BB9_15 Depth=1
	s_or_b64 exec, exec, s[14:15]
	s_mov_b64 s[14:15], exec
	v_readlane_b32 s6, v166, 19
	v_readlane_b32 s7, v166, 20
	s_and_b64 s[6:7], s[14:15], s[6:7]
	s_mov_b64 exec, s[6:7]
; %bb.152:                              ;   in Loop: Header=BB9_15 Depth=1
	v_add_u32_e32 v2, 0, v111
	ds_write2_b32 v2, v18, v19 offset0:40 offset1:41
; %bb.153:                              ;   in Loop: Header=BB9_15 Depth=1
	s_or_b64 exec, exec, s[14:15]
	v_readlane_b32 s14, v166, 14
	v_readlane_b32 s15, v166, 15
	s_waitcnt lgkmcnt(0)
	s_barrier
	s_and_saveexec_b64 s[6:7], s[14:15]
	s_xor_b64 s[14:15], exec, s[6:7]
	s_cbranch_execz .LBB9_155
; %bb.154:                              ;   in Loop: Header=BB9_15 Depth=1
	s_barrier
                                        ; implicit-def: $vgpr21
.LBB9_155:                              ;   in Loop: Header=BB9_15 Depth=1
	s_andn2_saveexec_b64 s[14:15], s[14:15]
	s_cbranch_execz .LBB9_159
; %bb.156:                              ;   in Loop: Header=BB9_15 Depth=1
	v_add_u32_e32 v6, 0, v112
	ds_read_b64 v[2:3], v6 offset:160
	s_waitcnt lgkmcnt(0)
	s_barrier
	ds_bpermute_b32 v7, v21, v2
	v_max_f32_e32 v8, v2, v2
	s_waitcnt lgkmcnt(0)
	v_max_f32_e32 v7, v7, v7
	v_max_f32_e32 v7, v8, v7
	v_sub_f32_e32 v2, v2, v7
	v_mul_f32_e32 v7, 0x3fb8aa3b, v2
	v_fma_f32 v8, v2, s69, -v7
	v_rndne_f32_e32 v9, v7
	v_fmac_f32_e32 v8, 0x32a5705f, v2
	v_sub_f32_e32 v7, v7, v9
	v_add_f32_e32 v7, v7, v8
	v_cvt_i32_f32_e32 v9, v9
	v_exp_f32_e32 v7, v7
	v_cmp_ngt_f32_e32 vcc, s70, v2
	v_ldexp_f32 v7, v7, v9
	s_nop 0
	v_cndmask_b32_e32 v7, 0, v7, vcc
	v_cmp_nlt_f32_e32 vcc, s71, v2
	s_nop 1
	v_cndmask_b32_e32 v2, v144, v7, vcc
	v_mul_f32_e32 v3, v3, v2
	ds_bpermute_b32 v7, v21, v3
	s_mov_b64 s[18:19], exec
	v_readlane_b32 s6, v166, 21
	v_readlane_b32 s7, v166, 22
	s_and_b64 s[6:7], s[18:19], s[6:7]
	s_mov_b64 exec, s[6:7]
	s_cbranch_execz .LBB9_158
; %bb.157:                              ;   in Loop: Header=BB9_15 Depth=1
	s_waitcnt lgkmcnt(0)
	v_add_f32_e32 v3, v3, v7
	ds_write_b64 v6, v[2:3] offset:160
.LBB9_158:                              ;   in Loop: Header=BB9_15 Depth=1
	s_or_b64 exec, exec, s[18:19]
.LBB9_159:                              ;   in Loop: Header=BB9_15 Depth=1
	s_or_b64 exec, exec, s[14:15]
	ds_write2_b32 v105, v11, v20 offset1:1
	ds_write2_b32 v105, v10, v22 offset0:8 offset1:9
	ds_write2_b32 v105, v17, v16 offset0:16 offset1:17
	;; [unrolled: 1-line block ×4, first 2 shown]
	s_waitcnt lgkmcnt(0)
	s_barrier
	s_and_saveexec_b64 s[82:83], s[4:5]
	s_cbranch_execz .LBB9_13
; %bb.160:                              ;   in Loop: Header=BB9_15 Depth=1
	v_add_u32_e32 v2, s9, v138
	v_or_b32_e32 v3, s11, v64
	v_cmp_gt_i32_e32 vcc, s20, v2
	v_cmp_gt_i32_e64 s[14:15], s3, v3
	s_and_b64 s[6:7], vcc, s[14:15]
	v_mov_b32_e32 v3, 0x47
	s_and_saveexec_b64 s[18:19], s[6:7]
	s_cbranch_execz .LBB9_162
; %bb.161:                              ;   in Loop: Header=BB9_15 Depth=1
	v_add_u32_e32 v3, v132, v117
	ds_read2st64_b32 v[4:5], v3 offset1:11
	v_add_u32_e32 v3, 0, v117
	ds_read2_b32 v[6:7], v3 offset0:40 offset1:41
	ds_read_b32 v8, v3 offset:2976
	v_mad_u64_u32 v[2:3], s[6:7], v2, s21, v[64:65]
	s_waitcnt lgkmcnt(2)
	v_cvt_f32_f16_e32 v10, v4
	v_cvt_f32_f16_sdwa v11, v4 dst_sel:DWORD dst_unused:UNUSED_PAD src0_sel:WORD_1
	v_cvt_f32_f16_e32 v4, v5
	v_cvt_f32_f16_sdwa v5, v5 dst_sel:DWORD dst_unused:UNUSED_PAD src0_sel:WORD_1
	v_mad_u64_u32 v[2:3], s[6:7], v2, 40, v[26:27]
	s_waitcnt lgkmcnt(1)
	v_pk_fma_f32 v[10:11], v[6:7], v[10:11], 0 op_sel_hi:[0,1,0]
	s_waitcnt lgkmcnt(0)
	v_pk_fma_f32 v[4:5], v[8:9], v[4:5], v[10:11] op_sel_hi:[0,1,1]
	v_div_scale_f32 v6, s[6:7], v7, v7, v5
	v_rcp_f32_e32 v8, v6
	v_ashrrev_i32_e32 v3, 31, v2
	v_lshl_add_u64 v[2:3], v[2:3], 3, s[80:81]
	v_fma_f32 v9, -v6, v8, 1.0
	v_fmac_f32_e32 v8, v9, v8
	v_div_scale_f32 v9, vcc, v5, v7, v5
	v_mul_f32_e32 v10, v9, v8
	v_fma_f32 v11, -v6, v10, v9
	v_fmac_f32_e32 v10, v11, v8
	v_fma_f32 v6, -v6, v10, v9
	v_div_scale_f32 v9, s[6:7], v7, v7, v4
	v_rcp_f32_e32 v11, v9
	v_div_fmas_f32 v6, v6, v8, v10
	v_div_fixup_f32 v5, v6, v7, v5
	v_fma_f32 v6, -v9, v11, 1.0
	v_fmac_f32_e32 v11, v6, v11
	v_div_scale_f32 v6, vcc, v4, v7, v4
	v_mul_f32_e32 v8, v6, v11
	v_fma_f32 v10, -v9, v8, v6
	v_fmac_f32_e32 v8, v10, v11
	v_fma_f32 v6, -v9, v8, v6
	v_div_fmas_f32 v6, v6, v11, v8
	v_div_fixup_f32 v4, v6, v7, v4
	global_store_dwordx2 v[2:3], v[4:5], off
	v_mov_b32_e32 v3, 0
.LBB9_162:                              ;   in Loop: Header=BB9_15 Depth=1
	s_or_b64 exec, exec, s[18:19]
	s_movk_i32 s2, 0x47
	v_cmp_gt_i32_e32 vcc, s2, v3
	s_mov_b64 s[18:19], -1
	s_and_saveexec_b64 s[84:85], vcc
; %bb.163:                              ;   in Loop: Header=BB9_15 Depth=1
	v_cmp_eq_u32_e32 vcc, 0, v3
	s_orn2_b64 s[18:19], vcc, exec
; %bb.164:                              ;   in Loop: Header=BB9_15 Depth=1
	s_or_b64 exec, exec, s[84:85]
	s_and_saveexec_b64 s[84:85], s[18:19]
	s_cbranch_execz .LBB9_197
; %bb.165:                              ;   in Loop: Header=BB9_15 Depth=1
	v_add_u32_e32 v2, s9, v139
	v_or_b32_e32 v3, s11, v66
	v_cmp_gt_i32_e32 vcc, s20, v2
	v_cmp_gt_i32_e64 s[18:19], s3, v3
	s_and_b64 s[6:7], vcc, s[18:19]
	v_mov_b32_e32 v3, 0x47
	s_and_saveexec_b64 s[18:19], s[6:7]
	s_cbranch_execz .LBB9_167
; %bb.166:                              ;   in Loop: Header=BB9_15 Depth=1
	v_add_u32_e32 v3, v132, v118
	ds_read2st64_b32 v[4:5], v3 offset1:11
	v_add_u32_e32 v3, 0, v118
	ds_read2_b32 v[6:7], v3 offset0:40 offset1:41
	ds_read_b32 v8, v3 offset:2976
	v_mad_u64_u32 v[2:3], s[6:7], v2, s21, v[66:67]
	s_waitcnt lgkmcnt(2)
	v_cvt_f32_f16_e32 v10, v4
	v_cvt_f32_f16_sdwa v11, v4 dst_sel:DWORD dst_unused:UNUSED_PAD src0_sel:WORD_1
	v_cvt_f32_f16_e32 v4, v5
	v_cvt_f32_f16_sdwa v5, v5 dst_sel:DWORD dst_unused:UNUSED_PAD src0_sel:WORD_1
	v_mad_u64_u32 v[2:3], s[6:7], v2, 40, v[26:27]
	s_waitcnt lgkmcnt(1)
	v_pk_fma_f32 v[10:11], v[6:7], v[10:11], 0 op_sel_hi:[0,1,0]
	s_waitcnt lgkmcnt(0)
	v_pk_fma_f32 v[4:5], v[8:9], v[4:5], v[10:11] op_sel_hi:[0,1,1]
	v_div_scale_f32 v6, s[6:7], v7, v7, v5
	v_rcp_f32_e32 v8, v6
	v_ashrrev_i32_e32 v3, 31, v2
	v_lshl_add_u64 v[2:3], v[2:3], 3, s[80:81]
	v_fma_f32 v9, -v6, v8, 1.0
	v_fmac_f32_e32 v8, v9, v8
	v_div_scale_f32 v9, vcc, v5, v7, v5
	v_mul_f32_e32 v10, v9, v8
	v_fma_f32 v11, -v6, v10, v9
	v_fmac_f32_e32 v10, v11, v8
	v_fma_f32 v6, -v6, v10, v9
	v_div_scale_f32 v9, s[6:7], v7, v7, v4
	v_rcp_f32_e32 v11, v9
	v_div_fmas_f32 v6, v6, v8, v10
	v_div_fixup_f32 v5, v6, v7, v5
	v_fma_f32 v6, -v9, v11, 1.0
	v_fmac_f32_e32 v11, v6, v11
	v_div_scale_f32 v6, vcc, v4, v7, v4
	v_mul_f32_e32 v8, v6, v11
	v_fma_f32 v10, -v9, v8, v6
	v_fmac_f32_e32 v8, v10, v11
	v_fma_f32 v6, -v9, v8, v6
	v_div_fmas_f32 v6, v6, v11, v8
	v_div_fixup_f32 v4, v6, v7, v4
	global_store_dwordx2 v[2:3], v[4:5], off
	v_mov_b32_e32 v3, 0
.LBB9_167:                              ;   in Loop: Header=BB9_15 Depth=1
	s_or_b64 exec, exec, s[18:19]
	v_cmp_gt_i32_e32 vcc, s2, v3
	s_mov_b64 s[18:19], -1
	s_and_saveexec_b64 s[86:87], vcc
; %bb.168:                              ;   in Loop: Header=BB9_15 Depth=1
	v_cmp_eq_u32_e32 vcc, 0, v3
	s_orn2_b64 s[18:19], vcc, exec
; %bb.169:                              ;   in Loop: Header=BB9_15 Depth=1
	s_or_b64 exec, exec, s[86:87]
	s_and_b64 exec, exec, s[18:19]
	s_cbranch_execz .LBB9_197
; %bb.170:                              ;   in Loop: Header=BB9_15 Depth=1
	v_add_u32_e32 v2, s9, v119
	v_cmp_gt_i32_e32 vcc, s20, v2
	s_and_b64 s[6:7], vcc, s[14:15]
	v_mov_b32_e32 v3, 0x47
	s_and_saveexec_b64 s[18:19], s[6:7]
	s_cbranch_execz .LBB9_172
; %bb.171:                              ;   in Loop: Header=BB9_15 Depth=1
	v_add_u32_e32 v3, v132, v120
	ds_read2st64_b32 v[4:5], v3 offset1:11
	v_add_u32_e32 v3, 0, v120
	ds_read2_b32 v[6:7], v3 offset0:40 offset1:41
	ds_read_b32 v8, v3 offset:2976
	v_mad_u64_u32 v[2:3], s[6:7], v2, s21, v[64:65]
	s_waitcnt lgkmcnt(2)
	v_cvt_f32_f16_e32 v10, v4
	v_cvt_f32_f16_sdwa v11, v4 dst_sel:DWORD dst_unused:UNUSED_PAD src0_sel:WORD_1
	v_cvt_f32_f16_e32 v4, v5
	v_cvt_f32_f16_sdwa v5, v5 dst_sel:DWORD dst_unused:UNUSED_PAD src0_sel:WORD_1
	v_mad_u64_u32 v[2:3], s[6:7], v2, 40, v[26:27]
	s_waitcnt lgkmcnt(1)
	v_pk_fma_f32 v[10:11], v[6:7], v[10:11], 0 op_sel_hi:[0,1,0]
	s_waitcnt lgkmcnt(0)
	v_pk_fma_f32 v[4:5], v[8:9], v[4:5], v[10:11] op_sel_hi:[0,1,1]
	v_div_scale_f32 v6, s[6:7], v7, v7, v5
	v_rcp_f32_e32 v8, v6
	v_ashrrev_i32_e32 v3, 31, v2
	v_lshl_add_u64 v[2:3], v[2:3], 3, s[80:81]
	v_fma_f32 v9, -v6, v8, 1.0
	v_fmac_f32_e32 v8, v9, v8
	v_div_scale_f32 v9, vcc, v5, v7, v5
	v_mul_f32_e32 v10, v9, v8
	v_fma_f32 v11, -v6, v10, v9
	v_fmac_f32_e32 v10, v11, v8
	v_fma_f32 v6, -v6, v10, v9
	v_div_scale_f32 v9, s[6:7], v7, v7, v4
	v_rcp_f32_e32 v11, v9
	v_div_fmas_f32 v6, v6, v8, v10
	v_div_fixup_f32 v5, v6, v7, v5
	v_fma_f32 v6, -v9, v11, 1.0
	v_fmac_f32_e32 v11, v6, v11
	v_div_scale_f32 v6, vcc, v4, v7, v4
	v_mul_f32_e32 v8, v6, v11
	v_fma_f32 v10, -v9, v8, v6
	v_fmac_f32_e32 v8, v10, v11
	v_fma_f32 v6, -v9, v8, v6
	v_div_fmas_f32 v6, v6, v11, v8
	v_div_fixup_f32 v4, v6, v7, v4
	global_store_dwordx2 v[2:3], v[4:5], off
	v_mov_b32_e32 v3, 0
.LBB9_172:                              ;   in Loop: Header=BB9_15 Depth=1
	s_or_b64 exec, exec, s[18:19]
	v_cmp_gt_i32_e32 vcc, s2, v3
	s_mov_b64 s[18:19], -1
	s_and_saveexec_b64 s[86:87], vcc
; %bb.173:                              ;   in Loop: Header=BB9_15 Depth=1
	v_cmp_eq_u32_e32 vcc, 0, v3
	s_orn2_b64 s[18:19], vcc, exec
; %bb.174:                              ;   in Loop: Header=BB9_15 Depth=1
	s_or_b64 exec, exec, s[86:87]
	s_and_b64 exec, exec, s[18:19]
	s_cbranch_execz .LBB9_197
; %bb.175:                              ;   in Loop: Header=BB9_15 Depth=1
	v_add_u32_e32 v2, s9, v140
	v_or_b32_e32 v3, s11, v68
	v_cmp_gt_i32_e32 vcc, s20, v2
	v_cmp_gt_i32_e64 s[18:19], s3, v3
	s_and_b64 s[6:7], vcc, s[18:19]
	v_mov_b32_e32 v3, 0x47
	s_and_saveexec_b64 s[18:19], s[6:7]
	s_cbranch_execz .LBB9_177
; %bb.176:                              ;   in Loop: Header=BB9_15 Depth=1
	v_add_u32_e32 v3, v132, v121
	ds_read2st64_b32 v[4:5], v3 offset1:11
	v_add_u32_e32 v3, 0, v121
	ds_read2_b32 v[6:7], v3 offset0:40 offset1:41
	ds_read_b32 v8, v3 offset:2976
	v_mad_u64_u32 v[2:3], s[6:7], v2, s21, v[68:69]
	s_waitcnt lgkmcnt(2)
	v_cvt_f32_f16_e32 v10, v4
	v_cvt_f32_f16_sdwa v11, v4 dst_sel:DWORD dst_unused:UNUSED_PAD src0_sel:WORD_1
	v_cvt_f32_f16_e32 v4, v5
	v_cvt_f32_f16_sdwa v5, v5 dst_sel:DWORD dst_unused:UNUSED_PAD src0_sel:WORD_1
	v_mad_u64_u32 v[2:3], s[6:7], v2, 40, v[26:27]
	s_waitcnt lgkmcnt(1)
	v_pk_fma_f32 v[10:11], v[6:7], v[10:11], 0 op_sel_hi:[0,1,0]
	s_waitcnt lgkmcnt(0)
	v_pk_fma_f32 v[4:5], v[8:9], v[4:5], v[10:11] op_sel_hi:[0,1,1]
	v_div_scale_f32 v6, s[6:7], v7, v7, v5
	v_rcp_f32_e32 v8, v6
	v_ashrrev_i32_e32 v3, 31, v2
	v_lshl_add_u64 v[2:3], v[2:3], 3, s[80:81]
	v_fma_f32 v9, -v6, v8, 1.0
	v_fmac_f32_e32 v8, v9, v8
	v_div_scale_f32 v9, vcc, v5, v7, v5
	v_mul_f32_e32 v10, v9, v8
	v_fma_f32 v11, -v6, v10, v9
	v_fmac_f32_e32 v10, v11, v8
	v_fma_f32 v6, -v6, v10, v9
	v_div_scale_f32 v9, s[6:7], v7, v7, v4
	v_rcp_f32_e32 v11, v9
	v_div_fmas_f32 v6, v6, v8, v10
	v_div_fixup_f32 v5, v6, v7, v5
	v_fma_f32 v6, -v9, v11, 1.0
	v_fmac_f32_e32 v11, v6, v11
	v_div_scale_f32 v6, vcc, v4, v7, v4
	v_mul_f32_e32 v8, v6, v11
	v_fma_f32 v10, -v9, v8, v6
	v_fmac_f32_e32 v8, v10, v11
	v_fma_f32 v6, -v9, v8, v6
	v_div_fmas_f32 v6, v6, v11, v8
	v_div_fixup_f32 v4, v6, v7, v4
	global_store_dwordx2 v[2:3], v[4:5], off
	v_mov_b32_e32 v3, 0
.LBB9_177:                              ;   in Loop: Header=BB9_15 Depth=1
	s_or_b64 exec, exec, s[18:19]
	v_cmp_gt_i32_e32 vcc, s2, v3
	s_mov_b64 s[18:19], -1
	s_and_saveexec_b64 s[86:87], vcc
; %bb.178:                              ;   in Loop: Header=BB9_15 Depth=1
	v_cmp_eq_u32_e32 vcc, 0, v3
	s_orn2_b64 s[18:19], vcc, exec
; %bb.179:                              ;   in Loop: Header=BB9_15 Depth=1
	s_or_b64 exec, exec, s[86:87]
	s_and_b64 exec, exec, s[18:19]
	s_cbranch_execz .LBB9_197
; %bb.180:                              ;   in Loop: Header=BB9_15 Depth=1
	v_add_u32_e32 v2, s9, v122
	v_cmp_gt_i32_e32 vcc, s20, v2
	s_and_b64 s[6:7], vcc, s[14:15]
	v_mov_b32_e32 v3, 0x47
	s_and_saveexec_b64 s[18:19], s[6:7]
	s_cbranch_execz .LBB9_182
; %bb.181:                              ;   in Loop: Header=BB9_15 Depth=1
	v_add_u32_e32 v3, v132, v123
	ds_read2st64_b32 v[4:5], v3 offset1:11
	v_add_u32_e32 v3, 0, v123
	ds_read2_b32 v[6:7], v3 offset0:40 offset1:41
	ds_read_b32 v8, v3 offset:2976
	v_mad_u64_u32 v[2:3], s[6:7], v2, s21, v[64:65]
	s_waitcnt lgkmcnt(2)
	v_cvt_f32_f16_e32 v10, v4
	v_cvt_f32_f16_sdwa v11, v4 dst_sel:DWORD dst_unused:UNUSED_PAD src0_sel:WORD_1
	v_cvt_f32_f16_e32 v4, v5
	v_cvt_f32_f16_sdwa v5, v5 dst_sel:DWORD dst_unused:UNUSED_PAD src0_sel:WORD_1
	v_mad_u64_u32 v[2:3], s[6:7], v2, 40, v[26:27]
	s_waitcnt lgkmcnt(1)
	v_pk_fma_f32 v[10:11], v[6:7], v[10:11], 0 op_sel_hi:[0,1,0]
	s_waitcnt lgkmcnt(0)
	v_pk_fma_f32 v[4:5], v[8:9], v[4:5], v[10:11] op_sel_hi:[0,1,1]
	v_div_scale_f32 v6, s[6:7], v7, v7, v5
	v_rcp_f32_e32 v8, v6
	v_ashrrev_i32_e32 v3, 31, v2
	v_lshl_add_u64 v[2:3], v[2:3], 3, s[80:81]
	v_fma_f32 v9, -v6, v8, 1.0
	v_fmac_f32_e32 v8, v9, v8
	v_div_scale_f32 v9, vcc, v5, v7, v5
	v_mul_f32_e32 v10, v9, v8
	v_fma_f32 v11, -v6, v10, v9
	v_fmac_f32_e32 v10, v11, v8
	v_fma_f32 v6, -v6, v10, v9
	v_div_scale_f32 v9, s[6:7], v7, v7, v4
	v_rcp_f32_e32 v11, v9
	v_div_fmas_f32 v6, v6, v8, v10
	v_div_fixup_f32 v5, v6, v7, v5
	v_fma_f32 v6, -v9, v11, 1.0
	v_fmac_f32_e32 v11, v6, v11
	v_div_scale_f32 v6, vcc, v4, v7, v4
	v_mul_f32_e32 v8, v6, v11
	v_fma_f32 v10, -v9, v8, v6
	v_fmac_f32_e32 v8, v10, v11
	v_fma_f32 v6, -v9, v8, v6
	v_div_fmas_f32 v6, v6, v11, v8
	v_div_fixup_f32 v4, v6, v7, v4
	global_store_dwordx2 v[2:3], v[4:5], off
	v_mov_b32_e32 v3, 0
.LBB9_182:                              ;   in Loop: Header=BB9_15 Depth=1
	s_or_b64 exec, exec, s[18:19]
	v_cmp_gt_i32_e32 vcc, s2, v3
	s_mov_b64 s[18:19], -1
	s_and_saveexec_b64 s[86:87], vcc
; %bb.183:                              ;   in Loop: Header=BB9_15 Depth=1
	v_cmp_eq_u32_e32 vcc, 0, v3
	s_orn2_b64 s[18:19], vcc, exec
; %bb.184:                              ;   in Loop: Header=BB9_15 Depth=1
	s_or_b64 exec, exec, s[86:87]
	s_and_b64 exec, exec, s[18:19]
	s_cbranch_execz .LBB9_197
; %bb.185:                              ;   in Loop: Header=BB9_15 Depth=1
	v_add_u32_e32 v2, s9, v141
	v_or_b32_e32 v3, s11, v70
	v_cmp_gt_i32_e32 vcc, s20, v2
	v_cmp_gt_i32_e64 s[18:19], s3, v3
	s_and_b64 s[6:7], vcc, s[18:19]
	v_mov_b32_e32 v3, 0x47
	s_and_saveexec_b64 s[18:19], s[6:7]
	s_cbranch_execz .LBB9_187
; %bb.186:                              ;   in Loop: Header=BB9_15 Depth=1
	v_add_u32_e32 v3, v132, v124
	ds_read2st64_b32 v[4:5], v3 offset1:11
	v_add_u32_e32 v3, 0, v124
	ds_read2_b32 v[6:7], v3 offset0:40 offset1:41
	ds_read_b32 v8, v3 offset:2976
	v_mad_u64_u32 v[2:3], s[6:7], v2, s21, v[70:71]
	s_waitcnt lgkmcnt(2)
	v_cvt_f32_f16_e32 v10, v4
	v_cvt_f32_f16_sdwa v11, v4 dst_sel:DWORD dst_unused:UNUSED_PAD src0_sel:WORD_1
	v_cvt_f32_f16_e32 v4, v5
	v_cvt_f32_f16_sdwa v5, v5 dst_sel:DWORD dst_unused:UNUSED_PAD src0_sel:WORD_1
	v_mad_u64_u32 v[2:3], s[6:7], v2, 40, v[26:27]
	s_waitcnt lgkmcnt(1)
	v_pk_fma_f32 v[10:11], v[6:7], v[10:11], 0 op_sel_hi:[0,1,0]
	s_waitcnt lgkmcnt(0)
	v_pk_fma_f32 v[4:5], v[8:9], v[4:5], v[10:11] op_sel_hi:[0,1,1]
	v_div_scale_f32 v6, s[6:7], v7, v7, v5
	v_rcp_f32_e32 v8, v6
	v_ashrrev_i32_e32 v3, 31, v2
	v_lshl_add_u64 v[2:3], v[2:3], 3, s[80:81]
	v_fma_f32 v9, -v6, v8, 1.0
	v_fmac_f32_e32 v8, v9, v8
	v_div_scale_f32 v9, vcc, v5, v7, v5
	v_mul_f32_e32 v10, v9, v8
	v_fma_f32 v11, -v6, v10, v9
	v_fmac_f32_e32 v10, v11, v8
	v_fma_f32 v6, -v6, v10, v9
	v_div_scale_f32 v9, s[6:7], v7, v7, v4
	v_rcp_f32_e32 v11, v9
	v_div_fmas_f32 v6, v6, v8, v10
	v_div_fixup_f32 v5, v6, v7, v5
	v_fma_f32 v6, -v9, v11, 1.0
	v_fmac_f32_e32 v11, v6, v11
	v_div_scale_f32 v6, vcc, v4, v7, v4
	v_mul_f32_e32 v8, v6, v11
	v_fma_f32 v10, -v9, v8, v6
	v_fmac_f32_e32 v8, v10, v11
	v_fma_f32 v6, -v9, v8, v6
	v_div_fmas_f32 v6, v6, v11, v8
	v_div_fixup_f32 v4, v6, v7, v4
	global_store_dwordx2 v[2:3], v[4:5], off
	v_mov_b32_e32 v3, 0
.LBB9_187:                              ;   in Loop: Header=BB9_15 Depth=1
	s_or_b64 exec, exec, s[18:19]
	v_cmp_gt_i32_e32 vcc, s2, v3
	s_mov_b64 s[18:19], -1
	s_and_saveexec_b64 s[86:87], vcc
; %bb.188:                              ;   in Loop: Header=BB9_15 Depth=1
	v_cmp_eq_u32_e32 vcc, 0, v3
	s_orn2_b64 s[18:19], vcc, exec
; %bb.189:                              ;   in Loop: Header=BB9_15 Depth=1
	s_or_b64 exec, exec, s[86:87]
	s_and_b64 exec, exec, s[18:19]
	s_cbranch_execz .LBB9_197
; %bb.190:                              ;   in Loop: Header=BB9_15 Depth=1
	v_add_u32_e32 v2, s9, v125
	v_cmp_gt_i32_e32 vcc, s20, v2
	s_and_b64 s[6:7], vcc, s[14:15]
	v_mov_b32_e32 v3, 0x47
	s_and_saveexec_b64 s[14:15], s[6:7]
	s_cbranch_execz .LBB9_192
; %bb.191:                              ;   in Loop: Header=BB9_15 Depth=1
	v_add_u32_e32 v3, v132, v126
	ds_read2st64_b32 v[4:5], v3 offset1:11
	v_add_u32_e32 v3, 0, v126
	ds_read2_b32 v[6:7], v3 offset0:40 offset1:41
	ds_read_b32 v8, v3 offset:2976
	v_mad_u64_u32 v[2:3], s[6:7], v2, s21, v[64:65]
	s_waitcnt lgkmcnt(2)
	v_cvt_f32_f16_e32 v10, v4
	v_cvt_f32_f16_sdwa v11, v4 dst_sel:DWORD dst_unused:UNUSED_PAD src0_sel:WORD_1
	v_cvt_f32_f16_e32 v4, v5
	v_cvt_f32_f16_sdwa v5, v5 dst_sel:DWORD dst_unused:UNUSED_PAD src0_sel:WORD_1
	v_mad_u64_u32 v[2:3], s[6:7], v2, 40, v[26:27]
	s_waitcnt lgkmcnt(1)
	v_pk_fma_f32 v[10:11], v[6:7], v[10:11], 0 op_sel_hi:[0,1,0]
	s_waitcnt lgkmcnt(0)
	v_pk_fma_f32 v[4:5], v[8:9], v[4:5], v[10:11] op_sel_hi:[0,1,1]
	v_div_scale_f32 v6, s[6:7], v7, v7, v5
	v_rcp_f32_e32 v8, v6
	v_ashrrev_i32_e32 v3, 31, v2
	v_lshl_add_u64 v[2:3], v[2:3], 3, s[80:81]
	v_fma_f32 v9, -v6, v8, 1.0
	v_fmac_f32_e32 v8, v9, v8
	v_div_scale_f32 v9, vcc, v5, v7, v5
	v_mul_f32_e32 v10, v9, v8
	v_fma_f32 v11, -v6, v10, v9
	v_fmac_f32_e32 v10, v11, v8
	v_fma_f32 v6, -v6, v10, v9
	v_div_scale_f32 v9, s[6:7], v7, v7, v4
	v_rcp_f32_e32 v11, v9
	v_div_fmas_f32 v6, v6, v8, v10
	v_div_fixup_f32 v5, v6, v7, v5
	v_fma_f32 v6, -v9, v11, 1.0
	v_fmac_f32_e32 v11, v6, v11
	v_div_scale_f32 v6, vcc, v4, v7, v4
	v_mul_f32_e32 v8, v6, v11
	v_fma_f32 v10, -v9, v8, v6
	v_fmac_f32_e32 v8, v10, v11
	v_fma_f32 v6, -v9, v8, v6
	v_div_fmas_f32 v6, v6, v11, v8
	v_div_fixup_f32 v4, v6, v7, v4
	global_store_dwordx2 v[2:3], v[4:5], off
	v_mov_b32_e32 v3, 0
.LBB9_192:                              ;   in Loop: Header=BB9_15 Depth=1
	s_or_b64 exec, exec, s[14:15]
	v_cmp_gt_i32_e32 vcc, s2, v3
	s_mov_b64 s[14:15], -1
	s_and_saveexec_b64 s[18:19], vcc
; %bb.193:                              ;   in Loop: Header=BB9_15 Depth=1
	v_cmp_eq_u32_e32 vcc, 0, v3
	s_orn2_b64 s[14:15], vcc, exec
; %bb.194:                              ;   in Loop: Header=BB9_15 Depth=1
	s_or_b64 exec, exec, s[18:19]
	s_and_b64 exec, exec, s[14:15]
	s_cbranch_execz .LBB9_197
; %bb.195:                              ;   in Loop: Header=BB9_15 Depth=1
	v_add_u32_e32 v2, s9, v142
	v_or_b32_e32 v3, s11, v72
	v_cmp_gt_i32_e32 vcc, s20, v2
	v_cmp_gt_i32_e64 s[14:15], s3, v3
	s_and_b64 s[6:7], vcc, s[14:15]
	s_and_b64 exec, exec, s[6:7]
	s_cbranch_execz .LBB9_197
; %bb.196:                              ;   in Loop: Header=BB9_15 Depth=1
	v_add_u32_e32 v3, v132, v127
	ds_read2st64_b32 v[4:5], v3 offset1:11
	v_add_u32_e32 v3, 0, v127
	ds_read2_b32 v[6:7], v3 offset0:40 offset1:41
	ds_read_b32 v8, v3 offset:2976
	v_mad_u64_u32 v[2:3], s[6:7], v2, s21, v[72:73]
	s_waitcnt lgkmcnt(2)
	v_cvt_f32_f16_e32 v10, v4
	v_cvt_f32_f16_sdwa v11, v4 dst_sel:DWORD dst_unused:UNUSED_PAD src0_sel:WORD_1
	v_cvt_f32_f16_e32 v4, v5
	v_cvt_f32_f16_sdwa v5, v5 dst_sel:DWORD dst_unused:UNUSED_PAD src0_sel:WORD_1
	v_mad_u64_u32 v[2:3], s[6:7], v2, 40, v[26:27]
	s_waitcnt lgkmcnt(1)
	v_pk_fma_f32 v[10:11], v[6:7], v[10:11], 0 op_sel_hi:[0,1,0]
	s_waitcnt lgkmcnt(0)
	v_pk_fma_f32 v[4:5], v[8:9], v[4:5], v[10:11] op_sel_hi:[0,1,1]
	v_div_scale_f32 v6, s[6:7], v7, v7, v5
	v_rcp_f32_e32 v8, v6
	v_ashrrev_i32_e32 v3, 31, v2
	v_lshl_add_u64 v[2:3], v[2:3], 3, s[80:81]
	v_fma_f32 v9, -v6, v8, 1.0
	v_fmac_f32_e32 v8, v9, v8
	v_div_scale_f32 v9, vcc, v5, v7, v5
	v_mul_f32_e32 v10, v9, v8
	v_fma_f32 v11, -v6, v10, v9
	v_fmac_f32_e32 v10, v11, v8
	v_fma_f32 v6, -v6, v10, v9
	v_div_scale_f32 v9, s[6:7], v7, v7, v4
	v_rcp_f32_e32 v11, v9
	v_div_fmas_f32 v6, v6, v8, v10
	v_div_fixup_f32 v5, v6, v7, v5
	v_fma_f32 v6, -v9, v11, 1.0
	v_fmac_f32_e32 v11, v6, v11
	v_div_scale_f32 v6, vcc, v4, v7, v4
	v_mul_f32_e32 v8, v6, v11
	v_fma_f32 v10, -v9, v8, v6
	v_fmac_f32_e32 v8, v10, v11
	v_fma_f32 v6, -v9, v8, v6
	v_div_fmas_f32 v6, v6, v11, v8
	v_div_fixup_f32 v4, v6, v7, v4
	global_store_dwordx2 v[2:3], v[4:5], off
.LBB9_197:                              ;   in Loop: Header=BB9_15 Depth=1
	s_or_b64 exec, exec, s[84:85]
	v_add_u32_e32 v2, s9, v128
	v_cmp_gt_i32_e32 vcc, s20, v2
	s_and_b64 s[6:7], vcc, s[12:13]
	v_mov_b32_e32 v3, 0x47
	s_and_saveexec_b64 s[14:15], s[6:7]
	s_cbranch_execz .LBB9_199
; %bb.198:                              ;   in Loop: Header=BB9_15 Depth=1
	v_add_u32_e32 v3, v113, v129
	v_add_u32_e32 v3, 0x80, v3
	ds_read2st64_b32 v[4:5], v3 offset1:11
	v_add_u32_e32 v3, 0, v129
	ds_read2_b32 v[6:7], v3 offset0:40 offset1:41
	ds_read_b32 v8, v3 offset:2976
	v_mad_u64_u32 v[2:3], s[6:7], v2, s21, v[60:61]
	s_waitcnt lgkmcnt(2)
	v_cvt_f32_f16_e32 v10, v4
	v_cvt_f32_f16_sdwa v11, v4 dst_sel:DWORD dst_unused:UNUSED_PAD src0_sel:WORD_1
	v_cvt_f32_f16_e32 v4, v5
	v_cvt_f32_f16_sdwa v5, v5 dst_sel:DWORD dst_unused:UNUSED_PAD src0_sel:WORD_1
	v_mul_lo_u32 v9, v2, 40
	s_waitcnt lgkmcnt(1)
	v_pk_fma_f32 v[2:3], v[6:7], v[10:11], 0 op_sel_hi:[0,1,0]
	s_waitcnt lgkmcnt(0)
	v_pk_fma_f32 v[2:3], v[8:9], v[4:5], v[2:3] op_sel_hi:[0,1,1]
	v_div_scale_f32 v6, s[6:7], v7, v7, v3
	v_rcp_f32_e32 v8, v6
	v_ashrrev_i32_e32 v5, 31, v9
	v_or_b32_e32 v4, v9, v28
	v_lshl_add_u64 v[4:5], v[4:5], 3, s[80:81]
	v_fma_f32 v9, -v6, v8, 1.0
	v_fmac_f32_e32 v8, v9, v8
	v_div_scale_f32 v9, vcc, v3, v7, v3
	v_mul_f32_e32 v10, v9, v8
	v_fma_f32 v11, -v6, v10, v9
	v_fmac_f32_e32 v10, v11, v8
	v_fma_f32 v6, -v6, v10, v9
	v_div_scale_f32 v9, s[6:7], v7, v7, v2
	v_rcp_f32_e32 v11, v9
	v_div_fmas_f32 v6, v6, v8, v10
	v_div_fixup_f32 v3, v6, v7, v3
	v_fma_f32 v6, -v9, v11, 1.0
	v_fmac_f32_e32 v11, v6, v11
	v_div_scale_f32 v6, vcc, v2, v7, v2
	v_mul_f32_e32 v8, v6, v11
	v_fma_f32 v10, -v9, v8, v6
	v_fmac_f32_e32 v8, v10, v11
	v_fma_f32 v6, -v9, v8, v6
	v_div_fmas_f32 v6, v6, v11, v8
	v_div_fixup_f32 v2, v6, v7, v2
	global_store_dwordx2 v[4:5], v[2:3], off offset:256
	v_mov_b32_e32 v3, 0
.LBB9_199:                              ;   in Loop: Header=BB9_15 Depth=1
	s_or_b64 exec, exec, s[14:15]
	v_cmp_gt_i32_e32 vcc, s2, v3
	s_mov_b64 s[14:15], -1
	s_and_saveexec_b64 s[18:19], vcc
; %bb.200:                              ;   in Loop: Header=BB9_15 Depth=1
	v_cmp_eq_u32_e32 vcc, 0, v3
	s_orn2_b64 s[14:15], vcc, exec
; %bb.201:                              ;   in Loop: Header=BB9_15 Depth=1
	s_or_b64 exec, exec, s[18:19]
	s_and_b64 exec, exec, s[14:15]
	s_cbranch_execz .LBB9_13
; %bb.202:                              ;   in Loop: Header=BB9_15 Depth=1
	v_add_u32_e32 v2, s9, v130
	v_cmp_gt_i32_e32 vcc, s20, v2
	s_and_b64 s[6:7], vcc, s[12:13]
	s_and_b64 exec, exec, s[6:7]
	s_cbranch_execz .LBB9_13
; %bb.203:                              ;   in Loop: Header=BB9_15 Depth=1
	v_add_u32_e32 v3, v113, v131
	v_add_u32_e32 v3, 0x80, v3
	ds_read2st64_b32 v[4:5], v3 offset1:11
	v_add_u32_e32 v3, 0, v131
	ds_read2_b32 v[6:7], v3 offset0:40 offset1:41
	ds_read_b32 v8, v3 offset:2976
	v_mad_u64_u32 v[2:3], s[6:7], v2, s21, v[60:61]
	s_waitcnt lgkmcnt(2)
	v_cvt_f32_f16_e32 v10, v4
	v_cvt_f32_f16_sdwa v11, v4 dst_sel:DWORD dst_unused:UNUSED_PAD src0_sel:WORD_1
	v_cvt_f32_f16_e32 v4, v5
	v_cvt_f32_f16_sdwa v5, v5 dst_sel:DWORD dst_unused:UNUSED_PAD src0_sel:WORD_1
	v_mul_lo_u32 v9, v2, 40
	s_waitcnt lgkmcnt(1)
	v_pk_fma_f32 v[2:3], v[6:7], v[10:11], 0 op_sel_hi:[0,1,0]
	s_waitcnt lgkmcnt(0)
	v_pk_fma_f32 v[2:3], v[8:9], v[4:5], v[2:3] op_sel_hi:[0,1,1]
	v_div_scale_f32 v6, s[6:7], v7, v7, v3
	v_rcp_f32_e32 v8, v6
	v_ashrrev_i32_e32 v5, 31, v9
	v_or_b32_e32 v4, v9, v28
	v_lshl_add_u64 v[4:5], v[4:5], 3, s[80:81]
	v_fma_f32 v9, -v6, v8, 1.0
	v_fmac_f32_e32 v8, v9, v8
	v_div_scale_f32 v9, vcc, v3, v7, v3
	v_mul_f32_e32 v10, v9, v8
	v_fma_f32 v11, -v6, v10, v9
	v_fmac_f32_e32 v10, v11, v8
	v_fma_f32 v6, -v6, v10, v9
	v_div_scale_f32 v9, s[6:7], v7, v7, v2
	v_rcp_f32_e32 v11, v9
	v_div_fmas_f32 v6, v6, v8, v10
	v_div_fixup_f32 v3, v6, v7, v3
	v_fma_f32 v6, -v9, v11, 1.0
	v_fmac_f32_e32 v11, v6, v11
	v_div_scale_f32 v6, vcc, v2, v7, v2
	v_mul_f32_e32 v8, v6, v11
	v_fma_f32 v10, -v9, v8, v6
	v_fmac_f32_e32 v8, v10, v11
	v_fma_f32 v6, -v9, v8, v6
	v_div_fmas_f32 v6, v6, v11, v8
	v_div_fixup_f32 v2, v6, v7, v2
	global_store_dwordx2 v[4:5], v[2:3], off offset:256
	s_branch .LBB9_13
.LBB9_204:
	v_readlane_b32 s28, v166, 16
	v_readlane_b32 s29, v166, 9
	;; [unrolled: 1-line block ×7, first 2 shown]
	s_andn2_b64 vcc, exec, s[12:13]
	s_cbranch_vccnz .LBB9_11
.LBB9_205:
	v_readlane_b32 s7, v166, 3
	s_abs_i32 s0, s7
	v_cvt_f32_u32_e32 v2, s0
	s_sub_i32 s4, 0, s0
	s_abs_i32 s2, s60
	s_xor_b32 s1, s60, s7
	v_rcp_iflag_f32_e32 v2, v2
	s_ashr_i32 s1, s1, 31
	v_readlane_b32 s11, v166, 2
	v_readlane_b32 s10, v166, 1
	v_mul_f32_e32 v2, 0x4f7ffffe, v2
	v_cvt_u32_f32_e32 v2, v2
	v_mov_b32_e32 v8, s68
	v_readfirstlane_b32 s5, v2
	s_mul_i32 s4, s4, s5
	s_mul_hi_u32 s4, s5, s4
	s_add_i32 s5, s5, s4
	s_mul_hi_u32 s4, s2, s5
	s_mul_i32 s5, s4, s0
	s_sub_i32 s2, s2, s5
	s_add_i32 s6, s4, 1
	s_sub_i32 s5, s2, s0
	s_cmp_ge_u32 s2, s0
	s_cselect_b32 s4, s6, s4
	s_cselect_b32 s2, s5, s2
	s_add_i32 s5, s4, 1
	s_cmp_ge_u32 s2, s0
	s_cselect_b32 s0, s5, s4
	s_abs_i32 s2, s11
	v_cvt_f32_u32_e32 v2, s2
	s_xor_b32 s0, s0, s1
	s_sub_i32 s4, 0, s2
	s_sub_i32 s8, s0, s1
	v_rcp_iflag_f32_e32 v2, v2
	s_mul_i32 s0, s8, s7
	s_sub_i32 s0, s60, s0
	s_abs_i32 s5, s0
	v_mul_f32_e32 v2, 0x4f7ffffe, v2
	v_cvt_u32_f32_e32 v2, v2
	s_xor_b32 s1, s0, s11
	s_ashr_i32 s1, s1, 31
	v_readfirstlane_b32 s6, v2
	s_mul_i32 s4, s4, s6
	s_mul_hi_u32 s4, s6, s4
	s_add_i32 s6, s6, s4
	s_mul_hi_u32 s4, s5, s6
	s_mul_i32 s6, s4, s2
	s_sub_i32 s5, s5, s6
	s_add_i32 s7, s4, 1
	s_sub_i32 s6, s5, s2
	s_cmp_ge_u32 s5, s2
	s_cselect_b32 s4, s7, s4
	s_cselect_b32 s5, s6, s5
	s_add_i32 s6, s4, 1
	s_cmp_ge_u32 s5, s2
	s_cselect_b32 s2, s6, s4
	s_abs_i32 s4, s10
	v_cvt_f32_u32_e32 v2, s4
	s_xor_b32 s2, s2, s1
	s_sub_i32 s5, 0, s4
	s_sub_i32 s9, s2, s1
	v_rcp_iflag_f32_e32 v2, v2
	s_mul_i32 s1, s9, s11
	s_sub_i32 s1, s0, s1
	s_abs_i32 s2, s1
	v_mul_f32_e32 v2, 0x4f7ffffe, v2
	v_cvt_u32_f32_e32 v2, v2
	s_xor_b32 s0, s1, s10
	s_ashr_i32 s0, s0, 31
	v_readfirstlane_b32 s6, v2
	s_mul_i32 s5, s5, s6
	s_mul_hi_u32 s5, s6, s5
	s_add_i32 s6, s6, s5
	s_mul_hi_u32 s5, s2, s6
	s_mul_i32 s6, s5, s4
	s_sub_i32 s2, s2, s6
	s_add_i32 s7, s5, 1
	s_sub_i32 s6, s2, s4
	s_cmp_ge_u32 s2, s4
	s_cselect_b32 s5, s7, s5
	s_cselect_b32 s2, s6, s2
	s_add_i32 s6, s5, 1
	s_cmp_ge_u32 s2, s4
	s_cselect_b32 s2, s6, s5
	s_xor_b32 s2, s2, s0
	s_sub_i32 s0, s2, s0
	s_mul_i32 s2, s0, s10
	s_sub_i32 s1, s1, s2
	s_ashr_i32 s2, s1, 31
	v_readlane_b32 s4, v166, 8
	s_abs_i32 s1, s1
	s_xor_b32 s2, s2, s4
	s_mul_hi_u32 s4, s1, s56
	s_mul_i32 s5, s4, s65
	s_sub_i32 s1, s1, s5
	s_add_i32 s5, s4, 1
	s_sub_i32 s6, s1, s65
	s_cmp_ge_u32 s1, s65
	s_cselect_b32 s4, s5, s4
	s_cselect_b32 s1, s6, s1
	s_add_i32 s5, s4, 1
	s_cmp_ge_u32 s1, s65
	s_cselect_b32 s1, s5, s4
	s_abs_i32 s10, s14
	v_cvt_f32_u32_e32 v2, s10
	s_xor_b32 s1, s1, s2
	s_sub_i32 s1, s1, s2
	s_cmp_eq_u64 s[46:47], 0
	v_rcp_iflag_f32_e32 v2, v2
	s_nop 0
	v_mul_f32_e32 v2, 0x4f7ffffe, v2
	v_cvt_u32_f32_e32 v2, v2
	s_nop 0
	v_readfirstlane_b32 s12, v2
	s_cbranch_scc1 .LBB9_207
; %bb.206:
	v_readlane_b32 s2, v166, 0
	s_mul_i32 s2, s8, s2
	s_add_i32 s4, s1, s2
	s_ashr_i32 s5, s4, 31
	s_lshl_b64 s[4:5], s[4:5], 2
	s_add_u32 s4, s46, s4
	s_addc_u32 s5, s47, s5
	v_mov_b32_e32 v2, 0
	global_load_dword v2, v2, s[4:5]
	s_waitcnt vmcnt(0)
	v_ashrrev_i32_e32 v3, 31, v2
	v_lshrrev_b32_e32 v3, 26, v3
	v_add_u32_e32 v2, v2, v3
	v_ashrrev_i32_e32 v2, 6, v2
	v_min_i32_e32 v8, s68, v2
.LBB9_207:
	s_mul_i32 s2, s9, s3
	s_lshl_b32 s11, s0, 3
	s_add_i32 s0, s11, s2
	s_mul_i32 s2, s8, s59
	s_ashr_i32 s4, s2, 31
	s_add_u32 s2, s36, s2
	s_mul_i32 s0, s0, s58
	s_addc_u32 s4, s37, s4
	s_ashr_i32 s5, s0, 31
	s_add_u32 s6, s2, s0
	s_addc_u32 s7, s4, s5
	s_lshl_b32 s2, s1, 2
	v_lshrrev_b32_e32 v3, 3, v63
	v_and_b32_e32 v2, 7, v63
	v_add_u32_e32 v3, s2, v3
	v_or_b32_e32 v4, s11, v2
	v_cmp_le_i32_e64 s[0:1], s20, v3
	v_cmp_le_i32_e64 s[4:5], s3, v4
	s_mov_b32 s13, 0x10001
	v_lshl_add_u32 v30, v26, 2, 0
	v_cmp_gt_i32_e32 vcc, s3, v4
	s_or_b64 s[0:1], s[0:1], s[4:5]
	s_and_saveexec_b64 s[4:5], s[0:1]
	s_xor_b64 s[0:1], exec, s[4:5]
; %bb.208:
	s_movk_i32 s4, 0xb0
	v_mad_u32_u24 v3, v63, s4, v30
	v_mov_b32_e32 v4, 0
	ds_write_b32 v3, v4
                                        ; implicit-def: $vgpr3
; %bb.209:
	s_or_saveexec_b64 s[0:1], s[0:1]
	v_mul_lo_u32 v1, v1, s13
	s_xor_b64 exec, exec, s[0:1]
	s_cbranch_execz .LBB9_211
; %bb.210:
	v_mul_lo_u32 v3, v3, s61
	v_mul_lo_u32 v4, v2, s18
	v_add3_u32 v4, v4, v26, v3
	v_ashrrev_i32_e32 v5, 31, v4
	v_lshl_add_u64 v[4:5], v[4:5], 3, s[6:7]
	global_load_dwordx2 v[4:5], v[4:5], off
	s_movk_i32 s4, 0xb0
	s_waitcnt vmcnt(0)
	v_cvt_pk_f16_f32 v3, v4, v5
	v_pk_mul_f16 v3, v3, v1
	v_mad_u32_u24 v4, v63, s4, v30
	ds_write_b32 v4, v3
.LBB9_211:
	s_or_b64 exec, exec, s[0:1]
	v_add_u32_e32 v3, 8, v63
	v_lshrrev_b32_e32 v4, 3, v3
	v_add_u32_e32 v4, s2, v4
	v_cmp_le_i32_e64 s[0:1], s20, v4
	s_xor_b64 s[4:5], vcc, -1
	s_or_b64 s[0:1], s[0:1], s[4:5]
	s_and_saveexec_b64 s[14:15], s[0:1]
	s_xor_b64 s[0:1], exec, s[14:15]
; %bb.212:
	s_movk_i32 s13, 0xb0
	v_mad_u32_u24 v3, v3, s13, v30
	v_mov_b32_e32 v4, 0
	ds_write_b32 v3, v4
                                        ; implicit-def: $vgpr4
                                        ; implicit-def: $vgpr3
; %bb.213:
	s_andn2_saveexec_b64 s[0:1], s[0:1]
	s_cbranch_execz .LBB9_215
; %bb.214:
	v_mul_lo_u32 v4, v4, s61
	v_mul_lo_u32 v5, v2, s18
	v_add3_u32 v4, v5, v26, v4
	v_ashrrev_i32_e32 v5, 31, v4
	v_lshl_add_u64 v[4:5], v[4:5], 3, s[6:7]
	global_load_dwordx2 v[4:5], v[4:5], off
	s_movk_i32 s13, 0xb0
	v_mad_u32_u24 v3, v3, s13, v30
	s_waitcnt vmcnt(0)
	v_cvt_pk_f16_f32 v4, v4, v5
	v_pk_mul_f16 v4, v4, v1
	ds_write_b32 v3, v4
.LBB9_215:
	s_or_b64 exec, exec, s[0:1]
	v_add_u32_e32 v3, 16, v63
	v_lshrrev_b32_e32 v4, 3, v3
	v_add_u32_e32 v4, s2, v4
	v_cmp_le_i32_e32 vcc, s20, v4
	s_sub_i32 s13, 0, s10
	s_or_b64 s[0:1], vcc, s[4:5]
	s_and_saveexec_b64 s[14:15], s[0:1]
	s_xor_b64 s[0:1], exec, s[14:15]
; %bb.216:
	s_movk_i32 s14, 0xb0
	v_mad_u32_u24 v3, v3, s14, v30
	v_mov_b32_e32 v4, 0
	ds_write_b32 v3, v4
                                        ; implicit-def: $vgpr4
                                        ; implicit-def: $vgpr3
; %bb.217:
	s_or_saveexec_b64 s[0:1], s[0:1]
	s_mul_i32 s13, s13, s12
	s_xor_b64 exec, exec, s[0:1]
	s_cbranch_execz .LBB9_219
; %bb.218:
	v_mul_lo_u32 v4, v4, s61
	v_mul_lo_u32 v5, v2, s18
	v_add3_u32 v4, v5, v26, v4
	v_ashrrev_i32_e32 v5, 31, v4
	v_lshl_add_u64 v[4:5], v[4:5], 3, s[6:7]
	global_load_dwordx2 v[4:5], v[4:5], off
	s_movk_i32 s14, 0xb0
	v_mad_u32_u24 v3, v3, s14, v30
	s_waitcnt vmcnt(0)
	v_cvt_pk_f16_f32 v4, v4, v5
	v_pk_mul_f16 v4, v4, v1
	ds_write_b32 v3, v4
.LBB9_219:
	s_or_b64 exec, exec, s[0:1]
	v_add_u32_e32 v3, 24, v63
	v_lshrrev_b32_e32 v4, 3, v3
	v_add_u32_e32 v4, s2, v4
	v_cmp_le_i32_e32 vcc, s20, v4
	s_mul_hi_u32 s13, s12, s13
	s_or_b64 s[0:1], vcc, s[4:5]
	s_and_saveexec_b64 s[4:5], s[0:1]
	s_xor_b64 s[0:1], exec, s[4:5]
; %bb.220:
	s_movk_i32 s4, 0xb0
	v_mad_u32_u24 v2, v3, s4, v30
	v_mov_b32_e32 v3, 0
	ds_write_b32 v2, v3
                                        ; implicit-def: $vgpr4
                                        ; implicit-def: $vgpr2
                                        ; implicit-def: $vgpr3
; %bb.221:
	s_or_saveexec_b64 s[0:1], s[0:1]
	s_abs_i32 s4, s8
	s_add_i32 s12, s12, s13
	v_and_b32_e32 v32, 0x3ff, v0
	s_xor_b64 exec, exec, s[0:1]
	s_cbranch_execz .LBB9_223
; %bb.222:
	v_mul_lo_u32 v0, v4, s61
	v_mul_lo_u32 v2, v2, s18
	v_add3_u32 v4, v2, v26, v0
	v_ashrrev_i32_e32 v5, 31, v4
	v_lshl_add_u64 v[4:5], v[4:5], 3, s[6:7]
	global_load_dwordx2 v[4:5], v[4:5], off
	s_movk_i32 s5, 0xb0
	v_mad_u32_u24 v2, v3, s5, v30
	s_waitcnt vmcnt(0)
	v_cvt_pk_f16_f32 v0, v4, v5
	v_pk_mul_f16 v0, v0, v1
	ds_write_b32 v2, v0
.LBB9_223:
	s_or_b64 exec, exec, s[0:1]
	v_lshrrev_b32_e32 v33, 3, v32
	v_add_u32_e32 v49, v37, v33
	v_lshrrev_b32_e32 v2, 3, v49
	v_and_b32_e32 v0, 7, v33
	v_add_u32_e32 v2, s2, v2
	v_or_b32_e32 v3, s11, v0
	v_cmp_le_i32_e32 vcc, s20, v2
	v_cmp_le_i32_e64 s[0:1], s3, v3
	s_mul_hi_u32 s5, s4, s12
	s_or_b64 s[0:1], vcc, s[0:1]
	s_and_saveexec_b64 s[12:13], s[0:1]
	s_xor_b64 s[0:1], exec, s[12:13]
	s_cbranch_execz .LBB9_225
; %bb.224:
	v_and_b32_e32 v1, 7, v32
	v_mul_u32_u24_e32 v0, 0xb0, v49
	v_lshlrev_b32_e32 v1, 2, v1
	v_add3_u32 v0, 0, v0, v1
	v_mov_b32_e32 v1, 0
	ds_write_b32 v0, v1 offset:128
                                        ; implicit-def: $vgpr2
                                        ; implicit-def: $vgpr0
                                        ; implicit-def: $vgpr1
.LBB9_225:
	s_or_saveexec_b64 s[0:1], s[0:1]
	s_ashr_i32 s3, s8, 31
	s_xor_b64 exec, exec, s[0:1]
	s_cbranch_execz .LBB9_227
; %bb.226:
	v_mul_lo_u32 v3, v2, s61
	v_and_b32_e32 v2, 7, v32
	v_mad_u64_u32 v[4:5], s[12:13], s18, v0, v[2:3]
	v_add3_u32 v4, v4, v3, 32
	v_ashrrev_i32_e32 v5, 31, v4
	v_lshl_add_u64 v[4:5], v[4:5], 3, s[6:7]
	global_load_dwordx2 v[4:5], v[4:5], off
	v_mul_u32_u24_e32 v0, 0xb0, v49
	v_lshlrev_b32_e32 v2, 2, v2
	v_add3_u32 v0, 0, v0, v2
	s_waitcnt vmcnt(0)
	v_cvt_pk_f16_f32 v3, v4, v5
	v_pk_mul_f16 v1, v3, v1
	ds_write_b32 v0, v1 offset:128
.LBB9_227:
	s_or_b64 exec, exec, s[0:1]
	s_mul_hi_u32 s0, s24, s8
	s_mul_i32 s1, s24, s3
	s_add_i32 s0, s0, s1
	s_mul_i32 s1, s25, s8
	v_readlane_b32 s6, v166, 6
	s_add_i32 s0, s0, s1
	s_mul_i32 s1, s24, s8
	v_readlane_b32 s7, v166, 7
	s_add_u32 s1, s38, s1
	s_mul_i32 s6, s9, s7
	s_addc_u32 s0, s39, s0
	s_ashr_i32 s7, s6, 31
	s_add_u32 s15, s1, s6
	s_mul_i32 s5, s5, s10
	s_addc_u32 s16, s0, s7
	s_sub_i32 s0, s4, s5
	s_sub_i32 s1, s0, s10
	s_cmp_ge_u32 s0, s10
	s_cselect_b32 s0, s1, s0
	s_sub_i32 s1, s0, s10
	s_cmp_ge_u32 s0, s10
	s_cselect_b32 s0, s1, s0
	s_xor_b32 s0, s0, s3
	s_sub_i32 s0, s0, s3
	s_ashr_i32 s1, s0, 31
	s_mul_i32 s1, s54, s1
	s_mul_hi_u32 s4, s54, s0
	s_add_i32 s1, s4, s1
	s_mul_i32 s4, s55, s0
	s_add_i32 s1, s1, s4
	s_mul_i32 s0, s54, s0
	s_add_u32 s6, s42, s0
	s_addc_u32 s7, s43, s1
	s_mul_hi_u32 s0, s52, s8
	s_mul_i32 s1, s52, s3
	s_add_i32 s0, s0, s1
	s_mul_i32 s1, s53, s8
	s_add_i32 s0, s0, s1
	s_mul_i32 s1, s52, s8
	v_and_b32_e32 v9, 0x1ff0, v37
	s_movk_i32 s8, 0xb0
	v_and_b32_e32 v36, 15, v32
	v_and_b32_e32 v1, 0x7e, v33
	v_mad_u32_u24 v0, v9, s8, 0
	v_mul_u32_u24_e32 v53, 0xb0, v36
	v_lshlrev_b32_e32 v34, 2, v1
	v_add3_u32 v10, v0, v53, v34
	s_waitcnt lgkmcnt(0)
	s_barrier
	ds_read2_b64 v[4:7], v10 offset1:4
	ds_read2_b64 v[0:3], v10 offset0:8 offset1:12
	ds_read_b64 v[10:11], v10 offset:128
	s_add_u32 s1, s40, s1
	s_mul_i32 s9, s9, s27
	s_addc_u32 s0, s41, s0
	s_ashr_i32 s4, s9, 31
	v_add_u32_e32 v59, -1, v8
	s_add_u32 s3, s1, s9
	v_cmp_ge_i32_e32 vcc, s90, v59
	v_mul_lo_u32 v14, s30, v49
	v_mul_lo_u32 v8, s22, v49
	s_addc_u32 s14, s0, s4
	s_and_b64 vcc, exec, vcc
	v_cmp_gt_u32_e64 s[0:1], 4, v63
	v_lshlrev_b32_e32 v56, 2, v32
	v_lshrrev_b32_e32 v57, 1, v32
	v_ashrrev_i32_e32 v15, 31, v14
	v_add_u32_e32 v48, 32, v49
	v_lshl_add_u32 v12, s30, 5, v14
	v_lshrrev_b32_e32 v52, 2, v32
	v_and_or_b32 v51, v32, 8, v9
	v_lshlrev_b32_e32 v46, 1, v33
	v_and_b32_e32 v45, 8, v37
	v_ashrrev_i32_e32 v9, 31, v8
	v_lshlrev_b32_e32 v44, 1, v36
	s_waitcnt lgkmcnt(0)
	s_barrier
	s_cbranch_vccnz .LBB9_236
; %bb.228:
	v_add_u32_e32 v13, s2, v63
	v_readlane_b32 s4, v166, 4
	v_readlane_b32 s5, v166, 5
	v_mul_u32_u24_e32 v17, 0x90, v63
	v_mul_hi_u32 v16, s4, v13
	v_add_u32_e32 v16, v13, v16
	v_lshrrev_b32_e32 v16, s5, v16
	v_mul_lo_u32 v16, v16, s20
	v_sub_u32_e32 v13, v13, v16
	v_and_b32_e32 v16, 0x7c, v56
	v_mad_i64_i32 v[18:19], s[4:5], v13, s34, 0
	v_add3_u32 v60, 0, v17, v16
	v_lshl_add_u64 v[18:19], v[18:19], 1, s[6:7]
	v_mov_b32_e32 v17, 0
	v_lshl_add_u64 v[18:19], v[18:19], 0, v[16:17]
	v_and_b32_e32 v16, 28, v56
	v_mul_u32_u24_e32 v13, 0xb0, v49
	v_lshlrev_b32_e32 v20, 2, v16
	v_lshl_add_u32 v21, v27, 5, v57
	v_add3_u32 v62, 0, v13, v20
	v_and_b32_e32 v20, 4, v56
	v_mad_u32_u24 v25, v21, s8, 0
	v_lshlrev_b32_e32 v28, 2, v20
	s_movk_i32 s8, 0x80
	v_and_b32_e32 v24, 16, v35
	v_add3_u32 v65, v25, v28, s8
	v_and_b32_e32 v25, 0xfc, v52
	s_movk_i32 s9, 0x90
	v_mul_u32_u24_e32 v39, 0xb0, v24
	v_add_u32_e32 v28, v25, v24
	v_lshrrev_b32_e32 v29, 3, v51
	v_add_u16_e32 v24, v25, v24
	v_mad_u32_u24 v29, v29, s9, 0
	v_lshrrev_b16_e32 v24, 1, v24
	v_lshl_add_u32 v40, v24, 2, v29
	v_lshl_add_u32 v24, v28, 1, v29
	v_add_u32_e32 v66, 64, v24
	v_add_u32_e32 v67, 0x44, v24
	v_mbcnt_hi_u32_b32 v24, -1, v61
	v_and_b32_e32 v25, 64, v24
	v_add_u32_e32 v25, 64, v25
	v_xor_b32_e32 v28, 32, v24
	v_cmp_lt_i32_e32 vcc, v28, v25
	v_cmp_gt_u32_e64 s[4:5], 64, v21
	v_mul_lo_u32 v22, s30, v21
	v_cndmask_b32_e32 v28, v24, v28, vcc
	v_lshlrev_b32_e32 v68, 2, v28
	v_xor_b32_e32 v28, 16, v24
	v_cmp_lt_i32_e32 vcc, v28, v25
	s_movk_i32 s8, 0x160
	v_add3_u32 v38, 0, v53, v34
	v_cndmask_b32_e32 v24, v24, v28, vcc
	v_or_b32_e32 v28, 2, v46
	v_lshlrev_b32_e32 v69, 2, v24
	v_mul_lo_u32 v24, s22, v21
	v_or_b32_e32 v21, 3, v46
	v_mul_u32_u24_e32 v41, 0xb0, v28
	v_and_b32_e32 v28, 0xfc, v46
	v_mul_u32_u24_e32 v21, 0xb0, v21
	v_mul_u32_u24_e32 v42, 0xb0, v28
	v_mul_lo_u32 v28, s22, v48
	v_mad_u32_u24 v43, v45, s8, 0
	v_add_u32_e32 v64, 0x1600, v62
	v_ashrrev_i32_e32 v13, 31, v12
	v_ashrrev_i32_e32 v23, 31, v22
	v_ashrrev_i32_e32 v25, 31, v24
	v_ashrrev_i32_e32 v29, 31, v28
	v_add3_u32 v70, v43, v42, v44
	v_add3_u32 v71, v43, v41, v44
	;; [unrolled: 1-line block ×3, first 2 shown]
	s_lshl_b32 s8, s90, 6
	v_mov_b32_e32 v77, 0xfeffffff
	v_lshlrev_b32_e32 v16, 2, v16
	v_add_u32_e32 v73, v38, v39
	v_add_u32_e32 v74, 0x2c00, v40
	s_mov_b32 s17, 0x3fb8aa3b
	s_mov_b32 s18, 0xc2ce8ed0
	;; [unrolled: 1-line block ×5, first 2 shown]
	v_mov_b32_e32 v75, 0x7f800000
	v_mov_b32_e32 v76, v17
	;; [unrolled: 1-line block ×12, first 2 shown]
	s_ashr_i32 s9, s8, 31
	s_and_saveexec_b64 s[10:11], s[0:1]
	s_cbranch_execz .LBB9_230
.LBB9_229:
	v_lshl_add_u64 v[78:79], s[8:9], 1, v[18:19]
	global_load_dword v50, v[78:79], off
	s_waitcnt vmcnt(0)
	ds_write_b32 v60, v50 offset:11264
.LBB9_230:                              ; =>This Inner Loop Header: Depth=1
	s_or_b64 exec, exec, s[10:11]
	s_mul_hi_i32 s11, s8, s30
	s_mul_i32 s10, s8, s30
	s_lshl_b64 s[10:11], s[10:11], 2
	s_add_u32 s10, s15, s10
	s_addc_u32 s11, s16, s11
	s_and_saveexec_b64 s[12:13], s[4:5]
	s_cbranch_execz .LBB9_232
; %bb.231:                              ;   in Loop: Header=BB9_230 Depth=1
	v_lshl_add_u64 v[78:79], v[22:23], 2, s[10:11]
	v_lshlrev_b32_e32 v80, 2, v20
	v_mov_b32_e32 v81, v17
	v_lshl_add_u64 v[78:79], v[78:79], 0, v[80:81]
	global_load_dwordx4 v[78:81], v[78:79], off offset:128
	s_waitcnt vmcnt(0)
	ds_write_b128 v65, v[78:81]
.LBB9_232:                              ;   in Loop: Header=BB9_230 Depth=1
	s_or_b64 exec, exec, s[12:13]
	v_lshl_add_u64 v[78:79], v[14:15], 2, s[10:11]
	v_lshl_add_u64 v[86:87], v[78:79], 0, v[16:17]
	;; [unrolled: 1-line block ×4, first 2 shown]
	global_load_dwordx4 v[78:81], v[86:87], off
	global_load_dwordx4 v[82:85], v[88:89], off
	v_add_u32_e32 v50, 0x1000, v73
	s_mul_hi_i32 s11, s8, s22
	s_mul_i32 s10, s8, s22
	s_lshl_b64 s[10:11], s[10:11], 2
	s_add_u32 s10, s3, s10
	s_addc_u32 s11, s14, s11
	s_waitcnt vmcnt(1)
	ds_write_b128 v62, v[78:81]
	s_waitcnt vmcnt(0)
	ds_write_b128 v64, v[82:85]
	s_waitcnt lgkmcnt(0)
	s_barrier
	ds_read2_b64 v[78:81], v73 offset1:4
	ds_read2_b64 v[86:89], v50 offset0:192 offset1:196
	s_waitcnt lgkmcnt(1)
	v_mfma_f32_16x16x16_f16 v[82:85], v[78:79], v[4:5], 0
	s_waitcnt lgkmcnt(0)
	v_mfma_f32_16x16x16_f16 v[90:93], v[86:87], v[4:5], 0
	v_mfma_f32_16x16x16_f16 v[78:81], v[80:81], v[6:7], v[82:85]
	s_nop 4
	ds_read2_b64 v[82:85], v73 offset0:8 offset1:12
	v_mfma_f32_16x16x16_f16 v[86:89], v[88:89], v[6:7], v[90:93]
	s_nop 2
	ds_read2_b64 v[90:93], v50 offset0:200 offset1:204
	s_waitcnt lgkmcnt(1)
	v_mfma_f32_16x16x16_f16 v[78:81], v[82:83], v[0:1], v[78:81]
	ds_read_b64 v[94:95], v73 offset:128
	ds_read_b64 v[96:97], v73 offset:5760
	s_waitcnt lgkmcnt(0)
	s_barrier
	v_mfma_f32_16x16x16_f16 v[86:89], v[90:91], v[0:1], v[86:89]
	ds_read2_b32 v[90:91], v74 offset1:1
	ds_read_b32 v50, v66 offset:11264
	ds_read_b32 v58, v67 offset:11264
	v_mfma_f32_16x16x16_f16 v[78:81], v[84:85], v[2:3], v[78:81]
	s_waitcnt lgkmcnt(2)
	v_cvt_f32_f16_e32 v98, v90
	v_mfma_f32_16x16x16_f16 v[82:85], v[92:93], v[2:3], v[86:89]
	v_cvt_f32_f16_sdwa v90, v90 dst_sel:DWORD dst_unused:UNUSED_PAD src0_sel:WORD_1
	v_cvt_f32_f16_e32 v92, v91
	v_cvt_f32_f16_sdwa v91, v91 dst_sel:DWORD dst_unused:UNUSED_PAD src0_sel:WORD_1
	v_mfma_f32_16x16x16_f16 v[78:81], v[94:95], v[10:11], v[78:81]
	s_waitcnt lgkmcnt(1)
	v_cvt_f32_f16_e32 v93, v50
	v_cvt_f32_f16_sdwa v50, v50 dst_sel:DWORD dst_unused:UNUSED_PAD src0_sel:WORD_1
	s_waitcnt lgkmcnt(0)
	v_cvt_f32_f16_e32 v94, v58
	v_mfma_f32_16x16x16_f16 v[86:89], v[96:97], v[10:11], v[82:85]
	v_cvt_f32_f16_sdwa v95, v58 dst_sel:DWORD dst_unused:UNUSED_PAD src0_sel:WORD_1
	s_nop 0
	v_add_f32_e32 v58, v79, v90
	v_add_f32_e32 v84, v78, v98
	;; [unrolled: 1-line block ×4, first 2 shown]
	s_nop 1
	v_add_f32_e32 v80, v87, v50
	v_add_f32_e32 v50, 0x40051340, v84
	;; [unrolled: 1-line block ×6, first 2 shown]
	v_max3_f32 v50, v77, v50, v85
	v_add_f32_e32 v79, v88, v94
	v_add_f32_e32 v78, v89, v95
	;; [unrolled: 1-line block ×4, first 2 shown]
	v_max3_f32 v50, v50, v86, v87
	v_add_f32_e32 v90, 0x40051340, v79
	v_add_f32_e32 v91, 0x40051340, v78
	v_max3_f32 v50, v50, v88, v89
	v_max3_f32 v50, v50, v90, v91
	ds_bpermute_b32 v85, v68, v50
	s_waitcnt lgkmcnt(0)
	v_max_f32_e32 v85, v85, v85
	v_max_f32_e32 v50, v50, v85
	ds_bpermute_b32 v85, v69, v50
	s_and_saveexec_b64 s[12:13], s[4:5]
	s_cbranch_execz .LBB9_234
; %bb.233:                              ;   in Loop: Header=BB9_230 Depth=1
	v_lshl_add_u64 v[86:87], v[24:25], 2, s[10:11]
	v_lshlrev_b32_e32 v88, 2, v20
	v_mov_b32_e32 v89, v17
	v_lshl_add_u64 v[86:87], v[86:87], 0, v[88:89]
	global_load_dwordx4 v[86:89], v[86:87], off offset:128
	s_waitcnt vmcnt(0)
	ds_write_b128 v65, v[86:89]
.LBB9_234:                              ;   in Loop: Header=BB9_230 Depth=1
	s_or_b64 exec, exec, s[12:13]
	s_waitcnt lgkmcnt(0)
	v_max_f32_e32 v85, v85, v85
	v_max_f32_e32 v50, v50, v50
	;; [unrolled: 1-line block ×3, first 2 shown]
	v_sub_f32_e32 v84, v84, v50
	v_mul_f32_e32 v85, 0x3fb8aa3b, v84
	v_fma_f32 v86, v84, s17, -v85
	v_rndne_f32_e32 v87, v85
	v_fmac_f32_e32 v86, 0x32a5705f, v84
	v_sub_f32_e32 v85, v85, v87
	v_add_f32_e32 v85, v85, v86
	v_exp_f32_e32 v85, v85
	v_cvt_i32_f32_e32 v86, v87
	v_cmp_ngt_f32_e32 vcc, s18, v84
	v_sub_f32_e32 v83, v83, v50
	v_sub_f32_e32 v94, v82, v50
	v_ldexp_f32 v85, v85, v86
	v_sub_f32_e32 v86, v58, v50
	v_mul_f32_e32 v58, 0x3fb8aa3b, v86
	v_fma_f32 v87, v86, s17, -v58
	v_rndne_f32_e32 v88, v58
	v_fmac_f32_e32 v87, 0x32a5705f, v86
	v_sub_f32_e32 v58, v58, v88
	v_add_f32_e32 v58, v58, v87
	v_exp_f32_e32 v87, v58
	v_cvt_i32_f32_e32 v88, v88
	v_cndmask_b32_e32 v58, 0, v85, vcc
	v_mul_f32_e32 v85, 0x3fb8aa3b, v83
	v_cmp_nlt_f32_e32 vcc, s19, v84
	v_ldexp_f32 v84, v87, v88
	v_fma_f32 v87, v83, s17, -v85
	v_rndne_f32_e32 v88, v85
	v_fmac_f32_e32 v87, 0x32a5705f, v83
	v_sub_f32_e32 v85, v85, v88
	v_add_f32_e32 v85, v85, v87
	v_exp_f32_e32 v85, v85
	v_cvt_i32_f32_e32 v87, v88
	v_cndmask_b32_e32 v58, v75, v58, vcc
	v_cmp_ngt_f32_e32 vcc, s18, v86
	v_mul_f32_e32 v82, 0x3fb8aa3b, v94
	v_sub_f32_e32 v81, v81, v50
	v_cndmask_b32_e32 v84, 0, v84, vcc
	v_cmp_nlt_f32_e32 vcc, s19, v86
	v_rndne_f32_e32 v86, v82
	v_mul_f32_e32 v96, 0x3fb8aa3b, v81
	v_cndmask_b32_e32 v98, v75, v84, vcc
	v_ldexp_f32 v84, v85, v87
	v_fma_f32 v85, v94, s17, -v82
	v_fmac_f32_e32 v85, 0x32a5705f, v94
	v_sub_f32_e32 v82, v82, v86
	v_add_f32_e32 v82, v82, v85
	v_exp_f32_e32 v82, v82
	v_cvt_i32_f32_e32 v85, v86
	v_cmp_ngt_f32_e32 vcc, s18, v83
	v_sub_f32_e32 v80, v80, v50
	v_sub_f32_e32 v79, v79, v50
	v_cndmask_b32_e32 v84, 0, v84, vcc
	v_cmp_nlt_f32_e32 vcc, s19, v83
	v_ldexp_f32 v95, v82, v85
	v_lshl_add_u64 v[82:83], v[8:9], 2, s[10:11]
	v_lshl_add_u64 v[90:91], v[82:83], 0, v[16:17]
	v_lshl_add_u64 v[82:83], v[28:29], 2, s[10:11]
	v_cndmask_b32_e32 v99, v75, v84, vcc
	v_lshl_add_u64 v[92:93], v[82:83], 0, v[16:17]
	global_load_dwordx4 v[82:85], v[90:91], off
	global_load_dwordx4 v[86:89], v[92:93], off
	v_fma_f32 v90, v81, s17, -v96
	v_rndne_f32_e32 v91, v96
	v_fmac_f32_e32 v90, 0x32a5705f, v81
	v_sub_f32_e32 v92, v96, v91
	v_add_f32_e32 v90, v92, v90
	v_exp_f32_e32 v90, v90
	v_cvt_i32_f32_e32 v91, v91
	v_cmp_ngt_f32_e32 vcc, s18, v94
	v_sub_f32_e32 v78, v78, v50
	v_sub_f32_e32 v77, v77, v50
	v_cndmask_b32_e32 v92, 0, v95, vcc
	v_cmp_nlt_f32_e32 vcc, s19, v94
	v_ldexp_f32 v90, v90, v91
	v_mul_f32_e32 v91, 0x3fb8aa3b, v80
	v_cndmask_b32_e32 v100, v75, v92, vcc
	v_fma_f32 v92, v80, s17, -v91
	v_rndne_f32_e32 v93, v91
	v_fmac_f32_e32 v92, 0x32a5705f, v80
	v_sub_f32_e32 v91, v91, v93
	v_add_f32_e32 v91, v91, v92
	v_exp_f32_e32 v91, v91
	v_cvt_i32_f32_e32 v92, v93
	v_cmp_ngt_f32_e32 vcc, s18, v81
	v_cvt_pk_f16_f32 v95, v99, v100
	v_cvt_pk_f16_f32 v94, v58, v98
	v_cndmask_b32_e32 v90, 0, v90, vcc
	v_cmp_nlt_f32_e32 vcc, s19, v81
	v_ldexp_f32 v81, v91, v92
	s_add_i32 s90, s90, 1
	v_cndmask_b32_e32 v101, v75, v90, vcc
	v_mul_f32_e32 v90, 0x3fb8aa3b, v79
	v_fma_f32 v91, v79, s17, -v90
	v_rndne_f32_e32 v92, v90
	v_fmac_f32_e32 v91, 0x32a5705f, v79
	v_sub_f32_e32 v90, v90, v92
	v_add_f32_e32 v90, v90, v91
	v_exp_f32_e32 v90, v90
	v_cvt_i32_f32_e32 v91, v92
	v_cmp_ngt_f32_e32 vcc, s18, v80
	s_add_i32 s8, s8, 64
	s_waitcnt vmcnt(1)
	ds_write_b128 v62, v[82:85]
	s_waitcnt vmcnt(0)
	ds_write_b128 v64, v[86:89]
	v_cndmask_b32_e32 v81, 0, v81, vcc
	v_cmp_nlt_f32_e32 vcc, s19, v80
	v_ldexp_f32 v80, v90, v91
	s_waitcnt lgkmcnt(0)
	v_cndmask_b32_e32 v102, v75, v81, vcc
	v_mul_f32_e32 v81, 0x3fb8aa3b, v78
	v_fma_f32 v90, v78, s17, -v81
	v_rndne_f32_e32 v91, v81
	v_fmac_f32_e32 v90, 0x32a5705f, v78
	v_sub_f32_e32 v81, v81, v91
	v_add_f32_e32 v81, v81, v90
	v_cvt_i32_f32_e32 v90, v91
	v_mul_f32_e32 v91, 0x3fb8aa3b, v77
	v_fma_f32 v92, v77, s17, -v91
	v_rndne_f32_e32 v93, v91
	v_fmac_f32_e32 v92, 0x32a5705f, v77
	v_sub_f32_e32 v91, v91, v93
	v_add_f32_e32 v91, v91, v92
	v_exp_f32_e32 v91, v91
	v_cvt_i32_f32_e32 v92, v93
	v_cmp_ngt_f32_e32 vcc, s18, v79
	v_exp_f32_e32 v81, v81
	s_barrier
	v_cndmask_b32_e32 v80, 0, v80, vcc
	v_cmp_nlt_f32_e32 vcc, s19, v79
	v_ldexp_f32 v79, v81, v90
	s_nop 0
	v_cndmask_b32_e32 v103, v75, v80, vcc
	v_ldexp_f32 v80, v91, v92
	v_cmp_ngt_f32_e32 vcc, s18, v77
	v_cvt_pk_f16_f32 v96, v101, v102
	s_nop 0
	v_cndmask_b32_e32 v80, 0, v80, vcc
	v_cmp_nlt_f32_e32 vcc, s19, v77
	s_nop 1
	v_cndmask_b32_e32 v80, v75, v80, vcc
	v_cmp_le_f32_e32 vcc, s21, v77
	s_nop 1
	v_cndmask_b32_e32 v77, 0, v80, vcc
	v_cvt_f16_f32_e32 v80, v77
	v_cmp_ngt_f32_e32 vcc, s18, v78
	v_mul_u32_u24_e32 v90, 0x10001, v80
	s_nop 0
	v_cndmask_b32_e32 v79, 0, v79, vcc
	v_cmp_nlt_f32_e32 vcc, s19, v78
	v_pk_mul_f16 v55, v55, v90
	v_pk_mul_f16 v81, v54, v90
	v_cndmask_b32_e32 v104, v75, v79, vcc
	v_cvt_f32_f16_e32 v78, v55
	v_cvt_f32_f16_sdwa v79, v55 dst_sel:DWORD dst_unused:UNUSED_PAD src0_sel:WORD_1
	ds_read_u16 v54, v72
	ds_read_u16 v55, v71
	ds_read_u16 v85, v71 offset:32
	ds_read_u16 v89, v71 offset:64
	;; [unrolled: 1-line block ×6, first 2 shown]
	s_waitcnt lgkmcnt(6)
	v_perm_b32 v55, v54, v55, s23
	ds_read_u16 v54, v70 offset:176
	ds_read_u16 v82, v70
	ds_read_u16 v87, v70 offset:32
	ds_read_u16 v88, v70 offset:208
	ds_read_u16 v92, v70 offset:64
	ds_read_u16 v93, v70 offset:240
	ds_read_u16 v107, v70 offset:96
	ds_read_u16 v108, v70 offset:128
	s_waitcnt lgkmcnt(6)
	v_perm_b32 v54, v54, v82, s23
	v_cvt_f32_f16_e32 v80, v81
	v_cvt_f32_f16_sdwa v81, v81 dst_sel:DWORD dst_unused:UNUSED_PAD src0_sel:WORD_1
	v_cvt_pk_f16_f32 v97, v103, v104
	v_pk_mul_f16 v47, v47, v90
	v_mfma_f32_16x16x16_f16 v[78:81], v[54:55], v[94:95], v[78:81]
	v_pk_mul_f16 v43, v43, v90
	v_cvt_f32_f16_sdwa v83, v47 dst_sel:DWORD dst_unused:UNUSED_PAD src0_sel:WORD_1
	v_cvt_f32_f16_e32 v84, v43
	v_pk_mul_f16 v42, v42, v90
	s_nop 3
	v_cvt_f16_f32_e32 v54, v78
	v_cvt_f16_f32_e32 v55, v79
	;; [unrolled: 1-line block ×4, first 2 shown]
	v_cvt_f32_f16_e32 v78, v54
	v_cvt_f32_f16_e32 v79, v55
	ds_read_u16 v54, v71 offset:5632
	ds_read_u16 v109, v71 offset:5664
	;; [unrolled: 1-line block ×11, first 2 shown]
	s_waitcnt lgkmcnt(5)
	v_perm_b32 v55, v55, v54, s23
	ds_read_u16 v54, v70 offset:5632
	ds_read_u16 v82, v70 offset:5808
	;; [unrolled: 1-line block ×7, first 2 shown]
	s_waitcnt lgkmcnt(5)
	v_perm_b32 v54, v82, v54, s23
	v_cvt_f32_f16_e32 v80, v80
	v_cvt_f32_f16_e32 v81, v81
	;; [unrolled: 1-line block ×3, first 2 shown]
	v_pk_mul_f16 v41, v41, v90
	v_mfma_f32_16x16x16_f16 v[78:81], v[54:55], v[96:97], v[78:81]
	v_perm_b32 v55, v86, v85, s23
	v_perm_b32 v54, v88, v87, s23
	v_cvt_f32_f16_sdwa v85, v43 dst_sel:DWORD dst_unused:UNUSED_PAD src0_sel:WORD_1
	ds_read_u16 v43, v70 offset:5840
	ds_read_u16 v47, v70 offset:5872
	;; [unrolled: 1-line block ×3, first 2 shown]
	v_mfma_f32_16x16x16_f16 v[82:85], v[54:55], v[94:95], v[82:85]
	v_cvt_f32_f16_e32 v86, v42
	v_cvt_f32_f16_sdwa v87, v42 dst_sel:DWORD dst_unused:UNUSED_PAD src0_sel:WORD_1
	v_perm_b32 v42, v93, v92, s23
	s_nop 4
	v_cvt_f16_f32_e32 v54, v82
	v_cvt_f16_f32_e32 v55, v83
	v_cvt_f32_f16_e32 v88, v41
	v_cvt_f16_f32_e32 v84, v84
	v_cvt_f32_f16_e32 v82, v54
	v_cvt_f32_f16_e32 v83, v55
	v_perm_b32 v55, v113, v109, s23
	s_waitcnt lgkmcnt(2)
	v_perm_b32 v54, v43, v118, s23
	ds_read_u16 v43, v72 offset:64
	ds_read_u16 v109, v72 offset:96
	v_cvt_f16_f32_e32 v85, v85
	v_cvt_f32_f16_e32 v84, v84
	v_pk_mul_f16 v39, v39, v90
	s_waitcnt lgkmcnt(1)
	v_perm_b32 v43, v43, v89, s23
	v_cvt_f32_f16_sdwa v89, v41 dst_sel:DWORD dst_unused:UNUSED_PAD src0_sel:WORD_1
	v_cvt_f32_f16_e32 v85, v85
	v_pk_mul_f16 v21, v21, v90
	v_mfma_f32_16x16x16_f16 v[86:89], v[42:43], v[94:95], v[86:89]
	v_cmp_lt_i32_e32 vcc, s90, v59
	s_and_b64 vcc, exec, vcc
	v_mfma_f32_16x16x16_f16 v[82:85], v[54:55], v[96:97], v[82:85]
	s_nop 4
	v_cvt_f16_f32_e32 v42, v87
	v_cvt_f16_f32_e32 v43, v88
	;; [unrolled: 1-line block ×4, first 2 shown]
	v_cvt_f32_f16_e32 v87, v42
	v_perm_b32 v42, v47, v119, s23
	ds_read_u16 v47, v70 offset:272
	v_cvt_f32_f16_e32 v88, v43
	v_perm_b32 v43, v114, v110, s23
	v_cvt_f32_f16_e32 v86, v41
	v_cvt_f32_f16_e32 v89, v54
	v_pk_mul_f16 v41, v40, v90
	s_waitcnt lgkmcnt(1)
	v_perm_b32 v55, v109, v91, s23
	s_waitcnt lgkmcnt(0)
	v_perm_b32 v54, v47, v107, s23
	v_mfma_f32_16x16x16_f16 v[86:89], v[42:43], v[96:97], v[86:89]
	v_cvt_f32_f16_e32 v40, v41
	v_cvt_f32_f16_sdwa v41, v41 dst_sel:DWORD dst_unused:UNUSED_PAD src0_sel:WORD_1
	v_cvt_f32_f16_e32 v42, v39
	v_cvt_f32_f16_sdwa v43, v39 dst_sel:DWORD dst_unused:UNUSED_PAD src0_sel:WORD_1
	v_add_f32_e32 v39, v58, v98
	v_add_f32_e32 v47, v99, v39
	v_mfma_f32_16x16x16_f16 v[40:43], v[54:55], v[94:95], v[40:43]
	v_perm_b32 v55, v115, v111, s23
	v_perm_b32 v54, v123, v120, s23
	v_pk_mul_f16 v39, v38, v90
	s_nop 4
	v_cvt_f16_f32_e32 v40, v40
	v_cvt_f16_f32_e32 v41, v41
	;; [unrolled: 1-line block ×4, first 2 shown]
	v_cvt_f32_f16_e32 v40, v40
	v_cvt_f32_f16_e32 v41, v41
	;; [unrolled: 1-line block ×5, first 2 shown]
	v_cvt_f32_f16_sdwa v39, v39 dst_sel:DWORD dst_unused:UNUSED_PAD src0_sel:WORD_1
	v_mfma_f32_16x16x16_f16 v[90:93], v[54:55], v[96:97], v[40:43]
	v_cvt_pk_f16_f32 v55, v78, v79
	v_cvt_pk_f16_f32 v54, v80, v81
	s_nop 0
	v_perm_b32 v43, v117, v112, s23
	v_perm_b32 v42, v122, v108, s23
	v_cvt_f32_f16_e32 v40, v21
	v_cvt_f32_f16_sdwa v41, v21 dst_sel:DWORD dst_unused:UNUSED_PAD src0_sel:WORD_1
	v_add_f32_e32 v21, v100, v47
	v_add_f32_e32 v21, v101, v21
	v_mfma_f32_16x16x16_f16 v[38:41], v[42:43], v[94:95], v[38:41]
	v_perm_b32 v43, v116, v106, s23
	v_perm_b32 v42, v105, v121, s23
	v_add_f32_e32 v21, v102, v21
	v_add_f32_e32 v21, v103, v21
	s_nop 3
	v_cvt_f16_f32_e32 v38, v38
	v_cvt_f16_f32_e32 v39, v39
	;; [unrolled: 1-line block ×4, first 2 shown]
	v_cvt_f32_f16_e32 v38, v38
	v_cvt_f32_f16_e32 v39, v39
	;; [unrolled: 1-line block ×4, first 2 shown]
	v_add_f32_e32 v58, v104, v21
	v_fmac_f32_e32 v58, v76, v77
	v_mfma_f32_16x16x16_f16 v[94:97], v[42:43], v[96:97], v[38:41]
	v_cvt_pk_f16_f32 v47, v82, v83
	v_cvt_pk_f16_f32 v43, v84, v85
	;; [unrolled: 1-line block ×6, first 2 shown]
	s_nop 1
	v_cvt_pk_f16_f32 v38, v94, v95
	v_cvt_pk_f16_f32 v21, v96, v97
	s_barrier
	s_cbranch_vccz .LBB9_237
; %bb.235:                              ;   in Loop: Header=BB9_230 Depth=1
	v_mov_b32_e32 v76, v58
	v_mov_b32_e32 v77, v50
	s_ashr_i32 s9, s8, 31
	s_and_saveexec_b64 s[10:11], s[0:1]
	s_cbranch_execnz .LBB9_229
	s_branch .LBB9_230
.LBB9_236:
	v_mov_b32_e32 v50, 0xfeffffff
	v_mov_b32_e32 v58, 0
	;; [unrolled: 1-line block ×12, first 2 shown]
.LBB9_237:
	s_lshl_b32 s4, s90, 6
	s_ashr_i32 s5, s4, 31
	v_cmp_gt_u32_e32 vcc, 4, v63
	s_and_saveexec_b64 s[0:1], vcc
	s_cbranch_execz .LBB9_239
; %bb.238:
	s_lshl_b64 s[8:9], s[4:5], 1
	s_add_u32 s6, s6, s8
	s_addc_u32 s7, s7, s9
	v_or_b32_e32 v13, s2, v63
	v_readlane_b32 s8, v166, 4
	v_readlane_b32 s9, v166, 5
	v_mov_b32_e32 v17, 0
	v_mul_hi_u32 v16, s8, v13
	v_add_u32_e32 v16, v13, v16
	v_lshrrev_b32_e32 v16, s9, v16
	v_mul_lo_u32 v16, v16, s20
	v_sub_u32_e32 v13, v13, v16
	v_mad_i64_i32 v[18:19], s[8:9], v13, s34, 0
	v_and_b32_e32 v16, 0x7c, v56
	v_lshl_add_u64 v[18:19], v[18:19], 1, s[6:7]
	v_lshl_add_u64 v[18:19], v[18:19], 0, v[16:17]
	global_load_dword v13, v[18:19], off
	v_mul_u32_u24_e32 v17, 0x90, v63
	v_add3_u32 v16, 0, v17, v16
	s_waitcnt vmcnt(0)
	ds_write_b32 v16, v13 offset:11264
.LBB9_239:
	s_or_b64 exec, exec, s[0:1]
	s_mul_hi_i32 s1, s4, s30
	s_mul_i32 s0, s4, s30
	s_lshl_b64 s[0:1], s[0:1], 2
	s_add_u32 s6, s15, s0
	v_lshl_add_u32 v22, v27, 5, v57
	s_addc_u32 s7, s16, s1
	v_cmp_gt_u32_e32 vcc, 64, v22
	v_cmp_lt_u32_e64 s[0:1], 63, v22
                                        ; implicit-def: $vgpr24
                                        ; implicit-def: $vgpr18
	s_and_saveexec_b64 s[8:9], s[0:1]
	s_xor_b64 s[0:1], exec, s[8:9]
; %bb.240:
	v_mul_u32_u24_e32 v24, 0xb0, v22
	v_and_or_b32 v18, v56, 4, 32
	v_mov_b32_e32 v19, 0
; %bb.241:
	s_andn2_saveexec_b64 s[0:1], s[0:1]
	s_cbranch_execz .LBB9_243
; %bb.242:
	v_mul_lo_u32 v16, s30, v22
	v_ashrrev_i32_e32 v17, 31, v16
	v_and_b32_e32 v13, 4, v56
	v_mov_b32_e32 v19, 0
	v_lshl_add_u64 v[16:17], v[16:17], 2, s[6:7]
	v_lshlrev_b32_e32 v28, 2, v13
	v_mov_b32_e32 v29, v19
	v_lshl_add_u64 v[16:17], v[16:17], 0, v[28:29]
	global_load_dwordx4 v[62:65], v[16:17], off offset:128
	v_mul_u32_u24_e32 v24, 0xb0, v22
	v_or_b32_e32 v18, 32, v13
	v_add3_u32 v13, 0, v24, v28
	s_waitcnt vmcnt(0)
	ds_write_b128 v13, v[62:65] offset:128
.LBB9_243:
	s_or_b64 exec, exec, s[0:1]
	v_and_b32_e32 v13, 28, v56
	v_mov_b32_e32 v17, 0
	v_lshlrev_b32_e32 v16, 2, v13
	v_lshl_add_u64 v[14:15], v[14:15], 2, s[6:7]
	v_ashrrev_i32_e32 v13, 31, v12
	v_lshl_add_u64 v[14:15], v[14:15], 0, v[16:17]
	v_lshl_add_u64 v[12:13], v[12:13], 2, s[6:7]
	;; [unrolled: 1-line block ×3, first 2 shown]
	global_load_dwordx4 v[62:65], v[14:15], off
	global_load_dwordx4 v[66:69], v[12:13], off
	v_and_b32_e32 v13, 16, v35
	v_mul_u32_u24_e32 v12, 0xb0, v49
	v_add_u32_e32 v14, 0, v53
	v_mul_u32_u24_e32 v23, 0xb0, v13
	v_add3_u32 v12, 0, v12, v16
	v_add3_u32 v23, v14, v34, v23
	v_add_u32_e32 v28, 0x1000, v23
	v_mbcnt_hi_u32_b32 v25, -1, v61
	v_and_b32_e32 v15, 0xfc, v52
	v_add_u32_e32 v14, v15, v13
	v_add_u16_e32 v13, v15, v13
	v_lshrrev_b32_e32 v20, 3, v51
	s_movk_i32 s0, 0x90
	v_lshrrev_b16_e32 v13, 1, v13
	s_movk_i32 s1, 0x2c00
	v_mad_u32_u24 v20, v20, s0, 0
	v_lshl_add_u32 v14, v14, 1, v20
	v_and_b32_e32 v15, 64, v25
	v_xor_b32_e32 v49, 32, v25
	v_add_u32_e32 v59, 64, v15
	v_xor_b32_e32 v51, 16, v25
	s_waitcnt vmcnt(1)
	ds_write_b128 v12, v[62:65]
	s_waitcnt vmcnt(0)
	ds_write_b128 v12, v[66:69] offset:5632
	s_waitcnt lgkmcnt(0)
	s_barrier
	ds_read2_b64 v[62:65], v23 offset1:4
	ds_read2_b64 v[66:69], v28 offset0:192 offset1:196
	s_waitcnt lgkmcnt(1)
	v_mfma_f32_16x16x16_f16 v[60:63], v[62:63], v[4:5], 0
	ds_read2_b64 v[74:77], v23 offset0:8 offset1:12
	s_waitcnt lgkmcnt(1)
	v_mfma_f32_16x16x16_f16 v[70:73], v[66:67], v[4:5], 0
	v_lshlrev_b32_e32 v4, 2, v13
	v_add3_u32 v20, v20, v4, s1
	v_add_u32_e32 v13, 0x2c00, v14
	v_mfma_f32_16x16x16_f16 v[60:63], v[64:65], v[6:7], v[60:63]
	ds_read2_b64 v[64:67], v28 offset0:200 offset1:204
	ds_read_b64 v[14:15], v23 offset:128
	ds_read_b64 v[28:29], v23 offset:5760
	s_waitcnt lgkmcnt(0)
	v_mfma_f32_16x16x16_f16 v[4:7], v[68:69], v[6:7], v[70:73]
	s_barrier
	ds_read2_b32 v[52:53], v20 offset1:1
	v_mfma_f32_16x16x16_f16 v[60:63], v[74:75], v[0:1], v[60:63]
	v_cmp_lt_i32_e64 s[0:1], v49, v59
	ds_read2_b32 v[56:57], v13 offset0:16 offset1:17
	s_waitcnt lgkmcnt(1)
	v_cvt_f32_f16_e32 v13, v52
	v_mfma_f32_16x16x16_f16 v[4:7], v[64:65], v[0:1], v[4:7]
	v_cndmask_b32_e64 v0, v25, v49, s[0:1]
	v_lshlrev_b32_e32 v20, 2, v0
	v_cvt_f32_f16_sdwa v23, v52 dst_sel:DWORD dst_unused:UNUSED_PAD src0_sel:WORD_1
	v_mfma_f32_16x16x16_f16 v[60:63], v[76:77], v[2:3], v[60:63]
	s_waitcnt lgkmcnt(0)
	v_cvt_f32_f16_e32 v49, v56
	v_cvt_f32_f16_sdwa v52, v57 dst_sel:DWORD dst_unused:UNUSED_PAD src0_sel:WORD_1
	v_cmp_lt_i32_e64 s[0:1], v51, v59
	v_mfma_f32_16x16x16_f16 v[0:3], v[66:67], v[2:3], v[4:7]
	v_mfma_f32_16x16x16_f16 v[60:63], v[14:15], v[10:11], v[60:63]
	s_nop 1
	v_cvt_f32_f16_e32 v4, v53
	v_cvt_f32_f16_sdwa v5, v53 dst_sel:DWORD dst_unused:UNUSED_PAD src0_sel:WORD_1
	v_cvt_f32_f16_sdwa v14, v56 dst_sel:DWORD dst_unused:UNUSED_PAD src0_sel:WORD_1
	v_mfma_f32_16x16x16_f16 v[64:67], v[28:29], v[10:11], v[0:3]
	v_cvt_f32_f16_e32 v15, v57
	s_nop 0
	v_add_f32_e32 v10, v60, v13
	v_add_f32_e32 v7, v61, v23
	;; [unrolled: 1-line block ×10, first 2 shown]
	v_max3_f32 v0, v50, v0, v11
	v_add_f32_e32 v2, v66, v15
	v_add_f32_e32 v1, v67, v52
	;; [unrolled: 1-line block ×4, first 2 shown]
	v_max3_f32 v0, v0, v13, v14
	v_add_f32_e32 v28, 0x40051340, v2
	v_add_f32_e32 v29, 0x40051340, v1
	v_max3_f32 v0, v0, v15, v23
	v_max3_f32 v11, v0, v28, v29
	ds_bpermute_b32 v13, v20, v11
	v_cndmask_b32_e64 v14, v25, v51, s[0:1]
	v_lshlrev_b32_e32 v23, 2, v14
	s_mul_hi_i32 s1, s4, s22
	s_mul_i32 s0, s4, s22
	s_waitcnt lgkmcnt(0)
	v_max_f32_e32 v13, v13, v13
	v_max_f32_e32 v11, v11, v13
	ds_bpermute_b32 v13, v23, v11
	s_lshl_b64 s[0:1], s[0:1], 2
	s_add_u32 s0, s3, s0
	v_add_u32_e32 v0, 0x1600, v12
	s_addc_u32 s1, s14, s1
	s_and_saveexec_b64 s[4:5], vcc
	s_cbranch_execz .LBB9_245
; %bb.244:
	v_mul_lo_u32 v14, s22, v22
	v_ashrrev_i32_e32 v15, 31, v14
	v_lshl_add_u64 v[14:15], v[14:15], 2, s[0:1]
	v_lshl_add_u64 v[14:15], v[18:19], 2, v[14:15]
	global_load_dwordx4 v[60:63], v[14:15], off
	v_lshlrev_b32_e32 v14, 2, v18
	v_add3_u32 v14, 0, v24, v14
	s_waitcnt vmcnt(0)
	ds_write_b128 v14, v[60:63]
.LBB9_245:
	s_or_b64 exec, exec, s[4:5]
	s_waitcnt lgkmcnt(0)
	v_max_f32_e32 v13, v13, v13
	v_max_f32_e32 v11, v11, v11
	;; [unrolled: 1-line block ×3, first 2 shown]
	v_sub_f32_e32 v10, v10, v22
	s_mov_b32 s4, 0x3fb8aa3b
	v_mul_f32_e32 v11, 0x3fb8aa3b, v10
	v_fma_f32 v13, v10, s4, -v11
	v_rndne_f32_e32 v14, v11
	v_fmac_f32_e32 v13, 0x32a5705f, v10
	v_sub_f32_e32 v11, v11, v14
	v_add_f32_e32 v11, v11, v13
	v_exp_f32_e32 v11, v11
	v_cvt_i32_f32_e32 v13, v14
	v_sub_f32_e32 v7, v7, v22
	s_mov_b32 s2, 0xc2ce8ed0
	v_cmp_ngt_f32_e32 vcc, s2, v10
	v_ldexp_f32 v11, v11, v13
	v_mul_f32_e32 v13, 0x3fb8aa3b, v7
	v_fma_f32 v14, v7, s4, -v13
	v_rndne_f32_e32 v15, v13
	v_fmac_f32_e32 v14, 0x32a5705f, v7
	v_sub_f32_e32 v13, v13, v15
	v_add_f32_e32 v13, v13, v14
	v_exp_f32_e32 v13, v13
	v_cvt_i32_f32_e32 v14, v15
	s_mov_b32 s3, 0x42b17218
	v_cndmask_b32_e32 v11, 0, v11, vcc
	v_mov_b32_e32 v24, 0x7f800000
	v_cmp_nlt_f32_e32 vcc, s3, v10
	v_sub_f32_e32 v6, v6, v22
	v_sub_f32_e32 v28, v4, v22
	v_cndmask_b32_e32 v10, v24, v11, vcc
	v_ldexp_f32 v11, v13, v14
	v_mul_f32_e32 v13, 0x3fb8aa3b, v6
	v_fma_f32 v14, v6, s4, -v13
	v_rndne_f32_e32 v15, v13
	v_fmac_f32_e32 v14, 0x32a5705f, v6
	v_sub_f32_e32 v13, v13, v15
	v_add_f32_e32 v13, v13, v14
	v_exp_f32_e32 v13, v13
	v_cvt_i32_f32_e32 v14, v15
	v_cmp_ngt_f32_e32 vcc, s2, v7
	v_mul_f32_e32 v4, 0x3fb8aa3b, v28
	v_sub_f32_e32 v3, v3, v22
	v_cndmask_b32_e32 v11, 0, v11, vcc
	v_cmp_nlt_f32_e32 vcc, s3, v7
	v_ldexp_f32 v7, v13, v14
	v_sub_f32_e32 v13, v5, v22
	v_mul_f32_e32 v5, 0x3fb8aa3b, v13
	v_fma_f32 v14, v13, s4, -v5
	v_rndne_f32_e32 v15, v5
	v_fmac_f32_e32 v14, 0x32a5705f, v13
	v_sub_f32_e32 v5, v5, v15
	v_add_f32_e32 v5, v5, v14
	v_exp_f32_e32 v5, v5
	v_cvt_i32_f32_e32 v14, v15
	v_cndmask_b32_e32 v11, v24, v11, vcc
	v_cmp_ngt_f32_e32 vcc, s2, v6
	v_sub_f32_e32 v2, v2, v22
	v_ldexp_f32 v25, v5, v14
	v_cndmask_b32_e32 v7, 0, v7, vcc
	v_cmp_nlt_f32_e32 vcc, s3, v6
	v_fma_f32 v5, v28, s4, -v4
	v_rndne_f32_e32 v6, v4
	v_fmac_f32_e32 v5, 0x32a5705f, v28
	v_sub_f32_e32 v4, v4, v6
	v_add_f32_e32 v4, v4, v5
	v_exp_f32_e32 v29, v4
	v_mul_lo_u32 v4, s22, v48
	v_cndmask_b32_e32 v49, v24, v7, vcc
	v_cvt_i32_f32_e32 v51, v6
	v_ashrrev_i32_e32 v5, 31, v4
	v_lshl_add_u64 v[6:7], v[8:9], 2, s[0:1]
	v_lshl_add_u64 v[8:9], v[6:7], 0, v[16:17]
	;; [unrolled: 1-line block ×4, first 2 shown]
	global_load_dwordx4 v[4:7], v[8:9], off
	global_load_dwordx4 v[14:17], v[18:19], off
	v_cmp_ngt_f32_e32 vcc, s2, v13
	v_mul_f32_e32 v9, 0x3fb8aa3b, v3
	v_rndne_f32_e32 v19, v9
	v_cndmask_b32_e32 v8, 0, v25, vcc
	v_cmp_nlt_f32_e32 vcc, s3, v13
	v_fma_f32 v13, v3, s4, -v9
	v_fmac_f32_e32 v13, 0x32a5705f, v3
	v_sub_f32_e32 v9, v9, v19
	v_add_f32_e32 v9, v9, v13
	v_exp_f32_e32 v9, v9
	v_cvt_i32_f32_e32 v13, v19
	v_cndmask_b32_e32 v18, v24, v8, vcc
	v_ldexp_f32 v8, v29, v51
	v_cmp_ngt_f32_e32 vcc, s2, v28
	v_sub_f32_e32 v1, v1, v22
	s_mov_b32 s0, 0xc1a00000
	v_cndmask_b32_e32 v8, 0, v8, vcc
	v_cmp_nlt_f32_e32 vcc, s3, v28
	s_waitcnt vmcnt(1)
	ds_write_b128 v12, v[4:7]
	s_waitcnt vmcnt(0)
	ds_write_b128 v0, v[14:17]
	v_cndmask_b32_e32 v19, v24, v8, vcc
	v_ldexp_f32 v8, v9, v13
	v_mul_f32_e32 v9, 0x3fb8aa3b, v2
	v_fma_f32 v13, v2, s4, -v9
	v_rndne_f32_e32 v25, v9
	v_fmac_f32_e32 v13, 0x32a5705f, v2
	v_sub_f32_e32 v9, v9, v25
	v_add_f32_e32 v9, v9, v13
	v_exp_f32_e32 v9, v9
	v_cvt_i32_f32_e32 v13, v25
	v_cmp_ngt_f32_e32 vcc, s2, v3
	s_waitcnt lgkmcnt(0)
	s_barrier
	v_cndmask_b32_e32 v8, 0, v8, vcc
	v_cmp_nlt_f32_e32 vcc, s3, v3
	v_ldexp_f32 v3, v9, v13
	s_nop 0
	v_cndmask_b32_e32 v48, v24, v8, vcc
	v_mul_f32_e32 v8, 0x3fb8aa3b, v1
	v_fma_f32 v9, v1, s4, -v8
	v_rndne_f32_e32 v13, v8
	v_fmac_f32_e32 v9, 0x32a5705f, v1
	v_sub_f32_e32 v8, v8, v13
	v_add_f32_e32 v8, v8, v9
	v_cvt_i32_f32_e32 v9, v13
	v_sub_f32_e32 v13, v50, v22
	v_mul_f32_e32 v25, 0x3fb8aa3b, v13
	v_fma_f32 v28, v13, s4, -v25
	v_rndne_f32_e32 v29, v25
	v_fmac_f32_e32 v28, 0x32a5705f, v13
	v_sub_f32_e32 v25, v25, v29
	v_add_f32_e32 v25, v25, v28
	v_exp_f32_e32 v25, v25
	v_cvt_i32_f32_e32 v28, v29
	v_cmp_ngt_f32_e32 vcc, s2, v2
	v_exp_f32_e32 v8, v8
	s_nop 0
	v_cndmask_b32_e32 v3, 0, v3, vcc
	v_cmp_nlt_f32_e32 vcc, s3, v2
	v_ldexp_f32 v2, v8, v9
	v_or_b32_e32 v8, 2, v46
	v_cndmask_b32_e32 v50, v24, v3, vcc
	v_ldexp_f32 v3, v25, v28
	v_cmp_ngt_f32_e32 vcc, s2, v13
	v_and_b32_e32 v9, 0xfc, v46
	v_mul_u32_u24_e32 v8, 0xb0, v8
	v_cndmask_b32_e32 v3, 0, v3, vcc
	v_cmp_nlt_f32_e32 vcc, s3, v13
	v_mul_u32_u24_e32 v9, 0xb0, v9
	v_cvt_pk_f16_f32 v25, v49, v18
	v_cndmask_b32_e32 v3, v24, v3, vcc
	v_cmp_le_f32_e32 vcc, s0, v13
	s_movk_i32 s0, 0x160
	v_mad_u32_u24 v0, v45, s0, 0
	v_cndmask_b32_e32 v51, 0, v3, vcc
	v_cmp_ngt_f32_e32 vcc, s2, v1
	v_cvt_f16_f32_e32 v3, v51
	v_add3_u32 v16, v0, v9, v44
	v_cndmask_b32_e32 v2, 0, v2, vcc
	v_cmp_nlt_f32_e32 vcc, s3, v1
	v_mul_u32_u24_e32 v53, 0x10001, v3
	v_add3_u32 v6, v0, v8, v44
	v_cndmask_b32_e32 v52, v24, v2, vcc
	v_or_b32_e32 v2, 3, v46
	v_mul_u32_u24_e32 v2, 0xb0, v2
	v_add3_u32 v12, v0, v2, v44
	s_mov_b32 s0, 0x5040100
	ds_read_u16 v4, v12
	ds_read_u16 v5, v6
	ds_read_u16 v7, v6 offset:32
	ds_read_u16 v15, v6 offset:64
	ds_read_u16 v17, v6 offset:96
	ds_read_u16 v44, v16 offset:5936
	ds_read_u16 v8, v12 offset:32
	ds_read_u16 v45, v6 offset:5760
	v_pk_mul_f16 v1, v55, v53
	v_pk_mul_f16 v3, v54, v53
	s_waitcnt lgkmcnt(6)
	v_perm_b32 v5, v4, v5, s0
	ds_read_u16 v4, v16 offset:176
	ds_read_u16 v9, v16
	ds_read_u16 v13, v16 offset:32
	ds_read_u16 v14, v16 offset:208
	;; [unrolled: 1-line block ×6, first 2 shown]
	s_waitcnt lgkmcnt(6)
	v_perm_b32 v4, v4, v9, s0
	v_cvt_f32_f16_e32 v0, v1
	v_cvt_f32_f16_sdwa v1, v1 dst_sel:DWORD dst_unused:UNUSED_PAD src0_sel:WORD_1
	v_cvt_f32_f16_e32 v2, v3
	v_cvt_f32_f16_sdwa v3, v3 dst_sel:DWORD dst_unused:UNUSED_PAD src0_sel:WORD_1
	v_cvt_pk_f16_f32 v24, v10, v11
	v_pk_mul_f16 v9, v47, v53
	v_cvt_pk_f16_f32 v29, v50, v52
	v_mfma_f32_16x16x16_f16 v[0:3], v[4:5], v[24:25], v[0:3]
	ds_read_u16 v4, v6 offset:5632
	ds_read_u16 v47, v6 offset:5664
	ds_read_u16 v57, v6 offset:5696
	ds_read_u16 v59, v6 offset:5728
	ds_read_u16 v60, v6 offset:128
	ds_read_u16 v5, v12 offset:5632
	ds_read_u16 v61, v12 offset:5664
	ds_read_u16 v62, v12 offset:5696
	ds_read_u16 v63, v12 offset:5728
	ds_read_u16 v64, v12 offset:5760
	ds_read_u16 v65, v12 offset:128
	s_waitcnt lgkmcnt(5)
	v_perm_b32 v5, v5, v4, s0
	ds_read_u16 v4, v16 offset:5632
	ds_read_u16 v6, v16 offset:5808
	;; [unrolled: 1-line block ×7, first 2 shown]
	v_cvt_f16_f32_e32 v0, v0
	v_cvt_f16_f32_e32 v1, v1
	;; [unrolled: 1-line block ×4, first 2 shown]
	s_waitcnt lgkmcnt(5)
	v_perm_b32 v4, v6, v4, s0
	v_cvt_f32_f16_e32 v0, v0
	v_cvt_f32_f16_e32 v1, v1
	;; [unrolled: 1-line block ×4, first 2 shown]
	v_cvt_pk_f16_f32 v28, v19, v48
	v_pk_mul_f16 v43, v43, v53
	v_pk_mul_f16 v41, v41, v53
	v_mfma_f32_16x16x16_f16 v[0:3], v[4:5], v[28:29], v[0:3]
	v_cvt_f32_f16_e32 v4, v9
	v_cvt_f32_f16_sdwa v5, v9 dst_sel:DWORD dst_unused:UNUSED_PAD src0_sel:WORD_1
	v_perm_b32 v9, v8, v7, s0
	v_perm_b32 v8, v14, v13, s0
	v_cvt_f32_f16_e32 v6, v43
	v_cvt_f32_f16_sdwa v7, v43 dst_sel:DWORD dst_unused:UNUSED_PAD src0_sel:WORD_1
	ds_read_u16 v13, v16 offset:5840
	ds_read_u16 v43, v16 offset:5872
	;; [unrolled: 1-line block ×3, first 2 shown]
	v_mfma_f32_16x16x16_f16 v[4:7], v[8:9], v[24:25], v[4:7]
	v_perm_b32 v9, v61, v47, s0
	s_waitcnt lgkmcnt(2)
	v_perm_b32 v8, v13, v66, s0
	ds_read_u16 v47, v12 offset:64
	ds_read_u16 v61, v12 offset:96
	s_nop 2
	v_cvt_f16_f32_e32 v4, v4
	v_cvt_f16_f32_e32 v5, v5
	;; [unrolled: 1-line block ×4, first 2 shown]
	v_cvt_f32_f16_e32 v4, v4
	v_cvt_f32_f16_e32 v5, v5
	;; [unrolled: 1-line block ×4, first 2 shown]
	v_pk_mul_f16 v13, v42, v53
	v_cvt_f32_f16_e32 v14, v41
	v_mfma_f32_16x16x16_f16 v[4:7], v[8:9], v[28:29], v[4:7]
	s_waitcnt lgkmcnt(1)
	v_perm_b32 v9, v47, v15, s0
	v_perm_b32 v8, v54, v46, s0
	v_cvt_f32_f16_e32 v12, v13
	v_cvt_f32_f16_sdwa v13, v13 dst_sel:DWORD dst_unused:UNUSED_PAD src0_sel:WORD_1
	v_cvt_f32_f16_sdwa v15, v41 dst_sel:DWORD dst_unused:UNUSED_PAD src0_sel:WORD_1
	ds_read_u16 v16, v16 offset:272
	v_pk_mul_f16 v40, v40, v53
	v_mfma_f32_16x16x16_f16 v[12:15], v[8:9], v[24:25], v[12:15]
	v_pk_mul_f16 v39, v39, v53
	s_waitcnt lgkmcnt(1)
	v_perm_b32 v17, v61, v17, s0
	s_waitcnt lgkmcnt(0)
	v_perm_b32 v16, v16, v55, s0
	v_add_f32_e32 v41, v10, v11
	s_nop 1
	v_cvt_f16_f32_e32 v8, v12
	v_cvt_f16_f32_e32 v9, v13
	;; [unrolled: 1-line block ×4, first 2 shown]
	v_cvt_f32_f16_e32 v12, v8
	v_cvt_f32_f16_e32 v13, v9
	v_perm_b32 v9, v62, v57, s0
	v_perm_b32 v8, v43, v67, s0
	v_cvt_f32_f16_e32 v14, v14
	v_cvt_f32_f16_e32 v15, v15
	s_barrier
	s_nop 0
	v_mfma_f32_16x16x16_f16 v[8:11], v[8:9], v[28:29], v[12:15]
	s_nop 2
	v_cvt_f32_f16_e32 v12, v40
	v_cvt_f32_f16_sdwa v13, v40 dst_sel:DWORD dst_unused:UNUSED_PAD src0_sel:WORD_1
	v_cvt_f32_f16_e32 v14, v39
	v_cvt_f32_f16_sdwa v15, v39 dst_sel:DWORD dst_unused:UNUSED_PAD src0_sel:WORD_1
	v_add_f32_e32 v39, v49, v41
	v_add_f32_e32 v18, v18, v39
	v_mfma_f32_16x16x16_f16 v[12:15], v[16:17], v[24:25], v[12:15]
	v_perm_b32 v17, v63, v59, s0
	v_perm_b32 v16, v71, v68, s0
	v_add_f32_e32 v18, v19, v18
	v_add_f32_e32 v40, v48, v18
	s_nop 3
	v_cvt_f16_f32_e32 v12, v12
	v_cvt_f16_f32_e32 v13, v13
	;; [unrolled: 1-line block ×4, first 2 shown]
	v_cvt_f32_f16_e32 v12, v12
	v_cvt_f32_f16_e32 v13, v13
	;; [unrolled: 1-line block ×4, first 2 shown]
	v_pk_mul_f16 v18, v38, v53
	v_pk_mul_f16 v19, v21, v53
	v_perm_b32 v39, v65, v60, s0
	v_perm_b32 v38, v70, v56, s0
	v_mfma_f32_16x16x16_f16 v[12:15], v[16:17], v[28:29], v[12:15]
	v_cvt_f32_f16_e32 v16, v18
	v_cvt_f32_f16_sdwa v17, v18 dst_sel:DWORD dst_unused:UNUSED_PAD src0_sel:WORD_1
	v_cvt_f32_f16_e32 v18, v19
	v_cvt_f32_f16_sdwa v19, v19 dst_sel:DWORD dst_unused:UNUSED_PAD src0_sel:WORD_1
	v_add_f32_e32 v21, v50, v40
	v_add_f32_e32 v21, v52, v21
	v_mfma_f32_16x16x16_f16 v[16:19], v[38:39], v[24:25], v[16:19]
	v_fmac_f32_e32 v21, v58, v51
	ds_bpermute_b32 v20, v20, v21
	v_perm_b32 v25, v64, v45, s0
	v_perm_b32 v24, v44, v69, s0
	s_nop 3
	v_cvt_f16_f32_e32 v16, v16
	v_cvt_f16_f32_e32 v17, v17
	;; [unrolled: 1-line block ×4, first 2 shown]
	v_cvt_f32_f16_e32 v16, v16
	v_cvt_f32_f16_e32 v17, v17
	v_cvt_f32_f16_e32 v18, v18
	v_cvt_f32_f16_e32 v19, v19
	s_waitcnt lgkmcnt(0)
	v_add_f32_e32 v20, v21, v20
	ds_bpermute_b32 v21, v23, v20
	v_mfma_f32_16x16x16_f16 v[16:19], v[24:25], v[28:29], v[16:19]
	v_cmp_gt_u32_e64 s[0:1], 16, v32
	s_and_saveexec_b64 s[4:5], s[0:1]
	s_cbranch_execz .LBB9_247
; %bb.246:
	s_waitcnt lgkmcnt(0)
	v_add_f32_e32 v20, v20, v21
	v_or_b32_e32 v21, v35, v32
	s_movk_i32 s2, 0xb0
	v_mad_u32_u24 v21, v21, s2, 0
	ds_write2_b32 v21, v22, v20 offset0:40 offset1:41
.LBB9_247:
	s_or_b64 exec, exec, s[4:5]
	v_and_b32_e32 v20, 1, v27
	v_cmp_eq_u32_e32 vcc, 0, v20
	v_cmp_eq_u32_e64 s[4:5], 1, v20
	s_waitcnt lgkmcnt(0)
	s_barrier
	s_and_saveexec_b64 s[2:3], s[4:5]
	s_xor_b64 s[4:5], exec, s[2:3]
	s_cbranch_execz .LBB9_249
; %bb.248:
	s_barrier
                                        ; implicit-def: $vgpr37
                                        ; implicit-def: $vgpr23
.LBB9_249:
	s_andn2_saveexec_b64 s[6:7], s[4:5]
	s_cbranch_execz .LBB9_255
; %bb.250:
	v_or_b32_e32 v21, v35, v26
	s_movk_i32 s2, 0xb0
	v_mad_u32_u24 v20, v21, s2, 0
	ds_read_b64 v[24:25], v20 offset:160
	s_mov_b32 s2, 0x3fb8aa3b
	s_mov_b32 s3, 0x42b17218
	s_waitcnt lgkmcnt(0)
	s_barrier
	ds_bpermute_b32 v20, v23, v24
	v_max_f32_e32 v22, v24, v24
	s_waitcnt lgkmcnt(0)
	v_max_f32_e32 v20, v20, v20
	v_max_f32_e32 v20, v22, v20
	v_sub_f32_e32 v22, v24, v20
	v_mul_f32_e32 v24, 0x3fb8aa3b, v22
	v_fma_f32 v28, v22, s2, -v24
	v_rndne_f32_e32 v29, v24
	v_fmamk_f32 v28, v22, 0x32a5705f, v28
	v_sub_f32_e32 v24, v24, v29
	v_add_f32_e32 v24, v24, v28
	v_cvt_i32_f32_e32 v29, v29
	v_exp_f32_e32 v24, v24
	s_mov_b32 s2, 0xc2ce8ed0
	v_cmp_ngt_f32_e64 s[4:5], s2, v22
	v_mov_b32_e32 v28, 0x7f800000
	v_ldexp_f32 v24, v24, v29
	v_cndmask_b32_e64 v24, 0, v24, s[4:5]
	v_cmp_nlt_f32_e64 s[4:5], s3, v22
	s_nop 1
	v_cndmask_b32_e64 v22, v28, v24, s[4:5]
	v_mul_f32_e32 v24, v25, v22
	ds_bpermute_b32 v23, v23, v24
	v_cmp_gt_u32_e64 s[4:5], 32, v32
	s_waitcnt lgkmcnt(0)
	v_fmac_f32_e32 v23, v25, v22
	s_and_saveexec_b64 s[8:9], s[4:5]
; %bb.251:
	v_mul_u32_u24_e32 v21, 0xb0, v21
	v_add_u32_e32 v21, 0, v21
	ds_write_b64 v21, v[22:23] offset:160
; %bb.252:
	s_or_b64 exec, exec, s[8:9]
	s_and_saveexec_b64 s[4:5], s[0:1]
	s_cbranch_execz .LBB9_254
; %bb.253:
	s_add_i32 s0, s29, s28
	s_lshl_b32 s0, s0, 5
	s_mov_b32 s1, 0
	s_lshl_b64 s[0:1], s[0:1], 3
	s_add_u32 s0, s50, s0
	v_or_b32_e32 v21, v37, v32
	s_addc_u32 s1, s51, s1
	v_lshlrev_b32_e32 v22, 3, v21
	v_mov_b32_e32 v21, v23
	global_store_dwordx2 v22, v[20:21], s[0:1]
.LBB9_254:
	s_or_b64 exec, exec, s[4:5]
.LBB9_255:
	s_or_b64 exec, exec, s[6:7]
	v_cvt_pk_f16_f32 v2, v2, v3
	v_cvt_pk_f16_f32 v3, v4, v5
	;; [unrolled: 1-line block ×3, first 2 shown]
	v_or_b32_e32 v10, v35, v36
	v_mul_u32_u24_e32 v10, 0xb0, v10
	v_cvt_pk_f16_f32 v0, v0, v1
	s_movk_i32 s4, 0xb0
	s_mov_b32 s3, 0
	v_add3_u32 v10, 0, v10, v34
	v_cvt_pk_f16_f32 v1, v6, v7
	v_cvt_pk_f16_f32 v5, v8, v9
	;; [unrolled: 1-line block ×6, first 2 shown]
	ds_write2_b32 v10, v0, v2 offset1:1
	ds_write2_b32 v10, v3, v1 offset0:8 offset1:9
	ds_write2_b32 v10, v5, v4 offset0:16 offset1:17
	;; [unrolled: 1-line block ×4, first 2 shown]
	s_waitcnt lgkmcnt(0)
	s_barrier
	s_and_saveexec_b64 s[0:1], vcc
	s_cbranch_execz .LBB9_257
; %bb.256:
	s_mul_i32 s2, s28, 0x500
	s_lshl_b64 s[6:7], s[2:3], 3
	s_add_u32 s5, s50, s6
	s_addc_u32 s6, s51, s7
	s_lshl_b32 s2, s29, 6
	s_lshl_b64 s[2:3], s[2:3], 3
	v_add_u32_e32 v8, v31, v27
	s_add_u32 s2, s5, s2
	v_lshlrev_b32_e32 v9, 1, v8
	v_and_b32_e32 v10, 15, v8
	s_movk_i32 s5, 0xfe0
	v_and_or_b32 v2, v9, s5, v10
	v_mad_u32_u24 v0, v2, s4, v30
	ds_read2st64_b32 v[0:1], v0 offset1:11
	v_mad_u32_u24 v2, v2, s4, 0
	v_add_u32_e32 v2, 0xa0, v2
	ds_read2st64_b32 v[2:3], v2 offset1:11
	s_movk_i32 s5, 0x1fe0
	s_waitcnt lgkmcnt(1)
	v_cvt_f32_f16_e32 v4, v0
	v_cvt_f32_f16_sdwa v5, v0 dst_sel:DWORD dst_unused:UNUSED_PAD src0_sel:WORD_1
	v_cvt_f32_f16_e32 v0, v1
	v_cvt_f32_f16_sdwa v1, v1 dst_sel:DWORD dst_unused:UNUSED_PAD src0_sel:WORD_1
	v_mul_u32_u24_e32 v6, 40, v8
	s_waitcnt lgkmcnt(0)
	v_pk_fma_f32 v[4:5], v[2:3], v[4:5], 0 op_sel_hi:[0,1,0]
	v_mov_b32_e32 v2, v3
	v_pk_fma_f32 v[0:1], v[2:3], v[0:1], v[4:5] op_sel_hi:[0,1,1]
	v_add_u32_e32 v2, 4, v8
	v_lshlrev_b32_e32 v3, 1, v2
	v_and_b32_e32 v2, 15, v2
	v_and_or_b32 v4, v3, s5, v2
	v_mad_u32_u24 v2, v4, s4, v30
	ds_read2st64_b32 v[2:3], v2 offset1:11
	v_mad_u32_u24 v4, v4, s4, 0
	v_add_u32_e32 v4, 0xa0, v4
	ds_read2st64_b32 v[4:5], v4 offset1:11
	v_add_lshl_u32 v11, v6, v26, 3
	s_waitcnt lgkmcnt(1)
	v_cvt_f32_f16_e32 v6, v2
	v_cvt_f32_f16_sdwa v7, v2 dst_sel:DWORD dst_unused:UNUSED_PAD src0_sel:WORD_1
	v_cvt_f32_f16_e32 v2, v3
	v_cvt_f32_f16_sdwa v3, v3 dst_sel:DWORD dst_unused:UNUSED_PAD src0_sel:WORD_1
	s_addc_u32 s3, s6, s3
	global_store_dwordx2 v11, v[0:1], s[2:3]
	s_waitcnt lgkmcnt(0)
	v_pk_fma_f32 v[0:1], v[4:5], v[6:7], 0 op_sel_hi:[0,1,0]
	v_mov_b32_e32 v4, v5
	v_pk_fma_f32 v[0:1], v[4:5], v[2:3], v[0:1] op_sel_hi:[0,1,1]
	v_add_u32_e32 v2, 8, v8
	v_lshlrev_b32_e32 v3, 1, v2
	v_and_b32_e32 v2, 15, v2
	v_and_or_b32 v4, v3, s5, v2
	v_mad_u32_u24 v2, v4, s4, v30
	ds_read2st64_b32 v[2:3], v2 offset1:11
	global_store_dwordx2 v11, v[0:1], s[2:3] offset:1280
	v_mad_u32_u24 v0, v4, s4, 0
	v_add_u32_e32 v0, 0xa0, v0
	ds_read2st64_b32 v[0:1], v0 offset1:11
	s_waitcnt lgkmcnt(1)
	v_cvt_f32_f16_e32 v4, v2
	v_cvt_f32_f16_sdwa v5, v2 dst_sel:DWORD dst_unused:UNUSED_PAD src0_sel:WORD_1
	v_cvt_f32_f16_e32 v2, v3
	v_cvt_f32_f16_sdwa v3, v3 dst_sel:DWORD dst_unused:UNUSED_PAD src0_sel:WORD_1
	v_add_u32_e32 v6, 0xa00, v11
	s_waitcnt lgkmcnt(0)
	v_pk_fma_f32 v[4:5], v[0:1], v[4:5], 0 op_sel_hi:[0,1,0]
	v_mov_b32_e32 v0, v1
	v_pk_fma_f32 v[0:1], v[0:1], v[2:3], v[4:5] op_sel_hi:[0,1,1]
	v_add_u32_e32 v2, 12, v8
	v_lshlrev_b32_e32 v3, 1, v2
	v_and_b32_e32 v2, 15, v2
	v_and_or_b32 v4, v3, s5, v2
	v_mad_u32_u24 v2, v4, s4, v30
	ds_read2st64_b32 v[2:3], v2 offset1:11
	global_store_dwordx2 v6, v[0:1], s[2:3]
	v_mad_u32_u24 v0, v4, s4, 0
	v_add_u32_e32 v0, 0xa0, v0
	ds_read2st64_b32 v[0:1], v0 offset1:11
	s_waitcnt lgkmcnt(1)
	v_cvt_f32_f16_e32 v4, v2
	v_cvt_f32_f16_sdwa v5, v2 dst_sel:DWORD dst_unused:UNUSED_PAD src0_sel:WORD_1
	v_cvt_f32_f16_e32 v2, v3
	v_cvt_f32_f16_sdwa v3, v3 dst_sel:DWORD dst_unused:UNUSED_PAD src0_sel:WORD_1
	v_add_u32_e32 v6, 0xf00, v11
	s_waitcnt lgkmcnt(0)
	v_pk_fma_f32 v[4:5], v[0:1], v[4:5], 0 op_sel_hi:[0,1,0]
	v_mov_b32_e32 v0, v1
	v_pk_fma_f32 v[0:1], v[0:1], v[2:3], v[4:5] op_sel_hi:[0,1,1]
	v_add_u32_e32 v2, 32, v9
	v_and_or_b32 v4, v2, s5, v10
	v_mad_u32_u24 v2, v4, s4, v30
	ds_read2st64_b32 v[2:3], v2 offset1:11
	global_store_dwordx2 v6, v[0:1], s[2:3]
	v_mad_u32_u24 v0, v4, s4, 0
	v_add_u32_e32 v0, 0xa0, v0
	ds_read2st64_b32 v[0:1], v0 offset1:11
	s_waitcnt lgkmcnt(1)
	v_cvt_f32_f16_e32 v4, v2
	v_cvt_f32_f16_sdwa v5, v2 dst_sel:DWORD dst_unused:UNUSED_PAD src0_sel:WORD_1
	v_cvt_f32_f16_e32 v2, v3
	v_cvt_f32_f16_sdwa v3, v3 dst_sel:DWORD dst_unused:UNUSED_PAD src0_sel:WORD_1
	v_add_u32_e32 v6, 0x1400, v11
	s_waitcnt lgkmcnt(0)
	v_pk_fma_f32 v[4:5], v[0:1], v[4:5], 0 op_sel_hi:[0,1,0]
	v_mov_b32_e32 v0, v1
	v_pk_fma_f32 v[0:1], v[0:1], v[2:3], v[4:5] op_sel_hi:[0,1,1]
	v_add_u32_e32 v2, 20, v8
	v_lshlrev_b32_e32 v3, 1, v2
	v_and_b32_e32 v2, 15, v2
	v_and_or_b32 v4, v3, s5, v2
	v_mad_u32_u24 v2, v4, s4, v30
	ds_read2st64_b32 v[2:3], v2 offset1:11
	global_store_dwordx2 v6, v[0:1], s[2:3]
	v_mad_u32_u24 v0, v4, s4, 0
	v_add_u32_e32 v0, 0xa0, v0
	ds_read2st64_b32 v[0:1], v0 offset1:11
	s_waitcnt lgkmcnt(1)
	v_cvt_f32_f16_e32 v4, v2
	v_cvt_f32_f16_sdwa v5, v2 dst_sel:DWORD dst_unused:UNUSED_PAD src0_sel:WORD_1
	v_cvt_f32_f16_e32 v2, v3
	v_cvt_f32_f16_sdwa v3, v3 dst_sel:DWORD dst_unused:UNUSED_PAD src0_sel:WORD_1
	v_add_u32_e32 v6, 0x1900, v11
	s_waitcnt lgkmcnt(0)
	v_pk_fma_f32 v[4:5], v[0:1], v[4:5], 0 op_sel_hi:[0,1,0]
	v_mov_b32_e32 v0, v1
	v_pk_fma_f32 v[0:1], v[0:1], v[2:3], v[4:5] op_sel_hi:[0,1,1]
	v_add_u32_e32 v2, 24, v8
	v_lshlrev_b32_e32 v3, 1, v2
	v_and_b32_e32 v2, 15, v2
	;; [unrolled: 20-line block ×3, first 2 shown]
	v_and_or_b32 v4, v3, s5, v2
	v_mad_u32_u24 v2, v4, s4, v30
	ds_read2st64_b32 v[2:3], v2 offset1:11
	global_store_dwordx2 v6, v[0:1], s[2:3]
	v_mad_u32_u24 v0, v4, s4, 0
	v_add_u32_e32 v0, 0xa0, v0
	ds_read2st64_b32 v[0:1], v0 offset1:11
	s_waitcnt lgkmcnt(1)
	v_cvt_f32_f16_e32 v4, v2
	v_cvt_f32_f16_sdwa v5, v2 dst_sel:DWORD dst_unused:UNUSED_PAD src0_sel:WORD_1
	v_cvt_f32_f16_e32 v2, v3
	v_cvt_f32_f16_sdwa v3, v3 dst_sel:DWORD dst_unused:UNUSED_PAD src0_sel:WORD_1
	v_add_u32_e32 v6, 0x2300, v11
	s_waitcnt lgkmcnt(0)
	v_pk_fma_f32 v[4:5], v[0:1], v[4:5], 0 op_sel_hi:[0,1,0]
	v_mov_b32_e32 v0, v1
	v_pk_fma_f32 v[0:1], v[0:1], v[2:3], v[4:5] op_sel_hi:[0,1,1]
	global_store_dwordx2 v6, v[0:1], s[2:3]
	v_lshl_add_u32 v0, v27, 2, v33
	v_and_b32_e32 v4, 7, v32
	v_and_b32_e32 v11, 15, v0
	v_lshlrev_b32_e32 v12, 1, v0
	s_movk_i32 s5, 0x3fe0
	v_lshl_add_u32 v10, v4, 2, 0
	v_and_or_b32 v1, v12, s5, v11
	v_mul_u32_u24_e32 v5, 40, v0
	v_mad_u32_u24 v0, v1, s4, v10
	v_add_u32_e32 v0, 0x80, v0
	v_mad_u32_u24 v2, v1, s4, 0
	ds_read2st64_b32 v[0:1], v0 offset1:11
	v_add_u32_e32 v2, 0xa0, v2
	ds_read2st64_b32 v[2:3], v2 offset1:11
	v_or_b32_e32 v4, v5, v4
	v_mov_b32_e32 v5, 0
	s_waitcnt lgkmcnt(1)
	v_cvt_f32_f16_e32 v6, v0
	v_cvt_f32_f16_sdwa v7, v0 dst_sel:DWORD dst_unused:UNUSED_PAD src0_sel:WORD_1
	v_cvt_f32_f16_e32 v0, v1
	v_cvt_f32_f16_sdwa v1, v1 dst_sel:DWORD dst_unused:UNUSED_PAD src0_sel:WORD_1
	v_lshl_add_u64 v[8:9], v[4:5], 3, s[2:3]
	s_waitcnt lgkmcnt(0)
	v_pk_fma_f32 v[6:7], v[2:3], v[6:7], 0 op_sel_hi:[0,1,0]
	v_mov_b32_e32 v2, v3
	v_pk_fma_f32 v[0:1], v[2:3], v[0:1], v[6:7] op_sel_hi:[0,1,1]
	global_store_dwordx2 v[8:9], v[0:1], off offset:256
	v_add_u32_e32 v0, 32, v12
	s_movk_i32 s5, 0x7fe0
	v_and_or_b32 v2, v0, s5, v11
	v_mad_u32_u24 v0, v2, s4, v10
	v_add_u32_e32 v0, 0x80, v0
	ds_read2st64_b32 v[0:1], v0 offset1:11
	v_mad_u32_u24 v2, v2, s4, 0
	v_add_u32_e32 v2, 0xa0, v2
	ds_read2st64_b32 v[2:3], v2 offset1:11
	v_add_u32_e32 v4, 0x280, v4
	s_waitcnt lgkmcnt(1)
	v_cvt_f32_f16_e32 v6, v0
	v_cvt_f32_f16_sdwa v7, v0 dst_sel:DWORD dst_unused:UNUSED_PAD src0_sel:WORD_1
	v_cvt_f32_f16_e32 v0, v1
	v_cvt_f32_f16_sdwa v1, v1 dst_sel:DWORD dst_unused:UNUSED_PAD src0_sel:WORD_1
	v_lshl_add_u64 v[4:5], v[4:5], 3, s[2:3]
	s_waitcnt lgkmcnt(0)
	v_pk_fma_f32 v[6:7], v[2:3], v[6:7], 0 op_sel_hi:[0,1,0]
	v_mov_b32_e32 v2, v3
	v_pk_fma_f32 v[0:1], v[2:3], v[0:1], v[6:7] op_sel_hi:[0,1,1]
	global_store_dwordx2 v[4:5], v[0:1], off offset:256
.LBB9_257:
	s_or_b64 exec, exec, s[0:1]
	s_barrier
	s_endpgm
	.section	.rodata,"a",@progbits
	.p2align	6, 0x0
	.amdhsa_kernel _ZL18flash_attn_ext_f16ILi80ELi80ELi4ELi8ELb0ELb0EEvPKcS1_S1_S1_S1_PKiPfP15HIP_vector_typeIfLj2EEffffjfiS5_IjLj3EEiiiiiiiiiiiliiliiiiil
		.amdhsa_group_segment_fixed_size 0
		.amdhsa_private_segment_fixed_size 0
		.amdhsa_kernarg_size 464
		.amdhsa_user_sgpr_count 2
		.amdhsa_user_sgpr_dispatch_ptr 0
		.amdhsa_user_sgpr_queue_ptr 0
		.amdhsa_user_sgpr_kernarg_segment_ptr 1
		.amdhsa_user_sgpr_dispatch_id 0
		.amdhsa_user_sgpr_kernarg_preload_length 0
		.amdhsa_user_sgpr_kernarg_preload_offset 0
		.amdhsa_user_sgpr_private_segment_size 0
		.amdhsa_uses_dynamic_stack 0
		.amdhsa_enable_private_segment 0
		.amdhsa_system_sgpr_workgroup_id_x 1
		.amdhsa_system_sgpr_workgroup_id_y 0
		.amdhsa_system_sgpr_workgroup_id_z 0
		.amdhsa_system_sgpr_workgroup_info 0
		.amdhsa_system_vgpr_workitem_id 1
		.amdhsa_next_free_vgpr 167
		.amdhsa_next_free_sgpr 100
		.amdhsa_accum_offset 168
		.amdhsa_reserve_vcc 1
		.amdhsa_float_round_mode_32 0
		.amdhsa_float_round_mode_16_64 0
		.amdhsa_float_denorm_mode_32 3
		.amdhsa_float_denorm_mode_16_64 3
		.amdhsa_dx10_clamp 1
		.amdhsa_ieee_mode 1
		.amdhsa_fp16_overflow 0
		.amdhsa_tg_split 0
		.amdhsa_exception_fp_ieee_invalid_op 0
		.amdhsa_exception_fp_denorm_src 0
		.amdhsa_exception_fp_ieee_div_zero 0
		.amdhsa_exception_fp_ieee_overflow 0
		.amdhsa_exception_fp_ieee_underflow 0
		.amdhsa_exception_fp_ieee_inexact 0
		.amdhsa_exception_int_div_zero 0
	.end_amdhsa_kernel
	.section	.text._ZL18flash_attn_ext_f16ILi80ELi80ELi4ELi8ELb0ELb0EEvPKcS1_S1_S1_S1_PKiPfP15HIP_vector_typeIfLj2EEffffjfiS5_IjLj3EEiiiiiiiiiiiliiliiiiil,"axG",@progbits,_ZL18flash_attn_ext_f16ILi80ELi80ELi4ELi8ELb0ELb0EEvPKcS1_S1_S1_S1_PKiPfP15HIP_vector_typeIfLj2EEffffjfiS5_IjLj3EEiiiiiiiiiiiliiliiiiil,comdat
.Lfunc_end9:
	.size	_ZL18flash_attn_ext_f16ILi80ELi80ELi4ELi8ELb0ELb0EEvPKcS1_S1_S1_S1_PKiPfP15HIP_vector_typeIfLj2EEffffjfiS5_IjLj3EEiiiiiiiiiiiliiliiiiil, .Lfunc_end9-_ZL18flash_attn_ext_f16ILi80ELi80ELi4ELi8ELb0ELb0EEvPKcS1_S1_S1_S1_PKiPfP15HIP_vector_typeIfLj2EEffffjfiS5_IjLj3EEiiiiiiiiiiiliiliiiiil
                                        ; -- End function
	.set _ZL18flash_attn_ext_f16ILi80ELi80ELi4ELi8ELb0ELb0EEvPKcS1_S1_S1_S1_PKiPfP15HIP_vector_typeIfLj2EEffffjfiS5_IjLj3EEiiiiiiiiiiiliiliiiiil.num_vgpr, 167
	.set _ZL18flash_attn_ext_f16ILi80ELi80ELi4ELi8ELb0ELb0EEvPKcS1_S1_S1_S1_PKiPfP15HIP_vector_typeIfLj2EEffffjfiS5_IjLj3EEiiiiiiiiiiiliiliiiiil.num_agpr, 0
	.set _ZL18flash_attn_ext_f16ILi80ELi80ELi4ELi8ELb0ELb0EEvPKcS1_S1_S1_S1_PKiPfP15HIP_vector_typeIfLj2EEffffjfiS5_IjLj3EEiiiiiiiiiiiliiliiiiil.numbered_sgpr, 100
	.set _ZL18flash_attn_ext_f16ILi80ELi80ELi4ELi8ELb0ELb0EEvPKcS1_S1_S1_S1_PKiPfP15HIP_vector_typeIfLj2EEffffjfiS5_IjLj3EEiiiiiiiiiiiliiliiiiil.num_named_barrier, 0
	.set _ZL18flash_attn_ext_f16ILi80ELi80ELi4ELi8ELb0ELb0EEvPKcS1_S1_S1_S1_PKiPfP15HIP_vector_typeIfLj2EEffffjfiS5_IjLj3EEiiiiiiiiiiiliiliiiiil.private_seg_size, 0
	.set _ZL18flash_attn_ext_f16ILi80ELi80ELi4ELi8ELb0ELb0EEvPKcS1_S1_S1_S1_PKiPfP15HIP_vector_typeIfLj2EEffffjfiS5_IjLj3EEiiiiiiiiiiiliiliiiiil.uses_vcc, 1
	.set _ZL18flash_attn_ext_f16ILi80ELi80ELi4ELi8ELb0ELb0EEvPKcS1_S1_S1_S1_PKiPfP15HIP_vector_typeIfLj2EEffffjfiS5_IjLj3EEiiiiiiiiiiiliiliiiiil.uses_flat_scratch, 0
	.set _ZL18flash_attn_ext_f16ILi80ELi80ELi4ELi8ELb0ELb0EEvPKcS1_S1_S1_S1_PKiPfP15HIP_vector_typeIfLj2EEffffjfiS5_IjLj3EEiiiiiiiiiiiliiliiiiil.has_dyn_sized_stack, 0
	.set _ZL18flash_attn_ext_f16ILi80ELi80ELi4ELi8ELb0ELb0EEvPKcS1_S1_S1_S1_PKiPfP15HIP_vector_typeIfLj2EEffffjfiS5_IjLj3EEiiiiiiiiiiiliiliiiiil.has_recursion, 0
	.set _ZL18flash_attn_ext_f16ILi80ELi80ELi4ELi8ELb0ELb0EEvPKcS1_S1_S1_S1_PKiPfP15HIP_vector_typeIfLj2EEffffjfiS5_IjLj3EEiiiiiiiiiiiliiliiiiil.has_indirect_call, 0
	.section	.AMDGPU.csdata,"",@progbits
; Kernel info:
; codeLenInByte = 34732
; TotalNumSgprs: 106
; NumVgprs: 167
; NumAgprs: 0
; TotalNumVgprs: 167
; ScratchSize: 0
; MemoryBound: 0
; FloatMode: 240
; IeeeMode: 1
; LDSByteSize: 0 bytes/workgroup (compile time only)
; SGPRBlocks: 13
; VGPRBlocks: 20
; NumSGPRsForWavesPerEU: 106
; NumVGPRsForWavesPerEU: 167
; AccumOffset: 168
; Occupancy: 3
; WaveLimiterHint : 1
; COMPUTE_PGM_RSRC2:SCRATCH_EN: 0
; COMPUTE_PGM_RSRC2:USER_SGPR: 2
; COMPUTE_PGM_RSRC2:TRAP_HANDLER: 0
; COMPUTE_PGM_RSRC2:TGID_X_EN: 1
; COMPUTE_PGM_RSRC2:TGID_Y_EN: 0
; COMPUTE_PGM_RSRC2:TGID_Z_EN: 0
; COMPUTE_PGM_RSRC2:TIDIG_COMP_CNT: 1
; COMPUTE_PGM_RSRC3_GFX90A:ACCUM_OFFSET: 41
; COMPUTE_PGM_RSRC3_GFX90A:TG_SPLIT: 0
	.section	.text._ZL18flash_attn_ext_f16ILi80ELi80ELi4ELi8ELb1ELb0EEvPKcS1_S1_S1_S1_PKiPfP15HIP_vector_typeIfLj2EEffffjfiS5_IjLj3EEiiiiiiiiiiiliiliiiiil,"axG",@progbits,_ZL18flash_attn_ext_f16ILi80ELi80ELi4ELi8ELb1ELb0EEvPKcS1_S1_S1_S1_PKiPfP15HIP_vector_typeIfLj2EEffffjfiS5_IjLj3EEiiiiiiiiiiiliiliiiiil,comdat
	.globl	_ZL18flash_attn_ext_f16ILi80ELi80ELi4ELi8ELb1ELb0EEvPKcS1_S1_S1_S1_PKiPfP15HIP_vector_typeIfLj2EEffffjfiS5_IjLj3EEiiiiiiiiiiiliiliiiiil ; -- Begin function _ZL18flash_attn_ext_f16ILi80ELi80ELi4ELi8ELb1ELb0EEvPKcS1_S1_S1_S1_PKiPfP15HIP_vector_typeIfLj2EEffffjfiS5_IjLj3EEiiiiiiiiiiiliiliiiiil
	.p2align	8
	.type	_ZL18flash_attn_ext_f16ILi80ELi80ELi4ELi8ELb1ELb0EEvPKcS1_S1_S1_S1_PKiPfP15HIP_vector_typeIfLj2EEffffjfiS5_IjLj3EEiiiiiiiiiiiliiliiiiil,@function
_ZL18flash_attn_ext_f16ILi80ELi80ELi4ELi8ELb1ELb0EEvPKcS1_S1_S1_S1_PKiPfP15HIP_vector_typeIfLj2EEffffjfiS5_IjLj3EEiiiiiiiiiiiliiliiiiil: ; @_ZL18flash_attn_ext_f16ILi80ELi80ELi4ELi8ELb1ELb0EEvPKcS1_S1_S1_S1_PKiPfP15HIP_vector_typeIfLj2EEffffjfiS5_IjLj3EEiiiiiiiiiiiliiliiiiil
; %bb.0:
	s_add_u32 s8, s0, 0xd0
	s_addc_u32 s9, s1, 0
	s_getpc_b64 s[0:1]
	s_add_u32 s0, s0, _ZL14no_device_codePKciS0_iS0_@rel32@lo+4
	s_addc_u32 s1, s1, _ZL14no_device_codePKciS0_iS0_@rel32@hi+12
	v_mov_b32_e32 v0, 0x6cc
	s_mov_b32 s32, 0
	s_swappc_b64 s[30:31], s[0:1]
	.section	.rodata,"a",@progbits
	.p2align	6, 0x0
	.amdhsa_kernel _ZL18flash_attn_ext_f16ILi80ELi80ELi4ELi8ELb1ELb0EEvPKcS1_S1_S1_S1_PKiPfP15HIP_vector_typeIfLj2EEffffjfiS5_IjLj3EEiiiiiiiiiiiliiliiiiil
		.amdhsa_group_segment_fixed_size 0
		.amdhsa_private_segment_fixed_size 16
		.amdhsa_kernarg_size 464
		.amdhsa_user_sgpr_count 2
		.amdhsa_user_sgpr_dispatch_ptr 0
		.amdhsa_user_sgpr_queue_ptr 0
		.amdhsa_user_sgpr_kernarg_segment_ptr 1
		.amdhsa_user_sgpr_dispatch_id 0
		.amdhsa_user_sgpr_kernarg_preload_length 0
		.amdhsa_user_sgpr_kernarg_preload_offset 0
		.amdhsa_user_sgpr_private_segment_size 0
		.amdhsa_uses_dynamic_stack 0
		.amdhsa_enable_private_segment 1
		.amdhsa_system_sgpr_workgroup_id_x 1
		.amdhsa_system_sgpr_workgroup_id_y 0
		.amdhsa_system_sgpr_workgroup_id_z 0
		.amdhsa_system_sgpr_workgroup_info 0
		.amdhsa_system_vgpr_workitem_id 0
		.amdhsa_next_free_vgpr 52
		.amdhsa_next_free_sgpr 34
		.amdhsa_accum_offset 52
		.amdhsa_reserve_vcc 1
		.amdhsa_float_round_mode_32 0
		.amdhsa_float_round_mode_16_64 0
		.amdhsa_float_denorm_mode_32 3
		.amdhsa_float_denorm_mode_16_64 3
		.amdhsa_dx10_clamp 1
		.amdhsa_ieee_mode 1
		.amdhsa_fp16_overflow 0
		.amdhsa_tg_split 0
		.amdhsa_exception_fp_ieee_invalid_op 0
		.amdhsa_exception_fp_denorm_src 0
		.amdhsa_exception_fp_ieee_div_zero 0
		.amdhsa_exception_fp_ieee_overflow 0
		.amdhsa_exception_fp_ieee_underflow 0
		.amdhsa_exception_fp_ieee_inexact 0
		.amdhsa_exception_int_div_zero 0
	.end_amdhsa_kernel
	.section	.text._ZL18flash_attn_ext_f16ILi80ELi80ELi4ELi8ELb1ELb0EEvPKcS1_S1_S1_S1_PKiPfP15HIP_vector_typeIfLj2EEffffjfiS5_IjLj3EEiiiiiiiiiiiliiliiiiil,"axG",@progbits,_ZL18flash_attn_ext_f16ILi80ELi80ELi4ELi8ELb1ELb0EEvPKcS1_S1_S1_S1_PKiPfP15HIP_vector_typeIfLj2EEffffjfiS5_IjLj3EEiiiiiiiiiiiliiliiiiil,comdat
.Lfunc_end10:
	.size	_ZL18flash_attn_ext_f16ILi80ELi80ELi4ELi8ELb1ELb0EEvPKcS1_S1_S1_S1_PKiPfP15HIP_vector_typeIfLj2EEffffjfiS5_IjLj3EEiiiiiiiiiiiliiliiiiil, .Lfunc_end10-_ZL18flash_attn_ext_f16ILi80ELi80ELi4ELi8ELb1ELb0EEvPKcS1_S1_S1_S1_PKiPfP15HIP_vector_typeIfLj2EEffffjfiS5_IjLj3EEiiiiiiiiiiiliiliiiiil
                                        ; -- End function
	.set _ZL18flash_attn_ext_f16ILi80ELi80ELi4ELi8ELb1ELb0EEvPKcS1_S1_S1_S1_PKiPfP15HIP_vector_typeIfLj2EEffffjfiS5_IjLj3EEiiiiiiiiiiiliiliiiiil.num_vgpr, max(1, .L_ZL14no_device_codePKciS0_iS0_.num_vgpr)
	.set _ZL18flash_attn_ext_f16ILi80ELi80ELi4ELi8ELb1ELb0EEvPKcS1_S1_S1_S1_PKiPfP15HIP_vector_typeIfLj2EEffffjfiS5_IjLj3EEiiiiiiiiiiiliiliiiiil.num_agpr, max(0, .L_ZL14no_device_codePKciS0_iS0_.num_agpr)
	.set _ZL18flash_attn_ext_f16ILi80ELi80ELi4ELi8ELb1ELb0EEvPKcS1_S1_S1_S1_PKiPfP15HIP_vector_typeIfLj2EEffffjfiS5_IjLj3EEiiiiiiiiiiiliiliiiiil.numbered_sgpr, max(33, .L_ZL14no_device_codePKciS0_iS0_.numbered_sgpr)
	.set _ZL18flash_attn_ext_f16ILi80ELi80ELi4ELi8ELb1ELb0EEvPKcS1_S1_S1_S1_PKiPfP15HIP_vector_typeIfLj2EEffffjfiS5_IjLj3EEiiiiiiiiiiiliiliiiiil.num_named_barrier, max(0, .L_ZL14no_device_codePKciS0_iS0_.num_named_barrier)
	.set _ZL18flash_attn_ext_f16ILi80ELi80ELi4ELi8ELb1ELb0EEvPKcS1_S1_S1_S1_PKiPfP15HIP_vector_typeIfLj2EEffffjfiS5_IjLj3EEiiiiiiiiiiiliiliiiiil.private_seg_size, 0+max(.L_ZL14no_device_codePKciS0_iS0_.private_seg_size)
	.set _ZL18flash_attn_ext_f16ILi80ELi80ELi4ELi8ELb1ELb0EEvPKcS1_S1_S1_S1_PKiPfP15HIP_vector_typeIfLj2EEffffjfiS5_IjLj3EEiiiiiiiiiiiliiliiiiil.uses_vcc, or(1, .L_ZL14no_device_codePKciS0_iS0_.uses_vcc)
	.set _ZL18flash_attn_ext_f16ILi80ELi80ELi4ELi8ELb1ELb0EEvPKcS1_S1_S1_S1_PKiPfP15HIP_vector_typeIfLj2EEffffjfiS5_IjLj3EEiiiiiiiiiiiliiliiiiil.uses_flat_scratch, or(0, .L_ZL14no_device_codePKciS0_iS0_.uses_flat_scratch)
	.set _ZL18flash_attn_ext_f16ILi80ELi80ELi4ELi8ELb1ELb0EEvPKcS1_S1_S1_S1_PKiPfP15HIP_vector_typeIfLj2EEffffjfiS5_IjLj3EEiiiiiiiiiiiliiliiiiil.has_dyn_sized_stack, or(0, .L_ZL14no_device_codePKciS0_iS0_.has_dyn_sized_stack)
	.set _ZL18flash_attn_ext_f16ILi80ELi80ELi4ELi8ELb1ELb0EEvPKcS1_S1_S1_S1_PKiPfP15HIP_vector_typeIfLj2EEffffjfiS5_IjLj3EEiiiiiiiiiiiliiliiiiil.has_recursion, or(0, .L_ZL14no_device_codePKciS0_iS0_.has_recursion)
	.set _ZL18flash_attn_ext_f16ILi80ELi80ELi4ELi8ELb1ELb0EEvPKcS1_S1_S1_S1_PKiPfP15HIP_vector_typeIfLj2EEffffjfiS5_IjLj3EEiiiiiiiiiiiliiliiiiil.has_indirect_call, or(0, .L_ZL14no_device_codePKciS0_iS0_.has_indirect_call)
	.section	.AMDGPU.csdata,"",@progbits
; Kernel info:
; codeLenInByte = 48
; TotalNumSgprs: 40
; NumVgprs: 52
; NumAgprs: 0
; TotalNumVgprs: 52
; ScratchSize: 16
; MemoryBound: 0
; FloatMode: 240
; IeeeMode: 1
; LDSByteSize: 0 bytes/workgroup (compile time only)
; SGPRBlocks: 4
; VGPRBlocks: 6
; NumSGPRsForWavesPerEU: 40
; NumVGPRsForWavesPerEU: 52
; AccumOffset: 52
; Occupancy: 8
; WaveLimiterHint : 1
; COMPUTE_PGM_RSRC2:SCRATCH_EN: 1
; COMPUTE_PGM_RSRC2:USER_SGPR: 2
; COMPUTE_PGM_RSRC2:TRAP_HANDLER: 0
; COMPUTE_PGM_RSRC2:TGID_X_EN: 1
; COMPUTE_PGM_RSRC2:TGID_Y_EN: 0
; COMPUTE_PGM_RSRC2:TGID_Z_EN: 0
; COMPUTE_PGM_RSRC2:TIDIG_COMP_CNT: 0
; COMPUTE_PGM_RSRC3_GFX90A:ACCUM_OFFSET: 12
; COMPUTE_PGM_RSRC3_GFX90A:TG_SPLIT: 0
	.section	.text._ZL33flash_attn_stream_k_fixup_uniformILi80ELi4ELi8EEvPfPK15HIP_vector_typeIfLj2EEiiiiiiS1_IjLj3EES5_S5_,"axG",@progbits,_ZL33flash_attn_stream_k_fixup_uniformILi80ELi4ELi8EEvPfPK15HIP_vector_typeIfLj2EEiiiiiiS1_IjLj3EES5_S5_,comdat
	.globl	_ZL33flash_attn_stream_k_fixup_uniformILi80ELi4ELi8EEvPfPK15HIP_vector_typeIfLj2EEiiiiiiS1_IjLj3EES5_S5_ ; -- Begin function _ZL33flash_attn_stream_k_fixup_uniformILi80ELi4ELi8EEvPfPK15HIP_vector_typeIfLj2EEiiiiiiS1_IjLj3EES5_S5_
	.p2align	8
	.type	_ZL33flash_attn_stream_k_fixup_uniformILi80ELi4ELi8EEvPfPK15HIP_vector_typeIfLj2EEiiiiiiS1_IjLj3EES5_S5_,@function
_ZL33flash_attn_stream_k_fixup_uniformILi80ELi4ELi8EEvPfPK15HIP_vector_typeIfLj2EEiiiiiiS1_IjLj3EES5_S5_: ; @_ZL33flash_attn_stream_k_fixup_uniformILi80ELi4ELi8EEvPfPK15HIP_vector_typeIfLj2EEiiiiiiS1_IjLj3EES5_S5_
; %bb.0:
	s_load_dwordx8 s[8:15], s[0:1], 0x1c
	s_load_dwordx2 s[6:7], s[0:1], 0x10
	s_load_dwordx4 s[16:19], s[0:1], 0x3c
	s_waitcnt lgkmcnt(0)
	s_mul_hi_u32 s5, s11, s2
	s_add_i32 s5, s2, s5
	s_lshr_b32 s5, s5, s12
	s_mul_i32 s11, s5, s13
	s_sub_i32 s12, s2, s11
	s_mul_hi_u32 s11, s12, s14
	s_add_i32 s11, s12, s11
	s_lshr_b32 s11, s11, s15
	s_mul_i32 s13, s11, s16
	s_sub_i32 s12, s12, s13
	;; [unrolled: 5-line block ×3, first 2 shown]
	s_lshl_b32 s12, s16, 2
	s_lshl_b32 s17, s13, 3
	s_add_i32 s12, s12, s3
	s_cmp_lt_i32 s12, s6
	s_cselect_b64 s[12:13], -1, 0
	s_add_i32 s17, s17, s4
	s_cmp_lt_i32 s17, s9
	s_cselect_b64 s[14:15], -1, 0
	s_and_b64 s[12:13], s[12:13], s[14:15]
	s_andn2_b64 vcc, exec, s[12:13]
	s_cbranch_vccnz .LBB11_6
; %bb.1:
	s_load_dwordx4 s[12:15], s[0:1], 0x0
	s_mul_i32 s0, s5, s6
	s_mul_i32 s11, s11, s9
	s_add_i32 s0, s0, s3
	s_mul_i32 s0, s0, s7
	s_add_i32 s5, s17, s11
	s_mul_i32 s1, s7, s16
	s_add_i32 s0, s5, s0
	s_mulk_i32 s1, 0x140
	s_mulk_i32 s0, 0x50
	s_add_i32 s0, s0, s1
	v_add_u32_e32 v4, s0, v0
	s_waitcnt lgkmcnt(0)
	v_mov_b32_e32 v2, s12
	v_mov_b32_e32 v3, s13
	v_ashrrev_i32_e32 v5, 31, v4
	v_lshl_add_u64 v[2:3], v[4:5], 2, v[2:3]
	global_load_dword v5, v[2:3], off
	s_mul_i32 s5, s10, s2
	s_lshl_b32 s11, s3, 3
	s_add_i32 s9, s5, s10
	s_add_i32 s0, s11, s4
	s_lshl_b32 s1, s9, 5
	s_add_i32 s0, s0, s1
	s_sub_i32 s0, s0, 32
	s_ashr_i32 s1, s0, 31
	s_lshl_b64 s[0:1], s[0:1], 3
	s_add_u32 s0, s14, s0
	s_addc_u32 s1, s15, s1
	s_load_dword s12, s[0:1], 0x4
	s_add_i32 s6, s9, -2
	s_cmp_lt_i32 s6, s5
	s_cbranch_scc1 .LBB11_4
; %bb.2:
	s_lshl_b32 s6, s8, 7
	s_ashr_i32 s7, s6, 31
	s_lshl_b64 s[6:7], s[6:7], 2
	s_add_u32 s6, s14, s6
	s_addc_u32 s7, s15, s7
	s_add_i32 s2, s2, 1
	s_load_dword s0, s[0:1], 0x0
	s_mul_i32 s1, s10, s2
	s_lshl_b32 s2, s1, 5
	s_add_i32 s2, s4, s2
	s_mulk_i32 s3, 0x280
	s_mulk_i32 s4, 0x50
	s_lshl_b32 s8, s8, 5
	s_mulk_i32 s1, 0xa00
	s_add_i32 s3, s4, s3
	s_add_i32 s2, s2, s8
	;; [unrolled: 1-line block ×4, first 2 shown]
	v_add_u32_e32 v0, s3, v0
	s_add_i32 s9, s9, -1
	s_sub_i32 s2, s2, 64
	v_add_u32_e32 v0, 0xffffec00, v0
	s_waitcnt lgkmcnt(0)
	v_mov_b32_e32 v7, s0
	v_mov_b32_e32 v4, s12
	s_mov_b32 s4, 0x3fb8aa3b
	s_mov_b32 s8, 0xc2ce8ed0
	;; [unrolled: 1-line block ×3, first 2 shown]
	v_mov_b32_e32 v6, 0x7f800000
	s_mov_b32 s11, 0xc1a00000
.LBB11_3:                               ; =>This Inner Loop Header: Depth=1
	v_ashrrev_i32_e32 v1, 31, v0
	v_lshl_add_u64 v[8:9], v[0:1], 2, s[6:7]
	global_load_dword v9, v[8:9], off
	s_ashr_i32 s3, s2, 31
	s_lshl_b64 s[0:1], s[2:3], 3
	s_add_u32 s0, s14, s0
	s_addc_u32 s1, s15, s1
	s_load_dwordx2 s[0:1], s[0:1], 0x0
	v_max_f32_e32 v1, v7, v7
	s_add_i32 s9, s9, -1
	s_sub_i32 s2, s2, 32
	v_add_u32_e32 v0, 0xfffff600, v0
	s_waitcnt lgkmcnt(0)
	v_max_f32_e64 v10, s0, s0
	v_max_f32_e32 v1, v1, v10
	v_sub_f32_e32 v11, s0, v1
	v_sub_f32_e32 v10, v7, v1
	v_mul_f32_e32 v12, 0x3fb8aa3b, v11
	v_mov_b32_e32 v7, v1
	v_mul_f32_e32 v1, 0x3fb8aa3b, v10
	v_fma_f32 v15, v11, s4, -v12
	v_rndne_f32_e32 v16, v12
	v_fma_f32 v13, v10, s4, -v1
	v_rndne_f32_e32 v14, v1
	v_fmac_f32_e32 v15, 0x32a5705f, v11
	v_sub_f32_e32 v12, v12, v16
	v_fmac_f32_e32 v13, 0x32a5705f, v10
	v_sub_f32_e32 v1, v1, v14
	v_add_f32_e32 v12, v12, v15
	v_cvt_i32_f32_e32 v16, v16
	v_add_f32_e32 v1, v1, v13
	v_exp_f32_e32 v12, v12
	v_cvt_i32_f32_e32 v14, v14
	v_exp_f32_e32 v1, v1
	v_cmp_ngt_f32_e32 vcc, s8, v11
	v_ldexp_f32 v12, v12, v16
	v_mov_b32_e32 v8, s1
	v_ldexp_f32 v1, v1, v14
	v_cmp_ngt_f32_e64 s[0:1], s8, v10
	v_cndmask_b32_e32 v12, 0, v12, vcc
	v_cmp_nlt_f32_e32 vcc, s10, v11
	v_cndmask_b32_e64 v1, 0, v1, s[0:1]
	v_cmp_nlt_f32_e64 s[0:1], s10, v10
	v_cndmask_b32_e32 v12, v6, v12, vcc
	v_cmp_le_f32_e32 vcc, s11, v11
	v_cndmask_b32_e64 v1, v6, v1, s[0:1]
	v_cmp_le_f32_e64 s[0:1], s11, v10
	v_cndmask_b32_e32 v12, 0, v12, vcc
	s_cmp_le_i32 s9, s5
	v_cndmask_b32_e64 v10, 0, v1, s[0:1]
	s_waitcnt vmcnt(0)
	v_pk_mul_f32 v[8:9], v[8:9], v[12:13] op_sel_hi:[1,0]
	s_nop 0
	v_pk_fma_f32 v[4:5], v[4:5], v[10:11], v[8:9] op_sel_hi:[1,0,1]
	s_cbranch_scc0 .LBB11_3
	s_branch .LBB11_5
.LBB11_4:
	s_waitcnt lgkmcnt(0)
	v_mov_b32_e32 v4, s12
.LBB11_5:
	s_waitcnt vmcnt(0)
	v_div_scale_f32 v0, s[0:1], v4, v4, v5
	v_rcp_f32_e32 v1, v0
	v_div_scale_f32 v6, vcc, v5, v4, v5
	v_fma_f32 v7, -v0, v1, 1.0
	v_fmac_f32_e32 v1, v7, v1
	v_mul_f32_e32 v7, v6, v1
	v_fma_f32 v8, -v0, v7, v6
	v_fmac_f32_e32 v7, v8, v1
	v_fma_f32 v0, -v0, v7, v6
	v_div_fmas_f32 v0, v0, v1, v7
	v_div_fixup_f32 v0, v0, v4, v5
	global_store_dword v[2:3], v0, off
.LBB11_6:
	s_endpgm
	.section	.rodata,"a",@progbits
	.p2align	6, 0x0
	.amdhsa_kernel _ZL33flash_attn_stream_k_fixup_uniformILi80ELi4ELi8EEvPfPK15HIP_vector_typeIfLj2EEiiiiiiS1_IjLj3EES5_S5_
		.amdhsa_group_segment_fixed_size 0
		.amdhsa_private_segment_fixed_size 0
		.amdhsa_kernarg_size 76
		.amdhsa_user_sgpr_count 2
		.amdhsa_user_sgpr_dispatch_ptr 0
		.amdhsa_user_sgpr_queue_ptr 0
		.amdhsa_user_sgpr_kernarg_segment_ptr 1
		.amdhsa_user_sgpr_dispatch_id 0
		.amdhsa_user_sgpr_kernarg_preload_length 0
		.amdhsa_user_sgpr_kernarg_preload_offset 0
		.amdhsa_user_sgpr_private_segment_size 0
		.amdhsa_uses_dynamic_stack 0
		.amdhsa_enable_private_segment 0
		.amdhsa_system_sgpr_workgroup_id_x 1
		.amdhsa_system_sgpr_workgroup_id_y 1
		.amdhsa_system_sgpr_workgroup_id_z 1
		.amdhsa_system_sgpr_workgroup_info 0
		.amdhsa_system_vgpr_workitem_id 0
		.amdhsa_next_free_vgpr 17
		.amdhsa_next_free_sgpr 20
		.amdhsa_accum_offset 20
		.amdhsa_reserve_vcc 1
		.amdhsa_float_round_mode_32 0
		.amdhsa_float_round_mode_16_64 0
		.amdhsa_float_denorm_mode_32 3
		.amdhsa_float_denorm_mode_16_64 3
		.amdhsa_dx10_clamp 1
		.amdhsa_ieee_mode 1
		.amdhsa_fp16_overflow 0
		.amdhsa_tg_split 0
		.amdhsa_exception_fp_ieee_invalid_op 0
		.amdhsa_exception_fp_denorm_src 0
		.amdhsa_exception_fp_ieee_div_zero 0
		.amdhsa_exception_fp_ieee_overflow 0
		.amdhsa_exception_fp_ieee_underflow 0
		.amdhsa_exception_fp_ieee_inexact 0
		.amdhsa_exception_int_div_zero 0
	.end_amdhsa_kernel
	.section	.text._ZL33flash_attn_stream_k_fixup_uniformILi80ELi4ELi8EEvPfPK15HIP_vector_typeIfLj2EEiiiiiiS1_IjLj3EES5_S5_,"axG",@progbits,_ZL33flash_attn_stream_k_fixup_uniformILi80ELi4ELi8EEvPfPK15HIP_vector_typeIfLj2EEiiiiiiS1_IjLj3EES5_S5_,comdat
.Lfunc_end11:
	.size	_ZL33flash_attn_stream_k_fixup_uniformILi80ELi4ELi8EEvPfPK15HIP_vector_typeIfLj2EEiiiiiiS1_IjLj3EES5_S5_, .Lfunc_end11-_ZL33flash_attn_stream_k_fixup_uniformILi80ELi4ELi8EEvPfPK15HIP_vector_typeIfLj2EEiiiiiiS1_IjLj3EES5_S5_
                                        ; -- End function
	.set _ZL33flash_attn_stream_k_fixup_uniformILi80ELi4ELi8EEvPfPK15HIP_vector_typeIfLj2EEiiiiiiS1_IjLj3EES5_S5_.num_vgpr, 17
	.set _ZL33flash_attn_stream_k_fixup_uniformILi80ELi4ELi8EEvPfPK15HIP_vector_typeIfLj2EEiiiiiiS1_IjLj3EES5_S5_.num_agpr, 0
	.set _ZL33flash_attn_stream_k_fixup_uniformILi80ELi4ELi8EEvPfPK15HIP_vector_typeIfLj2EEiiiiiiS1_IjLj3EES5_S5_.numbered_sgpr, 20
	.set _ZL33flash_attn_stream_k_fixup_uniformILi80ELi4ELi8EEvPfPK15HIP_vector_typeIfLj2EEiiiiiiS1_IjLj3EES5_S5_.num_named_barrier, 0
	.set _ZL33flash_attn_stream_k_fixup_uniformILi80ELi4ELi8EEvPfPK15HIP_vector_typeIfLj2EEiiiiiiS1_IjLj3EES5_S5_.private_seg_size, 0
	.set _ZL33flash_attn_stream_k_fixup_uniformILi80ELi4ELi8EEvPfPK15HIP_vector_typeIfLj2EEiiiiiiS1_IjLj3EES5_S5_.uses_vcc, 1
	.set _ZL33flash_attn_stream_k_fixup_uniformILi80ELi4ELi8EEvPfPK15HIP_vector_typeIfLj2EEiiiiiiS1_IjLj3EES5_S5_.uses_flat_scratch, 0
	.set _ZL33flash_attn_stream_k_fixup_uniformILi80ELi4ELi8EEvPfPK15HIP_vector_typeIfLj2EEiiiiiiS1_IjLj3EES5_S5_.has_dyn_sized_stack, 0
	.set _ZL33flash_attn_stream_k_fixup_uniformILi80ELi4ELi8EEvPfPK15HIP_vector_typeIfLj2EEiiiiiiS1_IjLj3EES5_S5_.has_recursion, 0
	.set _ZL33flash_attn_stream_k_fixup_uniformILi80ELi4ELi8EEvPfPK15HIP_vector_typeIfLj2EEiiiiiiS1_IjLj3EES5_S5_.has_indirect_call, 0
	.section	.AMDGPU.csdata,"",@progbits
; Kernel info:
; codeLenInByte = 832
; TotalNumSgprs: 26
; NumVgprs: 17
; NumAgprs: 0
; TotalNumVgprs: 17
; ScratchSize: 0
; MemoryBound: 0
; FloatMode: 240
; IeeeMode: 1
; LDSByteSize: 0 bytes/workgroup (compile time only)
; SGPRBlocks: 3
; VGPRBlocks: 2
; NumSGPRsForWavesPerEU: 26
; NumVGPRsForWavesPerEU: 17
; AccumOffset: 20
; Occupancy: 8
; WaveLimiterHint : 0
; COMPUTE_PGM_RSRC2:SCRATCH_EN: 0
; COMPUTE_PGM_RSRC2:USER_SGPR: 2
; COMPUTE_PGM_RSRC2:TRAP_HANDLER: 0
; COMPUTE_PGM_RSRC2:TGID_X_EN: 1
; COMPUTE_PGM_RSRC2:TGID_Y_EN: 1
; COMPUTE_PGM_RSRC2:TGID_Z_EN: 1
; COMPUTE_PGM_RSRC2:TIDIG_COMP_CNT: 0
; COMPUTE_PGM_RSRC3_GFX90A:ACCUM_OFFSET: 4
; COMPUTE_PGM_RSRC3_GFX90A:TG_SPLIT: 0
	.section	.text._ZL33flash_attn_stream_k_fixup_generalILi80ELi4ELi8EEvPfPK15HIP_vector_typeIfLj2EEiiiiS1_IjLj3EES5_S5_S5_,"axG",@progbits,_ZL33flash_attn_stream_k_fixup_generalILi80ELi4ELi8EEvPfPK15HIP_vector_typeIfLj2EEiiiiS1_IjLj3EES5_S5_S5_,comdat
	.globl	_ZL33flash_attn_stream_k_fixup_generalILi80ELi4ELi8EEvPfPK15HIP_vector_typeIfLj2EEiiiiS1_IjLj3EES5_S5_S5_ ; -- Begin function _ZL33flash_attn_stream_k_fixup_generalILi80ELi4ELi8EEvPfPK15HIP_vector_typeIfLj2EEiiiiS1_IjLj3EES5_S5_S5_
	.p2align	8
	.type	_ZL33flash_attn_stream_k_fixup_generalILi80ELi4ELi8EEvPfPK15HIP_vector_typeIfLj2EEiiiiS1_IjLj3EES5_S5_S5_,@function
_ZL33flash_attn_stream_k_fixup_generalILi80ELi4ELi8EEvPfPK15HIP_vector_typeIfLj2EEiiiiS1_IjLj3EES5_S5_S5_: ; @_ZL33flash_attn_stream_k_fixup_generalILi80ELi4ELi8EEvPfPK15HIP_vector_typeIfLj2EEiiiiS1_IjLj3EES5_S5_S5_
; %bb.0:
	s_load_dwordx4 s[8:11], s[0:1], 0x10
	s_load_dword s22, s[0:1], 0x50
	s_mov_b32 s12, 0
	s_waitcnt lgkmcnt(0)
	s_mul_hi_i32 s13, s11, s2
	s_cmp_lg_u64 s[12:13], 0
	s_mul_i32 s5, s11, s2
	s_cbranch_scc0 .LBB12_20
; %bb.1:
	s_add_u32 s6, s22, 0
	s_addc_u32 s7, 0, 0
	s_xor_b64 s[6:7], s[6:7], 0
	v_cvt_f32_u32_e32 v1, s6
	v_cvt_f32_u32_e32 v2, s7
	s_sub_u32 s12, 0, s6
	s_subb_u32 s18, 0, s7
	v_fmamk_f32 v1, v2, 0x4f800000, v1
	v_rcp_f32_e32 v1, v1
	s_nop 0
	v_mul_f32_e32 v1, 0x5f7ffffc, v1
	v_mul_f32_e32 v2, 0x2f800000, v1
	v_trunc_f32_e32 v2, v2
	v_fmamk_f32 v1, v2, 0xcf800000, v1
	v_cvt_u32_f32_e32 v2, v2
	v_cvt_u32_f32_e32 v1, v1
	v_readfirstlane_b32 s19, v2
	v_readfirstlane_b32 s14, v1
	s_mul_i32 s15, s12, s19
	s_mul_hi_u32 s21, s12, s14
	s_mul_i32 s20, s18, s14
	s_add_i32 s15, s21, s15
	s_add_i32 s15, s15, s20
	s_mul_i32 s23, s12, s14
	s_mul_i32 s21, s14, s15
	s_mul_hi_u32 s24, s14, s23
	s_mul_hi_u32 s20, s14, s15
	s_add_u32 s21, s24, s21
	s_addc_u32 s20, 0, s20
	s_mul_hi_u32 s25, s19, s23
	s_mul_i32 s23, s19, s23
	s_add_u32 s21, s21, s23
	s_mul_hi_u32 s24, s19, s15
	s_addc_u32 s20, s20, s25
	s_addc_u32 s21, s24, 0
	s_mul_i32 s15, s19, s15
	s_add_u32 s15, s20, s15
	s_addc_u32 s20, 0, s21
	s_add_u32 s21, s14, s15
	s_cselect_b64 s[14:15], -1, 0
	s_cmp_lg_u64 s[14:15], 0
	s_addc_u32 s19, s19, s20
	s_mul_i32 s14, s12, s19
	s_mul_hi_u32 s15, s12, s21
	s_add_i32 s14, s15, s14
	s_mul_i32 s18, s18, s21
	s_add_i32 s14, s14, s18
	s_mul_i32 s12, s12, s21
	s_mul_hi_u32 s18, s19, s12
	s_mul_i32 s20, s19, s12
	s_mul_i32 s24, s21, s14
	s_mul_hi_u32 s12, s21, s12
	s_mul_hi_u32 s23, s21, s14
	s_add_u32 s12, s12, s24
	s_addc_u32 s23, 0, s23
	s_add_u32 s12, s12, s20
	s_mul_hi_u32 s15, s19, s14
	s_addc_u32 s12, s23, s18
	s_addc_u32 s15, s15, 0
	s_mul_i32 s14, s19, s14
	s_add_u32 s12, s12, s14
	s_addc_u32 s18, 0, s15
	s_add_u32 s20, s21, s12
	s_cselect_b64 s[14:15], -1, 0
	s_cmp_lg_u64 s[14:15], 0
	s_addc_u32 s18, s19, s18
	s_ashr_i32 s14, s13, 31
	s_add_u32 s12, s5, s14
	s_mov_b32 s15, s14
	s_addc_u32 s13, s13, s14
	s_xor_b64 s[12:13], s[12:13], s[14:15]
	s_mul_i32 s21, s12, s18
	s_mul_hi_u32 s23, s12, s20
	s_mul_hi_u32 s19, s12, s18
	s_add_u32 s21, s23, s21
	s_addc_u32 s19, 0, s19
	s_mul_hi_u32 s24, s13, s20
	s_mul_i32 s20, s13, s20
	s_add_u32 s20, s21, s20
	s_mul_hi_u32 s23, s13, s18
	s_addc_u32 s19, s19, s24
	s_addc_u32 s20, s23, 0
	s_mul_i32 s18, s13, s18
	s_add_u32 s23, s19, s18
	s_addc_u32 s24, 0, s20
	s_mul_i32 s18, s6, s24
	s_mul_hi_u32 s19, s6, s23
	s_add_i32 s18, s19, s18
	s_mul_i32 s19, s7, s23
	s_add_i32 s25, s18, s19
	s_sub_i32 s20, s13, s25
	s_mul_i32 s18, s6, s23
	s_sub_u32 s12, s12, s18
	s_cselect_b64 s[18:19], -1, 0
	s_cmp_lg_u64 s[18:19], 0
	s_subb_u32 s26, s20, s7
	s_sub_u32 s27, s12, s6
	s_cselect_b64 s[20:21], -1, 0
	s_cmp_lg_u64 s[20:21], 0
	s_subb_u32 s20, s26, 0
	s_cmp_ge_u32 s20, s7
	s_cselect_b32 s21, -1, 0
	s_cmp_ge_u32 s27, s6
	s_cselect_b32 s26, -1, 0
	s_cmp_eq_u32 s20, s7
	s_cselect_b32 s20, s26, s21
	s_add_u32 s21, s23, 1
	s_addc_u32 s26, s24, 0
	s_add_u32 s27, s23, 2
	s_addc_u32 s28, s24, 0
	s_cmp_lg_u32 s20, 0
	s_cselect_b32 s20, s27, s21
	s_cselect_b32 s21, s28, s26
	s_cmp_lg_u64 s[18:19], 0
	s_subb_u32 s13, s13, s25
	s_cmp_ge_u32 s13, s7
	s_cselect_b32 s18, -1, 0
	s_cmp_ge_u32 s12, s6
	s_cselect_b32 s6, -1, 0
	s_cmp_eq_u32 s13, s7
	s_cselect_b32 s6, s6, s18
	s_cmp_lg_u32 s6, 0
	s_cselect_b32 s7, s21, s24
	s_cselect_b32 s6, s20, s23
	s_xor_b64 s[12:13], s[14:15], 0
	s_xor_b64 s[6:7], s[6:7], s[12:13]
	s_sub_u32 s6, s6, s12
	s_load_dwordx4 s[12:15], s[0:1], 0x44
	s_cbranch_execnz .LBB12_3
.LBB12_2:
	v_cvt_f32_u32_e32 v1, s22
	s_sub_i32 s6, 0, s22
	v_rcp_iflag_f32_e32 v1, v1
	s_nop 0
	v_mul_f32_e32 v1, 0x4f7ffffe, v1
	v_cvt_u32_f32_e32 v1, v1
	s_nop 0
	v_readfirstlane_b32 s7, v1
	s_mul_i32 s6, s6, s7
	s_mul_hi_u32 s6, s7, s6
	s_add_i32 s7, s7, s6
	s_mul_hi_u32 s6, s5, s7
	s_waitcnt lgkmcnt(0)
	s_mul_i32 s15, s6, s22
	s_sub_i32 s5, s5, s15
	s_add_i32 s7, s6, 1
	s_sub_i32 s15, s5, s22
	s_cmp_ge_u32 s5, s22
	s_cselect_b32 s6, s7, s6
	s_cselect_b32 s5, s15, s5
	s_add_i32 s7, s6, 1
	s_cmp_ge_u32 s5, s22
	s_cselect_b32 s6, s7, s6
.LBB12_3:
	s_add_i32 s5, s2, 1
	s_mul_hi_i32 s21, s11, s5
	s_mov_b32 s20, 0
	s_cmp_lg_u64 s[20:21], 0
	s_mul_i32 s5, s11, s5
	s_cbranch_scc0 .LBB12_21
; %bb.4:
	s_add_u32 s16, s22, 0
	s_addc_u32 s17, 0, 0
	s_xor_b64 s[18:19], s[16:17], 0
	v_cvt_f32_u32_e32 v1, s18
	v_cvt_f32_u32_e32 v2, s19
	s_sub_u32 s7, 0, s18
	s_waitcnt lgkmcnt(0)
	s_subb_u32 s15, 0, s19
	v_fmamk_f32 v1, v2, 0x4f800000, v1
	v_rcp_f32_e32 v1, v1
	s_nop 0
	v_mul_f32_e32 v1, 0x5f7ffffc, v1
	v_mul_f32_e32 v2, 0x2f800000, v1
	v_trunc_f32_e32 v2, v2
	v_fmamk_f32 v1, v2, 0xcf800000, v1
	v_cvt_u32_f32_e32 v2, v2
	v_cvt_u32_f32_e32 v1, v1
	v_readfirstlane_b32 s20, v2
	v_readfirstlane_b32 s23, v1
	s_mul_i32 s24, s7, s20
	s_mul_hi_u32 s26, s7, s23
	s_mul_i32 s25, s15, s23
	s_add_i32 s24, s26, s24
	s_add_i32 s24, s24, s25
	s_mul_i32 s27, s7, s23
	s_mul_i32 s26, s23, s24
	s_mul_hi_u32 s28, s23, s27
	s_mul_hi_u32 s25, s23, s24
	s_add_u32 s26, s28, s26
	s_addc_u32 s25, 0, s25
	s_mul_hi_u32 s29, s20, s27
	s_mul_i32 s27, s20, s27
	s_add_u32 s26, s26, s27
	s_mul_hi_u32 s28, s20, s24
	s_addc_u32 s25, s25, s29
	s_addc_u32 s26, s28, 0
	s_mul_i32 s24, s20, s24
	s_add_u32 s24, s25, s24
	s_addc_u32 s26, 0, s26
	s_add_u32 s23, s23, s24
	s_cselect_b64 s[24:25], -1, 0
	s_cmp_lg_u64 s[24:25], 0
	s_addc_u32 s20, s20, s26
	s_mul_i32 s24, s7, s20
	s_mul_hi_u32 s25, s7, s23
	s_add_i32 s24, s25, s24
	s_mul_i32 s15, s15, s23
	s_add_i32 s24, s24, s15
	s_mul_i32 s7, s7, s23
	s_mul_hi_u32 s25, s20, s7
	s_mul_i32 s26, s20, s7
	s_mul_i32 s28, s23, s24
	s_mul_hi_u32 s7, s23, s7
	s_mul_hi_u32 s27, s23, s24
	s_add_u32 s7, s7, s28
	s_addc_u32 s27, 0, s27
	s_add_u32 s7, s7, s26
	s_mul_hi_u32 s15, s20, s24
	s_addc_u32 s7, s27, s25
	s_addc_u32 s15, s15, 0
	s_mul_i32 s24, s20, s24
	s_add_u32 s7, s7, s24
	s_addc_u32 s15, 0, s15
	s_add_u32 s7, s23, s7
	s_cselect_b64 s[24:25], -1, 0
	s_cmp_lg_u64 s[24:25], 0
	s_addc_u32 s15, s20, s15
	s_ashr_i32 s24, s21, 31
	s_add_u32 s20, s5, s24
	s_mov_b32 s25, s24
	s_addc_u32 s21, s21, s24
	s_xor_b64 s[20:21], s[20:21], s[24:25]
	s_mul_i32 s26, s20, s15
	s_mul_hi_u32 s27, s20, s7
	s_mul_hi_u32 s23, s20, s15
	s_add_u32 s26, s27, s26
	s_addc_u32 s23, 0, s23
	s_mul_hi_u32 s28, s21, s7
	s_mul_i32 s7, s21, s7
	s_add_u32 s7, s26, s7
	s_mul_hi_u32 s27, s21, s15
	s_addc_u32 s7, s23, s28
	s_addc_u32 s23, s27, 0
	s_mul_i32 s15, s21, s15
	s_add_u32 s7, s7, s15
	s_addc_u32 s15, 0, s23
	s_mul_i32 s23, s18, s15
	s_mul_hi_u32 s26, s18, s7
	s_add_i32 s23, s26, s23
	s_mul_i32 s26, s19, s7
	s_add_i32 s23, s23, s26
	s_sub_i32 s28, s21, s23
	s_mul_i32 s26, s18, s7
	s_sub_u32 s20, s20, s26
	s_cselect_b64 s[26:27], -1, 0
	s_cmp_lg_u64 s[26:27], 0
	s_subb_u32 s30, s28, s19
	s_sub_u32 s31, s20, s18
	s_cselect_b64 s[28:29], -1, 0
	s_cmp_lg_u64 s[28:29], 0
	s_subb_u32 s28, s30, 0
	s_cmp_ge_u32 s28, s19
	s_cselect_b32 s29, -1, 0
	s_cmp_ge_u32 s31, s18
	s_cselect_b32 s30, -1, 0
	s_cmp_eq_u32 s28, s19
	s_cselect_b32 s28, s30, s29
	s_add_u32 s29, s7, 1
	s_addc_u32 s30, s15, 0
	s_add_u32 s31, s7, 2
	s_addc_u32 s33, s15, 0
	s_cmp_lg_u32 s28, 0
	s_cselect_b32 s28, s31, s29
	s_cselect_b32 s29, s33, s30
	s_cmp_lg_u64 s[26:27], 0
	s_subb_u32 s21, s21, s23
	s_cmp_ge_u32 s21, s19
	s_cselect_b32 s23, -1, 0
	s_cmp_ge_u32 s20, s18
	s_cselect_b32 s18, -1, 0
	s_cmp_eq_u32 s21, s19
	s_cselect_b32 s18, s18, s23
	s_cmp_lg_u32 s18, 0
	s_cselect_b32 s19, s29, s15
	s_cselect_b32 s18, s28, s7
	s_xor_b64 s[20:21], s[24:25], 0
	s_xor_b64 s[18:19], s[18:19], s[20:21]
	s_sub_u32 s18, s18, s20
	s_cbranch_execnz .LBB12_6
.LBB12_5:
	v_cvt_f32_u32_e32 v1, s22
	s_sub_i32 s7, 0, s22
	v_rcp_iflag_f32_e32 v1, v1
	s_nop 0
	v_mul_f32_e32 v1, 0x4f7ffffe, v1
	v_cvt_u32_f32_e32 v1, v1
	s_waitcnt lgkmcnt(0)
	v_readfirstlane_b32 s15, v1
	s_mul_i32 s7, s7, s15
	s_mul_hi_u32 s7, s15, s7
	s_add_i32 s15, s15, s7
	s_mul_hi_u32 s7, s5, s15
	s_mul_i32 s16, s7, s22
	s_sub_i32 s5, s5, s16
	s_add_i32 s15, s7, 1
	s_sub_i32 s16, s5, s22
	s_cmp_ge_u32 s5, s22
	s_cselect_b32 s7, s15, s7
	s_cselect_b32 s5, s16, s5
	s_add_i32 s15, s7, 1
	s_cmp_ge_u32 s5, s22
	s_cselect_b32 s18, s15, s7
.LBB12_6:
	s_cmp_eq_u32 s6, s18
	s_waitcnt lgkmcnt(0)
	s_mul_hi_u32 s5, s6, s12
	s_cselect_b64 s[16:17], -1, 0
	s_add_i32 s5, s5, s6
	s_lshr_b32 s7, s5, s13
	s_mul_i32 s5, s7, s14
	s_cmp_eq_u32 s5, s6
	s_mul_hi_u32 s5, s18, s12
	s_cselect_b64 s[20:21], -1, 0
	s_add_i32 s5, s5, s18
	s_lshr_b32 s5, s5, s13
	s_cmp_eq_u32 s7, s5
	s_mul_i32 s5, s5, s14
	s_cselect_b64 s[24:25], -1, 0
	s_cmp_lg_u32 s5, s18
	s_cselect_b64 s[18:19], -1, 0
	s_and_b64 s[18:19], s[24:25], s[18:19]
	s_or_b64 s[16:17], s[16:17], s[20:21]
	s_or_b64 s[16:17], s[16:17], s[18:19]
	s_and_b64 vcc, exec, s[16:17]
	s_cbranch_vccnz .LBB12_23
; %bb.7:
	s_load_dwordx8 s[24:31], s[0:1], 0x20
	s_load_dword s5, s[0:1], 0x40
	s_waitcnt lgkmcnt(0)
	s_mul_hi_u32 s15, s6, s24
	s_add_i32 s15, s15, s6
	s_lshr_b32 s20, s15, s25
	s_mul_i32 s15, s20, s26
	s_sub_i32 s15, s6, s15
	s_mul_hi_u32 s16, s15, s27
	s_add_i32 s16, s15, s16
	s_lshr_b32 s21, s16, s28
	s_mul_i32 s16, s21, s29
	s_sub_i32 s15, s15, s16
	;; [unrolled: 5-line block ×3, first 2 shown]
	s_mul_hi_u32 s15, s5, s12
	s_add_i32 s5, s5, s15
	s_lshr_b32 s23, s5, s13
	s_lshl_b32 s5, s23, 2
	s_lshl_b32 s24, s16, 3
	s_add_i32 s5, s5, s3
	s_cmp_lt_i32 s5, s8
	s_cselect_b64 s[16:17], -1, 0
	s_add_i32 s24, s24, s4
	s_cmp_lt_i32 s24, s10
	s_cselect_b64 s[18:19], -1, 0
	s_and_b64 s[16:17], s[16:17], s[18:19]
	s_andn2_b64 vcc, exec, s[16:17]
	s_cbranch_vccnz .LBB12_23
; %bb.8:
	s_load_dwordx4 s[16:19], s[0:1], 0x0
	s_mov_b32 s0, 0
	s_lshl_b32 s15, s3, 3
	s_lshl_b32 s26, s22, 7
	s_mov_b32 s27, s0
	s_add_i32 s15, s15, s4
	s_lshl_b64 s[4:5], s[26:27], 2
	s_waitcnt lgkmcnt(0)
	s_add_u32 s4, s18, s4
	s_mul_i32 s1, s20, s8
	s_addc_u32 s5, s19, s5
	s_mul_i32 s21, s21, s10
	s_add_i32 s1, s1, s3
	s_mul_i32 s1, s1, s9
	s_add_i32 s3, s24, s21
	s_mul_i32 s8, s9, s23
	s_add_i32 s1, s3, s1
	s_mulk_i32 s8, 0x140
	s_mulk_i32 s1, 0x50
	s_add_i32 s8, s8, s1
	v_add_u32_e32 v4, s8, v0
	v_mov_b32_e32 v2, s16
	v_mov_b32_e32 v3, s17
	v_ashrrev_i32_e32 v5, 31, v4
	v_lshl_add_u64 v[2:3], v[4:5], 2, v[2:3]
	global_load_dword v1, v[2:3], off
	v_cvt_f32_u32_e32 v4, s22
	s_lshl_b32 s1, s2, 5
	s_add_i32 s8, s15, s1
	s_ashr_i32 s9, s8, 31
	s_lshl_b64 s[8:9], s[8:9], 3
	v_rcp_iflag_f32_e32 v4, v4
	s_add_u32 s8, s18, s8
	s_addc_u32 s9, s19, s9
	s_load_dwordx2 s[8:9], s[8:9], 0x0
	v_mul_f32_e32 v4, 0x4f7ffffe, v4
	v_cvt_u32_f32_e32 v7, v4
	s_mul_i32 s1, s15, 0x50
	s_add_i32 s21, s2, -1
	v_add_u32_e32 v6, s1, v0
	s_waitcnt lgkmcnt(0)
	v_mov_b32_e32 v0, s9
	v_mov_b32_e32 v9, s8
	s_mov_b32 s10, 0x3fb8aa3b
	s_mov_b32 s20, 0xc2ce8ed0
	;; [unrolled: 1-line block ×4, first 2 shown]
	v_mov_b32_e32 v8, 0x7f800000
	s_mul_hi_i32 s1, s21, s11
	s_cmp_lg_u64 s[0:1], 0
	s_mul_i32 s16, s21, s11
	s_cbranch_scc0 .LBB12_19
.LBB12_9:
	s_add_u32 s2, s22, 0
	s_addc_u32 s3, 0, 0
	s_xor_b64 s[2:3], s[2:3], 0
	v_cvt_f32_u32_e32 v4, s2
	v_cvt_f32_u32_e32 v5, s3
	s_sub_u32 s17, 0, s2
	s_subb_u32 s25, 0, s3
	v_fmac_f32_e32 v4, 0x4f800000, v5
	v_rcp_f32_e32 v4, v4
	s_nop 0
	v_mul_f32_e32 v4, 0x5f7ffffc, v4
	v_mul_f32_e32 v5, 0x2f800000, v4
	v_trunc_f32_e32 v5, v5
	v_fmac_f32_e32 v4, 0xcf800000, v5
	v_cvt_u32_f32_e32 v5, v5
	v_cvt_u32_f32_e32 v4, v4
	v_readfirstlane_b32 s26, v5
	v_readfirstlane_b32 s8, v4
	s_mul_i32 s9, s17, s26
	s_mul_hi_u32 s28, s17, s8
	s_mul_i32 s27, s25, s8
	s_add_i32 s9, s28, s9
	s_mul_i32 s29, s17, s8
	s_add_i32 s9, s9, s27
	s_mul_i32 s28, s8, s9
	s_mul_hi_u32 s30, s8, s29
	s_mul_hi_u32 s27, s8, s9
	s_add_u32 s28, s30, s28
	s_addc_u32 s27, 0, s27
	s_mul_hi_u32 s31, s26, s29
	s_mul_i32 s29, s26, s29
	s_add_u32 s28, s28, s29
	s_mul_hi_u32 s30, s26, s9
	s_addc_u32 s27, s27, s31
	s_addc_u32 s28, s30, 0
	s_mul_i32 s9, s26, s9
	s_add_u32 s9, s27, s9
	s_addc_u32 s27, 0, s28
	s_add_u32 s28, s8, s9
	s_cselect_b64 s[8:9], -1, 0
	s_cmp_lg_u64 s[8:9], 0
	s_addc_u32 s26, s26, s27
	s_mul_i32 s8, s17, s26
	s_mul_hi_u32 s9, s17, s28
	s_add_i32 s8, s9, s8
	s_mul_i32 s25, s25, s28
	s_add_i32 s8, s8, s25
	s_mul_i32 s17, s17, s28
	s_mul_hi_u32 s25, s26, s17
	s_mul_i32 s27, s26, s17
	s_mul_i32 s30, s28, s8
	s_mul_hi_u32 s17, s28, s17
	s_mul_hi_u32 s29, s28, s8
	s_add_u32 s17, s17, s30
	s_addc_u32 s29, 0, s29
	s_add_u32 s17, s17, s27
	s_mul_hi_u32 s9, s26, s8
	s_addc_u32 s17, s29, s25
	s_addc_u32 s9, s9, 0
	s_mul_i32 s8, s26, s8
	s_add_u32 s8, s17, s8
	s_addc_u32 s17, 0, s9
	s_add_u32 s25, s28, s8
	s_cselect_b64 s[8:9], -1, 0
	s_cmp_lg_u64 s[8:9], 0
	s_addc_u32 s17, s26, s17
	s_ashr_i32 s8, s1, 31
	s_add_u32 s26, s16, s8
	s_mov_b32 s9, s8
	s_addc_u32 s27, s1, s8
	s_xor_b64 s[26:27], s[26:27], s[8:9]
	s_mul_i32 s28, s26, s17
	s_mul_hi_u32 s29, s26, s25
	s_mul_hi_u32 s1, s26, s17
	s_add_u32 s28, s29, s28
	s_addc_u32 s1, 0, s1
	s_mul_hi_u32 s30, s27, s25
	s_mul_i32 s25, s27, s25
	s_add_u32 s25, s28, s25
	s_mul_hi_u32 s29, s27, s17
	s_addc_u32 s1, s1, s30
	s_addc_u32 s25, s29, 0
	s_mul_i32 s17, s27, s17
	s_add_u32 s1, s1, s17
	s_addc_u32 s17, 0, s25
	s_mul_i32 s25, s2, s17
	s_mul_hi_u32 s28, s2, s1
	s_add_i32 s25, s28, s25
	s_mul_i32 s28, s3, s1
	s_add_i32 s25, s25, s28
	s_sub_i32 s30, s27, s25
	s_mul_i32 s28, s2, s1
	s_sub_u32 s26, s26, s28
	s_cselect_b64 s[28:29], -1, 0
	s_cmp_lg_u64 s[28:29], 0
	s_subb_u32 s33, s30, s3
	s_sub_u32 s34, s26, s2
	s_cselect_b64 s[30:31], -1, 0
	s_cmp_lg_u64 s[30:31], 0
	s_subb_u32 s30, s33, 0
	s_cmp_ge_u32 s30, s3
	s_cselect_b32 s31, -1, 0
	s_cmp_ge_u32 s34, s2
	s_cselect_b32 s33, -1, 0
	s_cmp_eq_u32 s30, s3
	s_cselect_b32 s30, s33, s31
	s_add_u32 s31, s1, 1
	s_addc_u32 s33, s17, 0
	s_add_u32 s34, s1, 2
	s_addc_u32 s35, s17, 0
	s_cmp_lg_u32 s30, 0
	s_cselect_b32 s30, s34, s31
	s_cselect_b32 s31, s35, s33
	s_cmp_lg_u64 s[28:29], 0
	s_subb_u32 s25, s27, s25
	s_cmp_ge_u32 s25, s3
	s_cselect_b32 s27, -1, 0
	s_cmp_ge_u32 s26, s2
	s_cselect_b32 s2, -1, 0
	s_cmp_eq_u32 s25, s3
	s_cselect_b32 s2, s2, s27
	s_cmp_lg_u32 s2, 0
	s_cselect_b32 s3, s31, s17
	s_cselect_b32 s2, s30, s1
	s_xor_b64 s[8:9], s[8:9], 0
	s_xor_b64 s[2:3], s[2:3], s[8:9]
	s_sub_u32 s8, s2, s8
	s_cbranch_execnz .LBB12_11
.LBB12_10:
	s_sub_i32 s1, 0, s22
	v_readfirstlane_b32 s2, v7
	s_mul_i32 s1, s1, s2
	s_mul_hi_u32 s1, s2, s1
	s_add_i32 s2, s2, s1
	s_mul_hi_u32 s1, s16, s2
	s_mul_i32 s3, s1, s22
	s_sub_i32 s3, s16, s3
	s_add_i32 s2, s1, 1
	s_sub_i32 s8, s3, s22
	s_cmp_ge_u32 s3, s22
	s_cselect_b32 s1, s2, s1
	s_cselect_b32 s3, s8, s3
	s_add_i32 s2, s1, 1
	s_cmp_ge_u32 s3, s22
	s_cselect_b32 s8, s2, s1
.LBB12_11:
	s_cmp_lg_u32 s6, s8
	s_cbranch_scc0 .LBB12_15
; %bb.12:
	s_add_i32 s1, s21, s22
	s_lshl_b32 s1, s1, 5
	s_add_i32 s2, s1, s15
	s_mov_b32 s3, s0
	s_lshl_b64 s[2:3], s[2:3], 3
	s_add_u32 s16, s18, s2
	s_mul_hi_u32 s1, s8, s12
	s_addc_u32 s17, s19, s3
	s_add_i32 s1, s1, s8
	s_lshr_b32 s1, s1, s13
	s_mul_i32 s2, s1, s14
	s_cmp_eq_u32 s2, s8
	s_cselect_b64 s[2:3], -1, 0
	s_cmp_lt_u32 s1, s7
	s_cselect_b64 s[26:27], -1, 0
	s_or_b64 s[26:27], s[26:27], s[2:3]
	s_mov_b64 s[2:3], -1
	s_and_b64 vcc, exec, s[26:27]
	s_mov_b32 s1, s21
	s_mov_b32 s25, s6
	s_cbranch_vccnz .LBB12_14
; %bb.13:
	s_add_i32 s1, s21, -1
	s_mov_b64 s[2:3], 0
	s_mov_b32 s25, s8
.LBB12_14:
	s_mul_i32 s8, s21, 0xa00
	v_add_u32_e32 v4, s8, v6
	v_ashrrev_i32_e32 v5, 31, v4
	v_lshl_add_u64 v[4:5], v[4:5], 2, s[4:5]
	global_load_dword v5, v[4:5], off
	s_load_dwordx2 s[8:9], s[16:17], 0x0
	v_max_f32_e32 v4, v9, v9
	s_waitcnt lgkmcnt(0)
	v_max_f32_e64 v10, s8, s8
	v_max_f32_e32 v10, v4, v10
	v_sub_f32_e32 v11, v9, v10
	v_sub_f32_e32 v13, s8, v10
	v_mul_f32_e32 v4, 0x3fb8aa3b, v11
	v_mul_f32_e32 v12, 0x3fb8aa3b, v13
	v_fma_f32 v14, v11, s10, -v4
	v_rndne_f32_e32 v15, v4
	v_fma_f32 v16, v13, s10, -v12
	v_rndne_f32_e32 v17, v12
	v_fmac_f32_e32 v14, 0x32a5705f, v11
	v_sub_f32_e32 v4, v4, v15
	v_fmac_f32_e32 v16, 0x32a5705f, v13
	v_sub_f32_e32 v12, v12, v17
	v_add_f32_e32 v4, v4, v14
	v_cvt_i32_f32_e32 v15, v15
	v_add_f32_e32 v12, v12, v16
	v_exp_f32_e32 v14, v4
	v_cvt_i32_f32_e32 v17, v17
	v_exp_f32_e32 v12, v12
	v_cmp_ngt_f32_e32 vcc, s20, v11
	v_ldexp_f32 v14, v14, v15
	v_mov_b32_e32 v4, s9
	v_ldexp_f32 v12, v12, v17
	v_cndmask_b32_e32 v14, 0, v14, vcc
	v_cmp_ngt_f32_e32 vcc, s20, v13
	s_nop 1
	v_cndmask_b32_e32 v12, 0, v12, vcc
	v_cmp_nlt_f32_e32 vcc, s23, v11
	s_nop 1
	v_cndmask_b32_e32 v14, v8, v14, vcc
	v_cmp_nlt_f32_e32 vcc, s23, v13
	s_nop 1
	v_cndmask_b32_e32 v15, v8, v12, vcc
	v_cmp_le_f32_e32 vcc, s24, v11
	s_nop 1
	v_cndmask_b32_e32 v12, 0, v14, vcc
	v_cmp_le_f32_e32 vcc, s24, v13
	s_nop 1
	v_cndmask_b32_e32 v14, 0, v15, vcc
	s_waitcnt vmcnt(0)
	v_pk_mul_f32 v[4:5], v[4:5], v[14:15] op_sel_hi:[1,0]
	s_nop 0
	v_pk_fma_f32 v[4:5], v[0:1], v[12:13], v[4:5] op_sel_hi:[1,0,1]
	s_cbranch_execz .LBB12_16
	s_branch .LBB12_17
.LBB12_15:
                                        ; implicit-def: $vgpr4_vgpr5
                                        ; implicit-def: $sgpr2_sgpr3
                                        ; implicit-def: $vgpr10
                                        ; implicit-def: $sgpr1
                                        ; implicit-def: $sgpr25
.LBB12_16:
	s_add_i32 s1, s21, -1
	s_mov_b64 s[2:3], 0
	s_mov_b32 s25, s6
	v_mov_b32_e32 v10, v9
	s_waitcnt vmcnt(0)
	v_mov_b64_e32 v[4:5], v[0:1]
.LBB12_17:
	s_andn2_b64 vcc, exec, s[2:3]
	s_cbranch_vccz .LBB12_22
; %bb.18:
	s_mov_b32 s6, s25
	s_mov_b32 s21, s1
	v_mov_b32_e32 v9, v10
	s_waitcnt vmcnt(0)
	v_mov_b64_e32 v[0:1], v[4:5]
	s_mul_hi_i32 s1, s21, s11
	s_cmp_lg_u64 s[0:1], 0
	s_mul_i32 s16, s21, s11
	s_cbranch_scc1 .LBB12_9
.LBB12_19:
                                        ; implicit-def: $sgpr8_sgpr9
	s_branch .LBB12_10
.LBB12_20:
                                        ; implicit-def: $sgpr6_sgpr7
	s_load_dwordx4 s[12:15], s[0:1], 0x44
	s_branch .LBB12_2
.LBB12_21:
                                        ; implicit-def: $sgpr18_sgpr19
	s_branch .LBB12_5
.LBB12_22:
	v_div_scale_f32 v0, s[0:1], v4, v4, v5
	s_waitcnt vmcnt(0)
	v_rcp_f32_e32 v1, v0
	v_div_scale_f32 v6, vcc, v5, v4, v5
	v_fma_f32 v7, -v0, v1, 1.0
	v_fmac_f32_e32 v1, v7, v1
	v_mul_f32_e32 v7, v6, v1
	v_fma_f32 v8, -v0, v7, v6
	v_fmac_f32_e32 v7, v8, v1
	v_fma_f32 v0, -v0, v7, v6
	v_div_fmas_f32 v0, v0, v1, v7
	v_div_fixup_f32 v0, v0, v4, v5
	global_store_dword v[2:3], v0, off
.LBB12_23:
	s_endpgm
	.section	.rodata,"a",@progbits
	.p2align	6, 0x0
	.amdhsa_kernel _ZL33flash_attn_stream_k_fixup_generalILi80ELi4ELi8EEvPfPK15HIP_vector_typeIfLj2EEiiiiS1_IjLj3EES5_S5_S5_
		.amdhsa_group_segment_fixed_size 0
		.amdhsa_private_segment_fixed_size 0
		.amdhsa_kernarg_size 336
		.amdhsa_user_sgpr_count 2
		.amdhsa_user_sgpr_dispatch_ptr 0
		.amdhsa_user_sgpr_queue_ptr 0
		.amdhsa_user_sgpr_kernarg_segment_ptr 1
		.amdhsa_user_sgpr_dispatch_id 0
		.amdhsa_user_sgpr_kernarg_preload_length 0
		.amdhsa_user_sgpr_kernarg_preload_offset 0
		.amdhsa_user_sgpr_private_segment_size 0
		.amdhsa_uses_dynamic_stack 0
		.amdhsa_enable_private_segment 0
		.amdhsa_system_sgpr_workgroup_id_x 1
		.amdhsa_system_sgpr_workgroup_id_y 1
		.amdhsa_system_sgpr_workgroup_id_z 1
		.amdhsa_system_sgpr_workgroup_info 0
		.amdhsa_system_vgpr_workitem_id 0
		.amdhsa_next_free_vgpr 18
		.amdhsa_next_free_sgpr 36
		.amdhsa_accum_offset 20
		.amdhsa_reserve_vcc 1
		.amdhsa_float_round_mode_32 0
		.amdhsa_float_round_mode_16_64 0
		.amdhsa_float_denorm_mode_32 3
		.amdhsa_float_denorm_mode_16_64 3
		.amdhsa_dx10_clamp 1
		.amdhsa_ieee_mode 1
		.amdhsa_fp16_overflow 0
		.amdhsa_tg_split 0
		.amdhsa_exception_fp_ieee_invalid_op 0
		.amdhsa_exception_fp_denorm_src 0
		.amdhsa_exception_fp_ieee_div_zero 0
		.amdhsa_exception_fp_ieee_overflow 0
		.amdhsa_exception_fp_ieee_underflow 0
		.amdhsa_exception_fp_ieee_inexact 0
		.amdhsa_exception_int_div_zero 0
	.end_amdhsa_kernel
	.section	.text._ZL33flash_attn_stream_k_fixup_generalILi80ELi4ELi8EEvPfPK15HIP_vector_typeIfLj2EEiiiiS1_IjLj3EES5_S5_S5_,"axG",@progbits,_ZL33flash_attn_stream_k_fixup_generalILi80ELi4ELi8EEvPfPK15HIP_vector_typeIfLj2EEiiiiS1_IjLj3EES5_S5_S5_,comdat
.Lfunc_end12:
	.size	_ZL33flash_attn_stream_k_fixup_generalILi80ELi4ELi8EEvPfPK15HIP_vector_typeIfLj2EEiiiiS1_IjLj3EES5_S5_S5_, .Lfunc_end12-_ZL33flash_attn_stream_k_fixup_generalILi80ELi4ELi8EEvPfPK15HIP_vector_typeIfLj2EEiiiiS1_IjLj3EES5_S5_S5_
                                        ; -- End function
	.set _ZL33flash_attn_stream_k_fixup_generalILi80ELi4ELi8EEvPfPK15HIP_vector_typeIfLj2EEiiiiS1_IjLj3EES5_S5_S5_.num_vgpr, 18
	.set _ZL33flash_attn_stream_k_fixup_generalILi80ELi4ELi8EEvPfPK15HIP_vector_typeIfLj2EEiiiiS1_IjLj3EES5_S5_S5_.num_agpr, 0
	.set _ZL33flash_attn_stream_k_fixup_generalILi80ELi4ELi8EEvPfPK15HIP_vector_typeIfLj2EEiiiiS1_IjLj3EES5_S5_S5_.numbered_sgpr, 36
	.set _ZL33flash_attn_stream_k_fixup_generalILi80ELi4ELi8EEvPfPK15HIP_vector_typeIfLj2EEiiiiS1_IjLj3EES5_S5_S5_.num_named_barrier, 0
	.set _ZL33flash_attn_stream_k_fixup_generalILi80ELi4ELi8EEvPfPK15HIP_vector_typeIfLj2EEiiiiS1_IjLj3EES5_S5_S5_.private_seg_size, 0
	.set _ZL33flash_attn_stream_k_fixup_generalILi80ELi4ELi8EEvPfPK15HIP_vector_typeIfLj2EEiiiiS1_IjLj3EES5_S5_S5_.uses_vcc, 1
	.set _ZL33flash_attn_stream_k_fixup_generalILi80ELi4ELi8EEvPfPK15HIP_vector_typeIfLj2EEiiiiS1_IjLj3EES5_S5_S5_.uses_flat_scratch, 0
	.set _ZL33flash_attn_stream_k_fixup_generalILi80ELi4ELi8EEvPfPK15HIP_vector_typeIfLj2EEiiiiS1_IjLj3EES5_S5_S5_.has_dyn_sized_stack, 0
	.set _ZL33flash_attn_stream_k_fixup_generalILi80ELi4ELi8EEvPfPK15HIP_vector_typeIfLj2EEiiiiS1_IjLj3EES5_S5_S5_.has_recursion, 0
	.set _ZL33flash_attn_stream_k_fixup_generalILi80ELi4ELi8EEvPfPK15HIP_vector_typeIfLj2EEiiiiS1_IjLj3EES5_S5_S5_.has_indirect_call, 0
	.section	.AMDGPU.csdata,"",@progbits
; Kernel info:
; codeLenInByte = 2944
; TotalNumSgprs: 42
; NumVgprs: 18
; NumAgprs: 0
; TotalNumVgprs: 18
; ScratchSize: 0
; MemoryBound: 0
; FloatMode: 240
; IeeeMode: 1
; LDSByteSize: 0 bytes/workgroup (compile time only)
; SGPRBlocks: 5
; VGPRBlocks: 2
; NumSGPRsForWavesPerEU: 42
; NumVGPRsForWavesPerEU: 18
; AccumOffset: 20
; Occupancy: 8
; WaveLimiterHint : 0
; COMPUTE_PGM_RSRC2:SCRATCH_EN: 0
; COMPUTE_PGM_RSRC2:USER_SGPR: 2
; COMPUTE_PGM_RSRC2:TRAP_HANDLER: 0
; COMPUTE_PGM_RSRC2:TGID_X_EN: 1
; COMPUTE_PGM_RSRC2:TGID_Y_EN: 1
; COMPUTE_PGM_RSRC2:TGID_Z_EN: 1
; COMPUTE_PGM_RSRC2:TIDIG_COMP_CNT: 0
; COMPUTE_PGM_RSRC3_GFX90A:ACCUM_OFFSET: 4
; COMPUTE_PGM_RSRC3_GFX90A:TG_SPLIT: 0
	.section	.text._ZL26flash_attn_combine_resultsILi80EEvPKfPK15HIP_vector_typeIfLj2EEPfi,"axG",@progbits,_ZL26flash_attn_combine_resultsILi80EEvPKfPK15HIP_vector_typeIfLj2EEPfi,comdat
	.globl	_ZL26flash_attn_combine_resultsILi80EEvPKfPK15HIP_vector_typeIfLj2EEPfi ; -- Begin function _ZL26flash_attn_combine_resultsILi80EEvPKfPK15HIP_vector_typeIfLj2EEPfi
	.p2align	8
	.type	_ZL26flash_attn_combine_resultsILi80EEvPKfPK15HIP_vector_typeIfLj2EEPfi,@function
_ZL26flash_attn_combine_resultsILi80EEvPKfPK15HIP_vector_typeIfLj2EEPfi: ; @_ZL26flash_attn_combine_resultsILi80EEvPKfPK15HIP_vector_typeIfLj2EEPfi
; %bb.0:
	s_load_dwordx2 s[6:7], s[0:1], 0x20
	s_load_dword s23, s[0:1], 0x18
	s_load_dwordx4 s[16:19], s[0:1], 0x0
	s_load_dwordx2 s[14:15], s[0:1], 0x10
	s_waitcnt lgkmcnt(0)
	s_mul_i32 s0, s6, s4
	s_add_i32 s0, s0, s2
	s_mul_i32 s22, s0, s7
	s_add_i32 s22, s22, s3
	s_lshl_b32 s12, s23, 1
	s_mul_i32 s2, s22, s23
	v_cmp_gt_i32_e32 vcc, s12, v0
	s_and_saveexec_b64 s[0:1], vcc
	s_cbranch_execz .LBB13_13
; %bb.1:
	v_xad_u32 v1, v0, -1, s12
	s_movk_i32 s4, 0x4f
	s_ashr_i32 s3, s2, 31
	v_cmp_lt_u32_e32 vcc, s4, v1
	s_mov_b64 s[6:7], -1
	v_mov_b32_e32 v2, v0
	s_and_saveexec_b64 s[4:5], vcc
	s_cbranch_execz .LBB13_10
; %bb.2:
	s_mov_b32 s6, 0xcccccccd
	v_mul_hi_u32 v1, v1, s6
	v_lshrrev_b32_e32 v6, 6, v1
	s_lshl_b64 s[6:7], s[2:3], 3
	v_add_u32_e32 v2, -1, v6
	s_add_u32 s6, s18, s6
	v_add_u32_e32 v1, 0x50, v0
	v_lshrrev_b32_e32 v3, 1, v2
	s_addc_u32 s7, s19, s7
	v_add_u32_e32 v7, 1, v3
	v_cmp_lt_u32_e32 vcc, 13, v2
	v_mov_b32_e32 v4, 0
	v_mov_b64_e32 v[2:3], v[0:1]
	s_and_saveexec_b64 s[8:9], vcc
	s_cbranch_execz .LBB13_6
; %bb.3:
	v_and_b32_e32 v8, -8, v7
	s_mov_b32 s13, 0
	v_lshl_add_u32 v9, v0, 2, 0
	s_mov_b64 s[10:11], 0
	v_mov_b32_e32 v5, 0
	v_mov_b64_e32 v[2:3], v[0:1]
.LBB13_4:                               ; =>This Inner Loop Header: Depth=1
	v_mov_b32_e32 v4, v2
	v_lshl_add_u64 v[24:25], v[4:5], 2, s[6:7]
	v_mov_b32_e32 v4, v3
	v_add_u32_e32 v10, 0xa0, v3
	v_mov_b32_e32 v11, v5
	v_lshl_add_u64 v[26:27], v[4:5], 2, s[6:7]
	v_add_u32_e32 v4, 0xa0, v2
	v_lshl_add_u64 v[10:11], v[10:11], 2, s[6:7]
	global_load_dword v1, v[24:25], off
	v_lshl_add_u64 v[24:25], v[4:5], 2, s[6:7]
	v_add_u32_e32 v4, 0x140, v2
	global_load_dword v28, v[26:27], off
	global_load_dword v29, v[24:25], off
	global_load_dword v30, v[10:11], off
	v_lshl_add_u64 v[10:11], v[4:5], 2, s[6:7]
	v_add_u32_e32 v4, 0x1e0, v2
	v_add_u32_e32 v12, 0x140, v3
	v_mov_b32_e32 v13, v5
	v_add_u32_e32 v14, 0x1e0, v3
	v_mov_b32_e32 v15, v5
	v_lshl_add_u64 v[24:25], v[4:5], 2, s[6:7]
	v_add_u32_e32 v4, 0x280, v2
	v_lshl_add_u64 v[12:13], v[12:13], 2, s[6:7]
	v_lshl_add_u64 v[14:15], v[14:15], 2, s[6:7]
	global_load_dword v26, v[10:11], off
	global_load_dword v27, v[12:13], off
	;; [unrolled: 1-line block ×4, first 2 shown]
	v_lshl_add_u64 v[10:11], v[4:5], 2, s[6:7]
	v_add_u32_e32 v4, 0x320, v2
	v_add_u32_e32 v16, 0x280, v3
	v_mov_b32_e32 v17, v5
	v_add_u32_e32 v18, 0x320, v3
	v_mov_b32_e32 v19, v5
	v_lshl_add_u64 v[12:13], v[4:5], 2, s[6:7]
	v_add_u32_e32 v4, 0x3c0, v2
	v_add_u32_e32 v20, 0x3c0, v3
	v_mov_b32_e32 v21, v5
	v_add_u32_e32 v22, 0x460, v3
	v_mov_b32_e32 v23, v5
	v_lshl_add_u64 v[16:17], v[16:17], 2, s[6:7]
	v_lshl_add_u64 v[18:19], v[18:19], 2, s[6:7]
	global_load_dword v14, v[10:11], off
	global_load_dword v15, v[16:17], off
	;; [unrolled: 1-line block ×4, first 2 shown]
	v_lshl_add_u64 v[10:11], v[4:5], 2, s[6:7]
	v_add_u32_e32 v4, 0x460, v2
	v_lshl_add_u64 v[20:21], v[20:21], 2, s[6:7]
	v_lshl_add_u64 v[22:23], v[22:23], 2, s[6:7]
	;; [unrolled: 1-line block ×3, first 2 shown]
	global_load_dword v16, v[10:11], off
	global_load_dword v17, v[20:21], off
	;; [unrolled: 1-line block ×4, first 2 shown]
	v_add_u32_e32 v8, -8, v8
	s_add_i32 s13, s13, 16
	v_cmp_eq_u32_e32 vcc, 0, v8
	v_add_u32_e32 v10, 0x400, v9
	v_add_u32_e32 v11, 0x600, v9
	;; [unrolled: 1-line block ×7, first 2 shown]
	v_mov_b32_e32 v4, s13
	s_or_b64 s[10:11], vcc, s[10:11]
	v_add_u32_e32 v2, 0x500, v2
	s_waitcnt vmcnt(14)
	ds_write2_b32 v9, v1, v28 offset1:80
	s_waitcnt vmcnt(12)
	ds_write2_b32 v9, v29, v30 offset0:160 offset1:240
	v_add_u32_e32 v9, 0x1400, v9
	s_waitcnt vmcnt(10)
	ds_write2_b32 v10, v26, v27 offset0:64 offset1:144
	s_waitcnt vmcnt(8)
	ds_write2_b32 v11, v31, v32 offset0:96 offset1:176
	;; [unrolled: 2-line block ×6, first 2 shown]
	s_andn2_b64 exec, exec, s[10:11]
	s_cbranch_execnz .LBB13_4
; %bb.5:
	s_or_b64 exec, exec, s[10:11]
.LBB13_6:
	s_or_b64 exec, exec, s[8:9]
	v_and_b32_e32 v1, 7, v7
	v_cmp_ne_u32_e32 vcc, 0, v1
	s_and_saveexec_b64 s[8:9], vcc
	s_cbranch_execz .LBB13_9
; %bb.7:
	s_movk_i32 s10, 0x140
	v_mul_lo_u32 v4, v4, s10
	v_lshlrev_b32_e32 v5, 2, v0
	v_add3_u32 v7, v4, v5, 0
	s_mov_b64 s[10:11], 0
	v_mov_b32_e32 v5, 0
.LBB13_8:                               ; =>This Inner Loop Header: Depth=1
	v_mov_b32_e32 v4, v2
	v_lshl_add_u64 v[8:9], v[4:5], 2, s[6:7]
	v_mov_b32_e32 v4, v3
	v_lshl_add_u64 v[10:11], v[4:5], 2, s[6:7]
	global_load_dword v4, v[8:9], off
	global_load_dword v12, v[10:11], off
	v_add_u32_e32 v1, -1, v1
	v_cmp_eq_u32_e32 vcc, 0, v1
	v_add_u32_e32 v2, 0xa0, v2
	v_add_u32_e32 v3, 0xa0, v3
	s_or_b64 s[10:11], vcc, s[10:11]
	s_waitcnt vmcnt(0)
	ds_write2_b32 v7, v4, v12 offset1:80
	v_add_u32_e32 v7, 0x280, v7
	s_andn2_b64 exec, exec, s[10:11]
	s_cbranch_execnz .LBB13_8
.LBB13_9:
	s_or_b64 exec, exec, s[8:9]
	v_add_u32_e32 v1, 1, v6
	v_and_b32_e32 v4, 0x7fffffe, v1
	s_movk_i32 s6, 0x50
	v_mad_u64_u32 v[2:3], s[6:7], v4, s6, v[0:1]
	v_cmp_ne_u32_e32 vcc, v1, v4
	s_orn2_b64 s[6:7], vcc, exec
.LBB13_10:
	s_or_b64 exec, exec, s[4:5]
	s_and_b64 exec, exec, s[6:7]
	s_cbranch_execz .LBB13_13
; %bb.11:
	s_lshl_b64 s[4:5], s[2:3], 3
	s_add_u32 s4, s18, s4
	v_mov_b32_e32 v3, 0
	s_addc_u32 s5, s19, s5
	v_lshl_add_u64 v[4:5], v[2:3], 2, s[4:5]
	v_lshl_add_u32 v1, v2, 2, 0
	s_mov_b64 s[4:5], 0
	s_mov_b64 s[6:7], 0x140
.LBB13_12:                              ; =>This Inner Loop Header: Depth=1
	global_load_dword v3, v[4:5], off
	v_add_u32_e32 v2, 0x50, v2
	v_cmp_le_i32_e32 vcc, s12, v2
	v_lshl_add_u64 v[4:5], v[4:5], 0, s[6:7]
	s_or_b64 s[4:5], vcc, s[4:5]
	s_waitcnt vmcnt(0)
	ds_write_b32 v1, v3
	v_add_u32_e32 v1, 0x140, v1
	s_andn2_b64 exec, exec, s[4:5]
	s_cbranch_execnz .LBB13_12
.LBB13_13:
	s_or_b64 exec, exec, s[0:1]
	v_mov_b32_e32 v1, 0
	s_waitcnt lgkmcnt(0)
	s_barrier
	ds_read_b32 v1, v1
	s_cmp_lt_i32 s23, 2
	s_cbranch_scc1 .LBB13_21
; %bb.14:
	s_cmp_eq_u32 s23, 2
	s_cbranch_scc1 .LBB13_18
; %bb.15:
	s_add_i32 s3, s23, -1
	s_and_b32 s4, s3, -2
	s_add_i32 s6, 0, 8
	s_mov_b32 s5, 2
	s_waitcnt lgkmcnt(0)
	v_mov_b32_e32 v4, v1
.LBB13_16:                              ; =>This Inner Loop Header: Depth=1
	v_mov_b32_e32 v2, v1
	v_mov_b32_e32 v1, s6
	v_mov_b32_e32 v3, v4
	ds_read2_b32 v[4:5], v1 offset1:2
	s_cmp_lg_u32 s4, s5
	s_cselect_b64 s[8:9], -1, 0
	v_max_f32_e32 v1, v3, v3
	v_max_f32_e32 v6, v2, v2
	s_waitcnt lgkmcnt(0)
	v_cmp_u_f32_e32 vcc, v5, v5
	v_max_f32_e32 v7, v5, v5
	v_max_f32_e32 v8, v4, v4
	v_cndmask_b32_e64 v5, 0, 1, vcc
	v_cmp_u_f32_e32 vcc, v4, v4
	v_readfirstlane_b32 s0, v5
	s_lshl_b32 s0, s0, 1
	v_cndmask_b32_e64 v9, 0, 1, vcc
	v_max_f32_e32 v4, v1, v7
	v_readfirstlane_b32 s1, v9
	s_or_b32 s0, s1, s0
	s_and_b32 s7, s0, 3
	s_cmp_lg_u32 s7, 0
	s_cselect_b64 s[0:1], -1, 0
	s_cmp_eq_u32 s7, 0
	s_cselect_b64 s[10:11], -1, 0
	s_and_b64 s[8:9], s[10:11], s[8:9]
	v_max_f32_e32 v1, v6, v8
	s_add_i32 s5, s5, 2
	s_add_i32 s6, s6, 16
	s_and_b64 vcc, exec, s[8:9]
	s_cbranch_vccnz .LBB13_16
; %bb.17:
	s_add_i32 s5, s5, -4
	s_and_b64 s[6:7], s[0:1], exec
	s_cselect_b32 s5, s5, s3
	s_or_b32 s5, s5, 1
	v_cndmask_b32_e64 v1, v1, v2, s[0:1]
	v_cndmask_b32_e64 v2, v4, v3, s[0:1]
	s_cmp_lg_u32 s3, s4
	v_max_f32_e32 v2, v2, v2
	v_max_f32_e32 v1, v1, v1
	s_cselect_b64 s[6:7], -1, 0
	v_max_f32_e32 v1, v1, v2
	s_or_b64 s[0:1], s[6:7], s[0:1]
	s_and_b64 vcc, exec, s[0:1]
	s_cbranch_vccnz .LBB13_19
	s_branch .LBB13_21
.LBB13_18:
	s_mov_b32 s5, 1
	s_cbranch_execz .LBB13_21
.LBB13_19:
	s_lshl_b32 s1, s5, 3
	s_sub_i32 s0, s23, s5
	s_add_i32 s1, s1, 0
.LBB13_20:                              ; =>This Inner Loop Header: Depth=1
	v_mov_b32_e32 v2, s1
	ds_read_b32 v2, v2
	s_waitcnt lgkmcnt(1)
	v_max_f32_e32 v1, v1, v1
	s_add_i32 s0, s0, -1
	s_add_i32 s1, s1, 8
	s_cmp_eq_u32 s0, 0
	s_waitcnt lgkmcnt(0)
	v_max_f32_e32 v2, v2, v2
	v_max_f32_e32 v1, v1, v2
	s_cbranch_scc0 .LBB13_20
.LBB13_21:
	s_cmp_lt_i32 s23, 1
	s_cbranch_scc1 .LBB13_26
; %bb.22:
	s_mul_i32 s18, s2, 0x50
	s_ashr_i32 s19, s18, 31
	s_cmp_lt_u32 s23, 8
	s_cbranch_scc1 .LBB13_27
; %bb.23:
	s_lshl_b64 s[0:1], s[18:19], 2
	s_add_u32 s20, s16, s0
	v_mov_b32_e32 v7, 0
	s_addc_u32 s21, s17, s1
	s_and_b32 s24, s23, 0x7ffffff8
	v_add_u32_e32 v4, 0x140, v0
	s_mov_b32 s25, 0
	s_mov_b32 s26, 0x3fb8aa3b
	;; [unrolled: 1-line block ×4, first 2 shown]
	v_mov_b32_e32 v8, 0x7f800000
	s_mov_b32 s29, 0
	v_mov_b32_e32 v2, v7
	v_mov_b32_e32 v3, v7
.LBB13_24:                              ; =>This Inner Loop Header: Depth=1
	v_add_u32_e32 v6, 0xfffffec0, v4
	v_mov_b32_e32 v9, s25
	v_lshl_add_u64 v[26:27], v[6:7], 2, s[20:21]
	v_add_u32_e32 v6, 0xffffff10, v4
	ds_read2_b64 v[10:13], v9 offset1:1
	ds_read2_b64 v[14:17], v9 offset0:2 offset1:3
	ds_read2_b64 v[18:21], v9 offset0:4 offset1:5
	;; [unrolled: 1-line block ×3, first 2 shown]
	v_lshl_add_u64 v[30:31], v[6:7], 2, s[20:21]
	v_add_u32_e32 v6, 0xffffff60, v4
	global_load_dword v33, v[26:27], off
	global_load_dword v35, v[30:31], off
	v_lshl_add_u64 v[26:27], v[6:7], 2, s[20:21]
	v_add_u32_e32 v6, 0xffffffb0, v4
	v_mov_b32_e32 v5, v7
	v_lshl_add_u64 v[30:31], v[6:7], 2, s[20:21]
	v_add_u32_e32 v6, 0x50, v4
	v_lshl_add_u64 v[28:29], v[4:5], 2, s[20:21]
	global_load_dword v37, v[26:27], off
	global_load_dword v39, v[30:31], off
	;; [unrolled: 1-line block ×3, first 2 shown]
	v_lshl_add_u64 v[26:27], v[6:7], 2, s[20:21]
	v_add_u32_e32 v6, 0xa0, v4
	s_waitcnt lgkmcnt(3)
	v_mov_b32_e32 v32, v11
	v_sub_f32_e32 v9, v12, v1
	v_mov_b32_e32 v34, v13
	global_load_dword v11, v[26:27], off
	v_lshl_add_u64 v[12:13], v[6:7], 2, s[20:21]
	v_add_u32_e32 v6, 0xf0, v4
	s_waitcnt lgkmcnt(2)
	v_mov_b32_e32 v36, v15
	global_load_dword v15, v[12:13], off
	v_lshl_add_u64 v[12:13], v[6:7], 2, s[20:21]
	v_mov_b32_e32 v38, v17
	global_load_dword v17, v[12:13], off
	v_sub_f32_e32 v5, v10, v1
	s_waitcnt lgkmcnt(1)
	v_mov_b32_e32 v40, v19
	v_sub_f32_e32 v19, v20, v1
	s_waitcnt lgkmcnt(0)
	v_sub_f32_e32 v20, v22, v1
	v_mul_f32_e32 v22, 0x3fb8aa3b, v5
	v_sub_f32_e32 v28, v14, v1
	v_sub_f32_e32 v29, v16, v1
	v_mov_b32_e32 v14, v23
	v_mul_f32_e32 v23, 0x3fb8aa3b, v9
	v_fma_f32 v6, v5, s26, -v22
	v_rndne_f32_e32 v42, v22
	v_sub_f32_e32 v18, v18, v1
	v_mov_b32_e32 v10, v21
	v_sub_f32_e32 v21, v24, v1
	v_mov_b32_e32 v16, v25
	v_mul_f32_e32 v24, 0x3fb8aa3b, v28
	v_mul_f32_e32 v25, 0x3fb8aa3b, v29
	v_fma_f32 v43, v9, s26, -v23
	v_rndne_f32_e32 v44, v23
	v_fmac_f32_e32 v6, 0x32a5705f, v5
	v_sub_f32_e32 v12, v22, v42
	v_mul_f32_e32 v26, 0x3fb8aa3b, v18
	v_mul_f32_e32 v27, 0x3fb8aa3b, v19
	;; [unrolled: 1-line block ×3, first 2 shown]
	v_fma_f32 v45, v28, s26, -v24
	v_rndne_f32_e32 v46, v24
	v_fma_f32 v47, v29, s26, -v25
	v_rndne_f32_e32 v48, v25
	v_fmac_f32_e32 v43, 0x32a5705f, v9
	v_sub_f32_e32 v22, v23, v44
	v_add_f32_e32 v6, v12, v6
	v_fma_f32 v49, v18, s26, -v26
	v_rndne_f32_e32 v50, v26
	v_fma_f32 v51, v19, s26, -v27
	v_rndne_f32_e32 v52, v27
	;; [unrolled: 2-line block ×3, first 2 shown]
	v_cvt_i32_f32_e32 v13, v42
	v_fmac_f32_e32 v45, 0x32a5705f, v28
	v_sub_f32_e32 v24, v24, v46
	v_fmac_f32_e32 v47, 0x32a5705f, v29
	v_sub_f32_e32 v25, v25, v48
	v_add_f32_e32 v12, v22, v43
	v_exp_f32_e32 v6, v6
	v_cvt_i32_f32_e32 v23, v44
	v_fmac_f32_e32 v49, 0x32a5705f, v18
	v_sub_f32_e32 v26, v26, v50
	v_fmac_f32_e32 v51, 0x32a5705f, v19
	v_sub_f32_e32 v27, v27, v52
	;; [unrolled: 2-line block ×3, first 2 shown]
	v_add_f32_e32 v22, v24, v45
	v_add_f32_e32 v24, v25, v47
	v_exp_f32_e32 v12, v12
	v_mul_f32_e32 v31, 0x3fb8aa3b, v21
	v_cvt_i32_f32_e32 v42, v46
	v_cvt_i32_f32_e32 v44, v48
	v_add_f32_e32 v25, v26, v49
	v_add_f32_e32 v26, v27, v51
	;; [unrolled: 1-line block ×3, first 2 shown]
	v_exp_f32_e32 v22, v22
	v_exp_f32_e32 v24, v24
	v_fma_f32 v55, v21, s26, -v31
	v_rndne_f32_e32 v56, v31
	v_cvt_i32_f32_e32 v46, v50
	v_cvt_i32_f32_e32 v48, v52
	;; [unrolled: 1-line block ×3, first 2 shown]
	v_exp_f32_e32 v25, v25
	v_exp_f32_e32 v26, v26
	;; [unrolled: 1-line block ×3, first 2 shown]
	v_fmac_f32_e32 v55, 0x32a5705f, v21
	v_sub_f32_e32 v31, v31, v56
	v_ldexp_f32 v6, v6, v13
	v_cmp_ngt_f32_e64 s[12:13], s27, v5
	v_add_f32_e32 v30, v31, v55
	v_ldexp_f32 v12, v12, v23
	v_cmp_ngt_f32_e32 vcc, s27, v9
	v_cndmask_b32_e64 v6, 0, v6, s[12:13]
	v_cmp_nlt_f32_e64 s[12:13], s28, v5
	v_cvt_i32_f32_e32 v52, v56
	v_exp_f32_e32 v30, v30
	v_ldexp_f32 v13, v22, v42
	v_cmp_ngt_f32_e64 s[0:1], s27, v28
	v_ldexp_f32 v22, v24, v44
	v_cmp_ngt_f32_e64 s[2:3], s27, v29
	v_cndmask_b32_e32 v12, 0, v12, vcc
	v_cmp_nlt_f32_e32 vcc, s28, v9
	v_cndmask_b32_e64 v6, v8, v6, s[12:13]
	v_ldexp_f32 v23, v25, v46
	v_cmp_ngt_f32_e64 s[4:5], s27, v18
	v_ldexp_f32 v24, v26, v48
	v_cmp_ngt_f32_e64 s[6:7], s27, v19
	;; [unrolled: 2-line block ×3, first 2 shown]
	v_cndmask_b32_e64 v9, 0, v13, s[0:1]
	v_cmp_nlt_f32_e64 s[0:1], s28, v28
	v_cndmask_b32_e64 v13, 0, v22, s[2:3]
	v_cndmask_b32_e32 v12, v8, v12, vcc
	s_waitcnt vmcnt(7)
	v_pk_fma_f32 v[2:3], v[6:7], v[32:33], v[2:3] op_sel_hi:[0,1,1]
	v_cmp_nlt_f32_e64 s[2:3], s28, v29
	v_cndmask_b32_e64 v22, 0, v23, s[4:5]
	v_cmp_nlt_f32_e64 s[4:5], s28, v18
	v_cndmask_b32_e64 v23, 0, v24, s[6:7]
	;; [unrolled: 2-line block ×3, first 2 shown]
	v_cndmask_b32_e64 v18, v8, v9, s[0:1]
	s_waitcnt vmcnt(6)
	v_pk_fma_f32 v[2:3], v[12:13], v[34:35], v[2:3] op_sel_hi:[0,1,1]
	v_cmp_nlt_f32_e64 s[8:9], s28, v20
	v_cndmask_b32_e64 v20, v8, v13, s[2:3]
	s_waitcnt vmcnt(5)
	v_pk_fma_f32 v[2:3], v[18:19], v[36:37], v[2:3] op_sel_hi:[0,1,1]
	v_ldexp_f32 v26, v30, v52
	v_cmp_ngt_f32_e64 s[10:11], s27, v21
	v_cndmask_b32_e64 v22, v8, v22, s[4:5]
	s_waitcnt vmcnt(4)
	v_pk_fma_f32 v[2:3], v[20:21], v[38:39], v[2:3] op_sel_hi:[0,1,1]
	v_cndmask_b32_e64 v25, 0, v26, s[10:11]
	v_cndmask_b32_e64 v24, v8, v23, s[6:7]
	s_waitcnt vmcnt(3)
	v_pk_fma_f32 v[2:3], v[22:23], v[40:41], v[2:3] op_sel_hi:[0,1,1]
	v_cmp_nlt_f32_e64 s[10:11], s28, v21
	v_cndmask_b32_e64 v26, v8, v19, s[8:9]
	s_waitcnt vmcnt(2)
	v_pk_fma_f32 v[2:3], v[24:25], v[10:11], v[2:3] op_sel_hi:[0,1,1]
	s_add_i32 s29, s29, 8
	s_add_i32 s25, s25, 64
	v_cndmask_b32_e64 v28, v8, v25, s[10:11]
	s_waitcnt vmcnt(1)
	v_pk_fma_f32 v[2:3], v[26:27], v[14:15], v[2:3] op_sel_hi:[0,1,1]
	s_cmp_eq_u32 s24, s29
	v_add_u32_e32 v4, 0x280, v4
	s_waitcnt vmcnt(0)
	v_pk_fma_f32 v[2:3], v[28:29], v[16:17], v[2:3] op_sel_hi:[0,1,1]
	s_cbranch_scc0 .LBB13_24
; %bb.25:
	s_and_b32 s2, s23, 7
	s_cmp_eq_u32 s2, 0
	s_cbranch_scc0 .LBB13_28
	s_branch .LBB13_30
.LBB13_26:
	s_waitcnt lgkmcnt(0)
	v_mov_b32_e32 v1, 0x7fc00000
	s_branch .LBB13_31
.LBB13_27:
	v_mov_b32_e32 v2, 0
	s_mov_b32 s24, 0
	v_mov_b32_e32 v3, v2
	s_and_b32 s2, s23, 7
	s_cmp_eq_u32 s2, 0
	s_cbranch_scc1 .LBB13_30
.LBB13_28:
	s_lshl_b64 s[0:1], s[18:19], 2
	s_mul_i32 s3, s24, 0x50
	s_add_u32 s0, s16, s0
	v_add_u32_e32 v4, s3, v0
	v_mov_b32_e32 v5, 0
	s_addc_u32 s1, s17, s1
	v_lshl_add_u64 v[4:5], v[4:5], 2, s[0:1]
	s_lshl_b32 s0, s24, 3
	s_add_i32 s3, s0, 0
	s_mov_b32 s4, 0x3fb8aa3b
	s_mov_b32 s5, 0xc2ce8ed0
	;; [unrolled: 1-line block ×3, first 2 shown]
	v_mov_b32_e32 v6, 0x7f800000
	s_mov_b64 s[0:1], 0x140
.LBB13_29:                              ; =>This Inner Loop Header: Depth=1
	global_load_dword v9, v[4:5], off
	v_mov_b32_e32 v7, s3
	ds_read_b64 v[10:11], v7
	s_add_i32 s3, s3, 8
	s_add_i32 s2, s2, -1
	v_lshl_add_u64 v[4:5], v[4:5], 0, s[0:1]
	s_cmp_lg_u32 s2, 0
	s_waitcnt lgkmcnt(0)
	v_sub_f32_e32 v7, v10, v1
	v_mul_f32_e32 v8, 0x3fb8aa3b, v7
	v_fma_f32 v10, v7, s4, -v8
	v_rndne_f32_e32 v12, v8
	v_fmac_f32_e32 v10, 0x32a5705f, v7
	v_sub_f32_e32 v8, v8, v12
	v_add_f32_e32 v8, v8, v10
	v_cvt_i32_f32_e32 v12, v12
	v_exp_f32_e32 v10, v8
	v_cmp_ngt_f32_e32 vcc, s5, v7
	v_mov_b32_e32 v8, v11
	v_ldexp_f32 v10, v10, v12
	v_cndmask_b32_e32 v10, 0, v10, vcc
	v_cmp_nlt_f32_e32 vcc, s6, v7
	s_nop 1
	v_cndmask_b32_e32 v10, v6, v10, vcc
	s_waitcnt vmcnt(0)
	v_pk_fma_f32 v[2:3], v[10:11], v[8:9], v[2:3] op_sel_hi:[0,1,1]
	s_cbranch_scc1 .LBB13_29
.LBB13_30:
	s_waitcnt lgkmcnt(0)
	v_div_scale_f32 v1, s[0:1], v2, v2, v3
	v_rcp_f32_e32 v4, v1
	v_div_scale_f32 v5, vcc, v3, v2, v3
	v_fma_f32 v6, -v1, v4, 1.0
	v_fmac_f32_e32 v4, v6, v4
	v_mul_f32_e32 v6, v5, v4
	v_fma_f32 v7, -v1, v6, v5
	v_fmac_f32_e32 v6, v7, v4
	v_fma_f32 v1, -v1, v6, v5
	v_div_fmas_f32 v1, v1, v4, v6
	v_div_fixup_f32 v1, v1, v2, v3
.LBB13_31:
	s_mul_i32 s0, s22, 0x50
	s_ashr_i32 s1, s0, 31
	s_lshl_b64 s[0:1], s[0:1], 2
	s_add_u32 s0, s14, s0
	s_addc_u32 s1, s15, s1
	v_lshlrev_b32_e32 v0, 2, v0
	global_store_dword v0, v1, s[0:1]
	s_endpgm
	.section	.rodata,"a",@progbits
	.p2align	6, 0x0
	.amdhsa_kernel _ZL26flash_attn_combine_resultsILi80EEvPKfPK15HIP_vector_typeIfLj2EEPfi
		.amdhsa_group_segment_fixed_size 0
		.amdhsa_private_segment_fixed_size 0
		.amdhsa_kernarg_size 288
		.amdhsa_user_sgpr_count 2
		.amdhsa_user_sgpr_dispatch_ptr 0
		.amdhsa_user_sgpr_queue_ptr 0
		.amdhsa_user_sgpr_kernarg_segment_ptr 1
		.amdhsa_user_sgpr_dispatch_id 0
		.amdhsa_user_sgpr_kernarg_preload_length 0
		.amdhsa_user_sgpr_kernarg_preload_offset 0
		.amdhsa_user_sgpr_private_segment_size 0
		.amdhsa_uses_dynamic_stack 0
		.amdhsa_enable_private_segment 0
		.amdhsa_system_sgpr_workgroup_id_x 1
		.amdhsa_system_sgpr_workgroup_id_y 1
		.amdhsa_system_sgpr_workgroup_id_z 1
		.amdhsa_system_sgpr_workgroup_info 0
		.amdhsa_system_vgpr_workitem_id 0
		.amdhsa_next_free_vgpr 57
		.amdhsa_next_free_sgpr 30
		.amdhsa_accum_offset 60
		.amdhsa_reserve_vcc 1
		.amdhsa_float_round_mode_32 0
		.amdhsa_float_round_mode_16_64 0
		.amdhsa_float_denorm_mode_32 3
		.amdhsa_float_denorm_mode_16_64 3
		.amdhsa_dx10_clamp 1
		.amdhsa_ieee_mode 1
		.amdhsa_fp16_overflow 0
		.amdhsa_tg_split 0
		.amdhsa_exception_fp_ieee_invalid_op 0
		.amdhsa_exception_fp_denorm_src 0
		.amdhsa_exception_fp_ieee_div_zero 0
		.amdhsa_exception_fp_ieee_overflow 0
		.amdhsa_exception_fp_ieee_underflow 0
		.amdhsa_exception_fp_ieee_inexact 0
		.amdhsa_exception_int_div_zero 0
	.end_amdhsa_kernel
	.section	.text._ZL26flash_attn_combine_resultsILi80EEvPKfPK15HIP_vector_typeIfLj2EEPfi,"axG",@progbits,_ZL26flash_attn_combine_resultsILi80EEvPKfPK15HIP_vector_typeIfLj2EEPfi,comdat
.Lfunc_end13:
	.size	_ZL26flash_attn_combine_resultsILi80EEvPKfPK15HIP_vector_typeIfLj2EEPfi, .Lfunc_end13-_ZL26flash_attn_combine_resultsILi80EEvPKfPK15HIP_vector_typeIfLj2EEPfi
                                        ; -- End function
	.set _ZL26flash_attn_combine_resultsILi80EEvPKfPK15HIP_vector_typeIfLj2EEPfi.num_vgpr, 57
	.set _ZL26flash_attn_combine_resultsILi80EEvPKfPK15HIP_vector_typeIfLj2EEPfi.num_agpr, 0
	.set _ZL26flash_attn_combine_resultsILi80EEvPKfPK15HIP_vector_typeIfLj2EEPfi.numbered_sgpr, 30
	.set _ZL26flash_attn_combine_resultsILi80EEvPKfPK15HIP_vector_typeIfLj2EEPfi.num_named_barrier, 0
	.set _ZL26flash_attn_combine_resultsILi80EEvPKfPK15HIP_vector_typeIfLj2EEPfi.private_seg_size, 0
	.set _ZL26flash_attn_combine_resultsILi80EEvPKfPK15HIP_vector_typeIfLj2EEPfi.uses_vcc, 1
	.set _ZL26flash_attn_combine_resultsILi80EEvPKfPK15HIP_vector_typeIfLj2EEPfi.uses_flat_scratch, 0
	.set _ZL26flash_attn_combine_resultsILi80EEvPKfPK15HIP_vector_typeIfLj2EEPfi.has_dyn_sized_stack, 0
	.set _ZL26flash_attn_combine_resultsILi80EEvPKfPK15HIP_vector_typeIfLj2EEPfi.has_recursion, 0
	.set _ZL26flash_attn_combine_resultsILi80EEvPKfPK15HIP_vector_typeIfLj2EEPfi.has_indirect_call, 0
	.section	.AMDGPU.csdata,"",@progbits
; Kernel info:
; codeLenInByte = 3032
; TotalNumSgprs: 36
; NumVgprs: 57
; NumAgprs: 0
; TotalNumVgprs: 57
; ScratchSize: 0
; MemoryBound: 0
; FloatMode: 240
; IeeeMode: 1
; LDSByteSize: 0 bytes/workgroup (compile time only)
; SGPRBlocks: 4
; VGPRBlocks: 7
; NumSGPRsForWavesPerEU: 36
; NumVGPRsForWavesPerEU: 57
; AccumOffset: 60
; Occupancy: 8
; WaveLimiterHint : 0
; COMPUTE_PGM_RSRC2:SCRATCH_EN: 0
; COMPUTE_PGM_RSRC2:USER_SGPR: 2
; COMPUTE_PGM_RSRC2:TRAP_HANDLER: 0
; COMPUTE_PGM_RSRC2:TGID_X_EN: 1
; COMPUTE_PGM_RSRC2:TGID_Y_EN: 1
; COMPUTE_PGM_RSRC2:TGID_Z_EN: 1
; COMPUTE_PGM_RSRC2:TIDIG_COMP_CNT: 0
; COMPUTE_PGM_RSRC3_GFX90A:ACCUM_OFFSET: 14
; COMPUTE_PGM_RSRC3_GFX90A:TG_SPLIT: 0
	.section	.text._ZL18flash_attn_ext_f16ILi96ELi96ELi4ELi8ELb0ELb0EEvPKcS1_S1_S1_S1_PKiPfP15HIP_vector_typeIfLj2EEffffjfiS5_IjLj3EEiiiiiiiiiiiliiliiiiil,"axG",@progbits,_ZL18flash_attn_ext_f16ILi96ELi96ELi4ELi8ELb0ELb0EEvPKcS1_S1_S1_S1_PKiPfP15HIP_vector_typeIfLj2EEffffjfiS5_IjLj3EEiiiiiiiiiiiliiliiiiil,comdat
	.globl	_ZL18flash_attn_ext_f16ILi96ELi96ELi4ELi8ELb0ELb0EEvPKcS1_S1_S1_S1_PKiPfP15HIP_vector_typeIfLj2EEffffjfiS5_IjLj3EEiiiiiiiiiiiliiliiiiil ; -- Begin function _ZL18flash_attn_ext_f16ILi96ELi96ELi4ELi8ELb0ELb0EEvPKcS1_S1_S1_S1_PKiPfP15HIP_vector_typeIfLj2EEffffjfiS5_IjLj3EEiiiiiiiiiiiliiliiiiil
	.p2align	8
	.type	_ZL18flash_attn_ext_f16ILi96ELi96ELi4ELi8ELb0ELb0EEvPKcS1_S1_S1_S1_PKiPfP15HIP_vector_typeIfLj2EEffffjfiS5_IjLj3EEiiiiiiiiiiiliiliiiiil,@function
_ZL18flash_attn_ext_f16ILi96ELi96ELi4ELi8ELb0ELb0EEvPKcS1_S1_S1_S1_PKiPfP15HIP_vector_typeIfLj2EEffffjfiS5_IjLj3EEiiiiiiiiiiiliiliiiiil: ; @_ZL18flash_attn_ext_f16ILi96ELi96ELi4ELi8ELb0ELb0EEvPKcS1_S1_S1_S1_PKiPfP15HIP_vector_typeIfLj2EEffffjfiS5_IjLj3EEiiiiiiiiiiiliiliiiiil
; %bb.0:
	s_load_dwordx2 s[4:5], s[0:1], 0x80
	s_load_dwordx4 s[36:39], s[0:1], 0x64
	s_mov_b32 s33, s2
                                        ; implicit-def: $vgpr175 : SGPR spill to VGPR lane
	s_load_dword s35, s[0:1], 0xd0
	s_mov_b32 s6, 0
	s_waitcnt lgkmcnt(0)
	s_abs_i32 s2, s5
	v_cvt_f32_u32_e32 v1, s2
	s_sub_i32 s8, 0, s2
	s_abs_i32 s7, s37
	s_xor_b32 s3, s37, s5
	v_rcp_iflag_f32_e32 v1, v1
	s_ashr_i32 s3, s3, 31
	v_mul_f32_e32 v1, 0x4f7ffffe, v1
	v_cvt_u32_f32_e32 v1, v1
	s_nop 0
	v_readfirstlane_b32 s9, v1
	s_mul_i32 s8, s8, s9
	s_mul_hi_u32 s8, s9, s8
	s_add_i32 s9, s9, s8
	s_mul_hi_u32 s8, s7, s9
	s_mul_i32 s9, s8, s2
	s_sub_i32 s7, s7, s9
	s_add_i32 s10, s8, 1
	s_sub_i32 s9, s7, s2
	s_cmp_ge_u32 s7, s2
	s_cselect_b32 s8, s10, s8
	s_cselect_b32 s7, s9, s7
	s_add_i32 s9, s8, 1
	s_cmp_ge_u32 s7, s2
	s_cselect_b32 s2, s9, s8
	s_add_i32 s4, s4, 63
	s_xor_b32 s2, s2, s3
	s_ashr_i32 s7, s4, 31
	s_sub_i32 s3, s2, s3
	s_lshr_b32 s2, s7, 26
	s_add_i32 s4, s4, s2
	s_add_i32 s2, s36, 3
	s_lshr_b32 s7, s2, 2
	s_add_i32 s2, s3, 7
	s_ashr_i32 s96, s4, 6
	s_ashr_i32 s4, s2, 31
	s_lshr_b32 s4, s4, 29
	s_add_i32 s2, s2, s4
	s_ashr_i32 s2, s2, 3
	s_mul_i32 s4, s7, s96
	v_writelane_b32 v175, s7, 0
	s_mul_i32 s2, s4, s2
	v_writelane_b32 v175, s4, 1
	s_mul_i32 s95, s2, s5
	v_writelane_b32 v175, s2, 2
	s_mul_i32 s2, s95, s38
	s_ashr_i32 s10, s2, 31
	s_mul_i32 s4, s10, s33
	s_mul_hi_u32 s5, s2, s33
	s_add_i32 s7, s5, s4
	s_cmp_lg_u64 s[6:7], 0
	s_mul_i32 s6, s2, s33
	s_cbranch_scc0 .LBB14_245
; %bb.1:
	s_add_u32 s4, s35, 0
	s_addc_u32 s5, 0, 0
	s_xor_b64 s[8:9], s[4:5], 0
	v_cvt_f32_u32_e32 v1, s8
	v_cvt_f32_u32_e32 v2, s9
	s_sub_u32 s11, 0, s8
	s_subb_u32 s14, 0, s9
	v_fmamk_f32 v1, v2, 0x4f800000, v1
	v_rcp_f32_e32 v1, v1
	s_nop 0
	v_mul_f32_e32 v1, 0x5f7ffffc, v1
	v_mul_f32_e32 v2, 0x2f800000, v1
	v_trunc_f32_e32 v2, v2
	v_fmamk_f32 v1, v2, 0xcf800000, v1
	v_cvt_u32_f32_e32 v2, v2
	v_cvt_u32_f32_e32 v1, v1
	v_readfirstlane_b32 s15, v2
	v_readfirstlane_b32 s12, v1
	s_mul_i32 s13, s11, s15
	s_mul_hi_u32 s17, s11, s12
	s_mul_i32 s16, s14, s12
	s_add_i32 s13, s17, s13
	s_add_i32 s13, s13, s16
	s_mul_i32 s18, s11, s12
	s_mul_i32 s17, s12, s13
	s_mul_hi_u32 s19, s12, s18
	s_mul_hi_u32 s16, s12, s13
	s_add_u32 s17, s19, s17
	s_addc_u32 s16, 0, s16
	s_mul_hi_u32 s20, s15, s18
	s_mul_i32 s18, s15, s18
	s_add_u32 s17, s17, s18
	s_mul_hi_u32 s19, s15, s13
	s_addc_u32 s16, s16, s20
	s_addc_u32 s17, s19, 0
	s_mul_i32 s13, s15, s13
	s_add_u32 s13, s16, s13
	s_addc_u32 s16, 0, s17
	s_add_u32 s17, s12, s13
	s_cselect_b64 s[12:13], -1, 0
	s_cmp_lg_u64 s[12:13], 0
	s_addc_u32 s15, s15, s16
	s_mul_i32 s12, s11, s15
	s_mul_hi_u32 s13, s11, s17
	s_add_i32 s12, s13, s12
	s_mul_i32 s14, s14, s17
	s_add_i32 s12, s12, s14
	s_mul_i32 s11, s11, s17
	s_mul_hi_u32 s14, s15, s11
	s_mul_i32 s16, s15, s11
	s_mul_i32 s19, s17, s12
	s_mul_hi_u32 s11, s17, s11
	s_mul_hi_u32 s18, s17, s12
	s_add_u32 s11, s11, s19
	s_addc_u32 s18, 0, s18
	s_add_u32 s11, s11, s16
	s_mul_hi_u32 s13, s15, s12
	s_addc_u32 s11, s18, s14
	s_addc_u32 s13, s13, 0
	s_mul_i32 s12, s15, s12
	s_add_u32 s11, s11, s12
	s_addc_u32 s14, 0, s13
	s_add_u32 s11, s17, s11
	s_cselect_b64 s[12:13], -1, 0
	s_cmp_lg_u64 s[12:13], 0
	s_addc_u32 s16, s15, s14
	s_ashr_i32 s12, s7, 31
	s_add_u32 s14, s6, s12
	s_mov_b32 s13, s12
	s_addc_u32 s15, s7, s12
	s_xor_b64 s[14:15], s[14:15], s[12:13]
	s_mul_i32 s17, s14, s16
	s_mul_hi_u32 s18, s14, s11
	s_mul_hi_u32 s7, s14, s16
	s_add_u32 s17, s18, s17
	s_addc_u32 s7, 0, s7
	s_mul_hi_u32 s19, s15, s11
	s_mul_i32 s11, s15, s11
	s_add_u32 s11, s17, s11
	s_mul_hi_u32 s18, s15, s16
	s_addc_u32 s7, s7, s19
	s_addc_u32 s11, s18, 0
	s_mul_i32 s16, s15, s16
	s_add_u32 s7, s7, s16
	s_addc_u32 s11, 0, s11
	s_mul_i32 s16, s8, s11
	s_mul_hi_u32 s17, s8, s7
	s_add_i32 s16, s17, s16
	s_mul_i32 s17, s9, s7
	s_add_i32 s20, s16, s17
	s_sub_i32 s18, s15, s20
	s_mul_i32 s16, s8, s7
	s_sub_u32 s14, s14, s16
	s_cselect_b64 s[16:17], -1, 0
	s_cmp_lg_u64 s[16:17], 0
	s_subb_u32 s21, s18, s9
	s_sub_u32 s22, s14, s8
	s_cselect_b64 s[18:19], -1, 0
	s_cmp_lg_u64 s[18:19], 0
	s_subb_u32 s18, s21, 0
	s_cmp_ge_u32 s18, s9
	s_cselect_b32 s19, -1, 0
	s_cmp_ge_u32 s22, s8
	s_cselect_b32 s21, -1, 0
	s_cmp_eq_u32 s18, s9
	s_cselect_b32 s18, s21, s19
	s_add_u32 s19, s7, 1
	s_addc_u32 s21, s11, 0
	s_add_u32 s22, s7, 2
	s_addc_u32 s23, s11, 0
	s_cmp_lg_u32 s18, 0
	s_cselect_b32 s18, s22, s19
	s_cselect_b32 s19, s23, s21
	s_cmp_lg_u64 s[16:17], 0
	s_subb_u32 s15, s15, s20
	s_cmp_ge_u32 s15, s9
	s_cselect_b32 s16, -1, 0
	s_cmp_ge_u32 s14, s8
	s_cselect_b32 s8, -1, 0
	s_cmp_eq_u32 s15, s9
	s_cselect_b32 s8, s8, s16
	s_cmp_lg_u32 s8, 0
	s_cselect_b32 s9, s19, s11
	s_cselect_b32 s8, s18, s7
	s_xor_b64 s[12:13], s[12:13], 0
	s_xor_b64 s[8:9], s[8:9], s[12:13]
	s_sub_u32 s56, s8, s12
	s_load_dwordx2 s[54:55], s[0:1], 0x74
	v_cvt_f32_u32_e32 v1, s35
	s_cbranch_execnz .LBB14_3
.LBB14_2:
	v_rcp_iflag_f32_e32 v2, v1
	s_sub_i32 s4, 0, s35
	v_mul_f32_e32 v2, 0x4f7ffffe, v2
	v_cvt_u32_f32_e32 v2, v2
	s_nop 0
	v_readfirstlane_b32 s5, v2
	s_mul_i32 s4, s4, s5
	s_mul_hi_u32 s4, s5, s4
	s_add_i32 s5, s5, s4
	s_mul_hi_u32 s4, s6, s5
	s_mul_i32 s7, s4, s35
	s_sub_i32 s6, s6, s7
	s_add_i32 s5, s4, 1
	s_sub_i32 s7, s6, s35
	s_cmp_ge_u32 s6, s35
	s_cselect_b32 s4, s5, s4
	s_cselect_b32 s6, s7, s6
	s_add_i32 s5, s4, 1
	s_cmp_ge_u32 s6, s35
	s_cselect_b32 s56, s5, s4
.LBB14_3:
	s_add_i32 s4, s33, 1
	s_mul_i32 s5, s10, s4
	s_mul_hi_u32 s6, s2, s4
	s_add_i32 s9, s6, s5
	s_mov_b32 s8, 0
	s_cmp_lg_u64 s[8:9], 0
	s_mul_i32 s2, s2, s4
	s_cbranch_scc0 .LBB14_246
; %bb.4:
	s_add_u32 s4, s35, 0
	s_addc_u32 s5, 0, 0
	s_xor_b64 s[6:7], s[4:5], 0
	v_cvt_f32_u32_e32 v2, s6
	v_cvt_f32_u32_e32 v3, s7
	s_sub_u32 s8, 0, s6
	s_subb_u32 s12, 0, s7
	v_fmamk_f32 v2, v3, 0x4f800000, v2
	v_rcp_f32_e32 v2, v2
	s_nop 0
	v_mul_f32_e32 v2, 0x5f7ffffc, v2
	v_mul_f32_e32 v3, 0x2f800000, v2
	v_trunc_f32_e32 v3, v3
	v_fmamk_f32 v2, v3, 0xcf800000, v2
	v_cvt_u32_f32_e32 v3, v3
	v_cvt_u32_f32_e32 v2, v2
	v_readfirstlane_b32 s13, v3
	v_readfirstlane_b32 s10, v2
	s_mul_i32 s11, s8, s13
	s_mul_hi_u32 s15, s8, s10
	s_mul_i32 s14, s12, s10
	s_add_i32 s11, s15, s11
	s_add_i32 s11, s11, s14
	s_mul_i32 s16, s8, s10
	s_mul_i32 s15, s10, s11
	s_mul_hi_u32 s17, s10, s16
	s_mul_hi_u32 s14, s10, s11
	s_add_u32 s15, s17, s15
	s_addc_u32 s14, 0, s14
	s_mul_hi_u32 s18, s13, s16
	s_mul_i32 s16, s13, s16
	s_add_u32 s15, s15, s16
	s_mul_hi_u32 s17, s13, s11
	s_addc_u32 s14, s14, s18
	s_addc_u32 s15, s17, 0
	s_mul_i32 s11, s13, s11
	s_add_u32 s11, s14, s11
	s_addc_u32 s14, 0, s15
	s_add_u32 s15, s10, s11
	s_cselect_b64 s[10:11], -1, 0
	s_cmp_lg_u64 s[10:11], 0
	s_addc_u32 s13, s13, s14
	s_mul_i32 s10, s8, s13
	s_mul_hi_u32 s11, s8, s15
	s_add_i32 s10, s11, s10
	s_mul_i32 s12, s12, s15
	s_add_i32 s10, s10, s12
	s_mul_i32 s8, s8, s15
	s_mul_hi_u32 s12, s13, s8
	s_mul_i32 s14, s13, s8
	s_mul_i32 s17, s15, s10
	s_mul_hi_u32 s8, s15, s8
	s_mul_hi_u32 s16, s15, s10
	s_add_u32 s8, s8, s17
	s_addc_u32 s16, 0, s16
	s_add_u32 s8, s8, s14
	s_mul_hi_u32 s11, s13, s10
	s_addc_u32 s8, s16, s12
	s_addc_u32 s11, s11, 0
	s_mul_i32 s10, s13, s10
	s_add_u32 s8, s8, s10
	s_addc_u32 s12, 0, s11
	s_add_u32 s14, s15, s8
	s_cselect_b64 s[10:11], -1, 0
	s_cmp_lg_u64 s[10:11], 0
	s_addc_u32 s12, s13, s12
	s_ashr_i32 s10, s9, 31
	s_add_u32 s8, s2, s10
	s_mov_b32 s11, s10
	s_addc_u32 s9, s9, s10
	s_xor_b64 s[8:9], s[8:9], s[10:11]
	s_mul_i32 s15, s8, s12
	s_mul_hi_u32 s16, s8, s14
	s_mul_hi_u32 s13, s8, s12
	s_add_u32 s15, s16, s15
	s_addc_u32 s13, 0, s13
	s_mul_hi_u32 s17, s9, s14
	s_mul_i32 s14, s9, s14
	s_add_u32 s14, s15, s14
	s_mul_hi_u32 s16, s9, s12
	s_addc_u32 s13, s13, s17
	s_addc_u32 s14, s16, 0
	s_mul_i32 s12, s9, s12
	s_add_u32 s16, s13, s12
	s_addc_u32 s17, 0, s14
	s_mul_i32 s12, s6, s17
	s_mul_hi_u32 s13, s6, s16
	s_add_i32 s12, s13, s12
	s_mul_i32 s13, s7, s16
	s_add_i32 s18, s12, s13
	s_sub_i32 s14, s9, s18
	s_mul_i32 s12, s6, s16
	s_sub_u32 s8, s8, s12
	s_cselect_b64 s[12:13], -1, 0
	s_cmp_lg_u64 s[12:13], 0
	s_subb_u32 s19, s14, s7
	s_sub_u32 s20, s8, s6
	s_cselect_b64 s[14:15], -1, 0
	s_cmp_lg_u64 s[14:15], 0
	s_subb_u32 s14, s19, 0
	s_cmp_ge_u32 s14, s7
	s_cselect_b32 s15, -1, 0
	s_cmp_ge_u32 s20, s6
	s_cselect_b32 s19, -1, 0
	s_cmp_eq_u32 s14, s7
	s_cselect_b32 s14, s19, s15
	s_add_u32 s15, s16, 1
	s_addc_u32 s19, s17, 0
	s_add_u32 s20, s16, 2
	s_addc_u32 s21, s17, 0
	s_cmp_lg_u32 s14, 0
	s_cselect_b32 s14, s20, s15
	s_cselect_b32 s15, s21, s19
	s_cmp_lg_u64 s[12:13], 0
	s_subb_u32 s9, s9, s18
	s_cmp_ge_u32 s9, s7
	s_cselect_b32 s12, -1, 0
	s_cmp_ge_u32 s8, s6
	s_cselect_b32 s6, -1, 0
	s_cmp_eq_u32 s9, s7
	s_cselect_b32 s6, s6, s12
	s_cmp_lg_u32 s6, 0
	s_cselect_b32 s7, s15, s17
	s_cselect_b32 s6, s14, s16
	s_xor_b64 s[8:9], s[10:11], 0
	s_xor_b64 s[6:7], s[6:7], s[8:9]
	s_sub_u32 s60, s6, s8
	s_load_dwordx2 s[44:45], s[0:1], 0x5c
	s_cbranch_execnz .LBB14_6
.LBB14_5:
	v_rcp_iflag_f32_e32 v1, v1
	s_sub_i32 s4, 0, s35
	v_mul_f32_e32 v1, 0x4f7ffffe, v1
	v_cvt_u32_f32_e32 v1, v1
	s_nop 0
	v_readfirstlane_b32 s5, v1
	s_mul_i32 s4, s4, s5
	s_mul_hi_u32 s4, s5, s4
	s_add_i32 s5, s5, s4
	s_mul_hi_u32 s4, s2, s5
	s_mul_i32 s6, s4, s35
	s_sub_i32 s2, s2, s6
	s_add_i32 s5, s4, 1
	s_sub_i32 s6, s2, s35
	s_cmp_ge_u32 s2, s35
	s_cselect_b32 s4, s5, s4
	s_cselect_b32 s2, s6, s2
	s_add_i32 s5, s4, 1
	s_cmp_ge_u32 s2, s35
	s_cselect_b32 s60, s5, s4
.LBB14_6:
	s_abs_i32 s97, s96
	v_cvt_f32_u32_e32 v1, s97
	s_load_dwordx16 s[16:31], s[0:1], 0x0
	s_load_dword s2, s[0:1], 0x40
	s_load_dwordx2 s[4:5], s[0:1], 0x8c
	s_load_dwordx4 s[40:43], s[0:1], 0x98
	s_load_dwordx2 s[48:49], s[0:1], 0xa8
	s_load_dwordx2 s[12:13], s[0:1], 0xb8
	;; [unrolled: 1-line block ×3, first 2 shown]
	s_waitcnt lgkmcnt(0)
	s_mov_b32 s1, s5
	s_ashr_i32 s38, s4, 2
	v_rcp_iflag_f32_e32 v1, v1
	s_sub_i32 s4, 0, s97
	v_writelane_b32 v175, s0, 3
	s_ashr_i32 s57, s39, 3
	v_mul_f32_e32 v1, 0x4f7ffffe, v1
	v_cvt_u32_f32_e32 v1, v1
	v_writelane_b32 v175, s1, 4
	s_ashr_i32 s1, s96, 31
	v_writelane_b32 v175, s1, 5
	v_readfirstlane_b32 s52, v1
	s_mul_i32 s4, s4, s52
	s_mul_hi_u32 s4, s52, s4
	s_abs_i32 s1, s56
	s_add_i32 s52, s52, s4
	s_mul_hi_u32 s4, s1, s52
	s_mul_i32 s4, s4, s97
	s_sub_i32 s1, s1, s4
	s_ashr_i32 s53, s54, 3
	s_ashr_i32 s46, s13, 1
	;; [unrolled: 1-line block ×4, first 2 shown]
	s_sub_i32 s4, s1, s97
	s_cmp_ge_u32 s1, s97
	s_cselect_b32 s1, s4, s1
	s_sub_i32 s4, s1, s97
	s_cmp_ge_u32 s1, s97
	s_cselect_b32 s1, s4, s1
	s_xor_b32 s1, s1, s0
	s_sub_i32 s86, s1, s0
	s_sub_i32 s0, s60, s56
	s_add_i32 s4, s0, s86
	s_min_i32 s8, s96, s4
	s_cmp_gt_i32 s60, s56
	s_cselect_b64 s[10:11], -1, 0
	s_cmp_le_i32 s60, s56
	s_cselect_b64 s[0:1], -1, 0
	s_cmp_gt_i32 s96, s4
	v_cvt_f16_f32_e32 v1, s2
	s_cselect_b64 s[4:5], -1, 0
	s_or_b64 s[0:1], s[4:5], s[0:1]
	v_bfe_u32 v37, v0, 10, 10
	s_mov_b32 s63, 0
	s_and_b64 vcc, exec, s[0:1]
	v_bfe_u32 v39, v0, 5, 5
	v_lshlrev_b32_e32 v35, 1, v37
	v_and_b32_e32 v34, 31, v0
	v_lshlrev_b32_e32 v43, 3, v37
	v_lshlrev_b32_e32 v41, 4, v37
	v_mbcnt_lo_u32_b32 v65, -1, 0
	s_cbranch_vccz .LBB14_9
; %bb.7:
	s_andn2_b64 vcc, exec, s[10:11]
	s_cbranch_vccz .LBB14_214
.LBB14_8:
	s_endpgm
.LBB14_9:
	v_and_b32_e32 v7, 0x3ff, v0
	s_cmp_eq_u64 s[24:25], 0
	v_and_b32_e32 v36, 15, v0
	v_lshrrev_b32_e32 v6, 1, v0
	v_lshlrev_b32_e32 v8, 1, v7
	v_writelane_b32 v175, s35, 6
	s_cselect_b64 s[0:1], -1, 0
	v_add_u32_e32 v71, v35, v39
	v_mul_u32_u24_e32 v4, 0xd0, v36
	v_and_b32_e32 v6, 0x78, v6
	v_and_b32_e32 v38, 62, v8
	v_writelane_b32 v175, s0, 7
	s_cmp_lg_u64 s[26:27], 0
	v_add3_u32 v73, 0, v4, v6
	v_mul_u32_u24_e32 v4, 0x90, v71
	v_lshlrev_b32_e32 v8, 1, v38
	v_writelane_b32 v175, s1, 8
	s_cselect_b64 s[0:1], -1, 0
	v_add3_u32 v75, 0, v4, v8
	v_bfe_u32 v4, v0, 2, 8
	v_lshlrev_b32_e32 v10, 2, v7
	v_writelane_b32 v175, s0, 9
	s_movk_i32 s2, 0xd0
	v_add_u32_e32 v8, v41, v4
	v_and_b32_e32 v40, 12, v10
	v_writelane_b32 v175, s1, 10
	v_bfe_u32 v5, v0, 3, 7
	v_mad_u32_u24 v9, v8, s2, 0
	v_lshlrev_b32_e32 v11, 2, v40
	s_movk_i32 s1, 0x80
	v_add3_u32 v77, v9, v11, s1
	v_add_u32_e32 v9, v43, v5
	v_and_b32_e32 v42, 28, v10
	v_and_b32_e32 v3, 0x7f0, v43
	v_mul_u32_u24_e32 v11, 0xd0, v9
	v_lshlrev_b32_e32 v10, 2, v42
	v_add3_u32 v79, 0, v11, v10
	v_and_b32_e32 v10, 16, v41
	v_and_b32_e32 v4, 60, v4
	v_and_or_b32 v12, v0, 8, v3
	s_movk_i32 s0, 0x90
	v_add_u32_e32 v11, v4, v10
	v_lshrrev_b32_e32 v12, 3, v12
	v_add_u16_e32 v4, v4, v10
	v_mad_u32_u24 v12, v12, s0, 0
	v_lshrrev_b16_e32 v4, 1, v4
	v_lshlrev_b32_e32 v5, 1, v5
	v_lshl_add_u32 v81, v4, 2, v12
	v_lshl_add_u32 v4, v11, 1, v12
	v_and_b32_e32 v11, 8, v43
	v_and_b32_e32 v12, 60, v5
	v_or_b32_e32 v13, 2, v5
	v_or_b32_e32 v5, 3, v5
	s_movk_i32 s0, 0x1a0
	v_mul_u32_u24_e32 v5, 0xd0, v5
	v_mad_u32_u24 v11, v11, s0, 0
	v_lshlrev_b32_e32 v14, 1, v36
	v_add3_u32 v113, v11, v5, v14
	v_bfe_u32 v5, v0, 10, 1
	v_cmp_eq_u32_e64 s[0:1], 0, v5
	v_and_b32_e32 v5, 0x400, v0
	v_cmp_ne_u32_e64 s[4:5], 0, v5
	v_or_b32_e32 v5, v41, v36
	v_mul_u32_u24_e32 v5, 0xd0, v5
	v_mul_u32_u24_e32 v12, 0xd0, v12
	v_mul_u32_u24_e32 v13, 0xd0, v13
	v_add3_u32 v114, 0, v5, v6
	v_add_u32_e32 v5, v39, v37
	v_add3_u32 v83, v11, v12, v14
	v_add3_u32 v112, v11, v13, v14
	v_lshlrev_b32_e32 v11, 1, v5
	v_and_b32_e32 v12, 15, v5
	s_movk_i32 s6, 0x3e0
	v_add_u32_e32 v13, 4, v5
	v_and_or_b32 v11, v11, s6, v12
	v_lshlrev_b32_e32 v14, 1, v13
	v_and_b32_e32 v15, 15, v13
	s_movk_i32 s6, 0x7e0
	v_and_or_b32 v14, v14, s6, v15
	v_add_u32_e32 v15, 8, v5
	v_lshlrev_b32_e32 v16, 1, v15
	v_and_b32_e32 v17, 15, v15
	v_and_or_b32 v16, v16, s6, v17
	v_add_u32_e32 v17, 12, v5
	v_lshlrev_b32_e32 v18, 1, v17
	v_and_b32_e32 v19, 15, v17
	v_and_or_b32 v18, v18, s6, v19
	v_add_u32_e32 v19, 16, v5
	v_lshlrev_b32_e32 v20, 1, v19
	v_writelane_b32 v175, s4, 11
	s_lshl_b32 s62, s33, 5
	v_and_or_b32 v12, v20, s6, v12
	v_add_u32_e32 v20, 20, v5
	s_ashr_i32 s47, s46, 31
	s_ashr_i32 s39, s38, 31
	s_ashr_i32 s35, s34, 31
	v_writelane_b32 v175, s5, 12
	s_lshl_b64 s[4:5], s[62:63], 3
	v_lshlrev_b32_e32 v21, 1, v20
	v_and_b32_e32 v22, 15, v20
	s_add_u32 s4, s30, s4
	v_and_or_b32 v21, v21, s6, v22
	v_add_u32_e32 v22, 24, v5
	s_addc_u32 s5, s31, s5
	v_lshlrev_b32_e32 v23, 1, v22
	v_and_b32_e32 v24, 15, v22
	s_abs_i32 s59, s95
	v_bfe_u32 v2, v0, 4, 6
	v_and_or_b32 v23, v23, s6, v24
	v_add_u32_e32 v24, 28, v5
	v_cvt_f32_u32_e32 v32, s59
	v_add_u32_e32 v6, v35, v2
	v_lshlrev_b32_e32 v25, 1, v24
	v_and_b32_e32 v26, 15, v24
	v_writelane_b32 v175, s33, 13
	v_and_or_b32 v25, v25, s6, v26
	v_lshlrev_b32_e32 v26, 1, v6
	v_and_b32_e32 v27, 15, v6
	v_add_u32_e32 v28, 8, v6
	v_and_or_b32 v26, v26, s6, v27
	v_lshlrev_b32_e32 v29, 1, v28
	v_and_b32_e32 v30, 15, v28
	s_movk_i32 s6, 0xfe0
	v_readlane_b32 s15, v175, 2
	v_and_or_b32 v29, v29, s6, v30
	v_add_u32_e32 v30, 16, v6
	v_rcp_iflag_f32_e32 v32, v32
	s_abs_i32 s98, s15
	v_lshlrev_b32_e32 v31, 1, v30
	v_cvt_f32_u32_e32 v44, s98
	v_and_or_b32 v27, v31, s6, v27
	v_add_u32_e32 v31, 24, v6
	v_lshlrev_b32_e32 v33, 1, v31
	v_and_b32_e32 v45, 15, v31
	v_and_or_b32 v33, v33, s6, v45
	v_mul_f32_e32 v32, 0x4f7ffffe, v32
	v_readlane_b32 s14, v175, 1
	s_mov_b32 s6, s12
	v_rcp_iflag_f32_e32 v44, v44
	s_abs_i32 s99, s14
	v_writelane_b32 v175, s6, 14
	v_cvt_u32_f32_e32 v32, v32
	v_cvt_f32_u32_e32 v45, s99
	v_writelane_b32 v175, s7, 15
	v_cmp_gt_u32_e64 s[64:65], 32, v7
	v_lshl_add_u32 v2, v37, 2, v2
	v_lshl_add_u32 v124, v36, 2, 0
	v_writelane_b32 v175, s64, 16
	v_mad_u32_u24 v115, v3, s2, v73
	v_mad_u32_u24 v128, v2, s2, v124
	v_writelane_b32 v175, s65, 17
	s_ashr_i32 s2, s95, 31
	s_abs_i32 s58, s12
	v_mul_f32_e32 v44, 0x4f7ffffe, v44
	v_readfirstlane_b32 s9, v32
	v_writelane_b32 v175, s2, 18
	s_sub_i32 s2, 0, s59
	v_cvt_f32_u32_e32 v46, s58
	v_rcp_iflag_f32_e32 v45, v45
	v_cvt_u32_f32_e32 v44, v44
	s_mul_i32 s2, s2, s9
	s_mul_hi_u32 s2, s9, s2
	s_add_i32 s2, s9, s2
	v_writelane_b32 v175, s2, 19
	s_ashr_i32 s2, s15, 31
	v_rcp_iflag_f32_e32 v46, v46
	v_mul_f32_e32 v45, 0x4f7ffffe, v45
	v_readfirstlane_b32 s10, v44
	v_writelane_b32 v175, s2, 20
	s_sub_i32 s2, 0, s98
	v_cvt_u32_f32_e32 v45, v45
	s_mul_i32 s2, s2, s10
	s_mul_hi_u32 s2, s10, s2
	s_add_i32 s2, s10, s2
	v_mul_f32_e32 v46, 0x4f7ffffe, v46
	v_writelane_b32 v175, s2, 21
	s_ashr_i32 s2, s14, 31
	v_cvt_u32_f32_e32 v46, v46
	v_readfirstlane_b32 s11, v45
	v_writelane_b32 v175, s2, 22
	s_sub_i32 s2, 0, s99
	v_add_u32_e32 v3, v41, v7
	s_mul_i32 s2, s2, s11
	v_mul_u32_u24_e32 v119, 0xd0, v3
	v_add_u32_e32 v3, v41, v34
	s_mul_hi_u32 s2, s11, s2
	v_mul_u32_u24_e32 v120, 0xd0, v3
	v_add_u32_e32 v3, 8, v71
	s_add_i32 s2, s11, s2
	v_readfirstlane_b32 s12, v46
	v_or_b32_e32 v32, v43, v7
	v_lshrrev_b32_e32 v121, 3, v3
	v_add_u32_e32 v3, 16, v71
	v_writelane_b32 v175, s2, 23
	s_sub_i32 s2, 0, s58
	v_lshlrev_b32_e32 v44, 3, v32
	v_mov_b32_e32 v45, 0
	v_and_b32_e32 v32, 3, v0
	v_mul_lo_u32 v54, s34, v8
	v_lshrrev_b32_e32 v122, 3, v3
	v_add_u32_e32 v3, 24, v71
	v_and_b32_e32 v125, 7, v2
	v_lshrrev_b32_e32 v126, 3, v2
	v_mul_u32_u24_e32 v127, 0xd0, v2
	v_add_u32_e32 v2, 16, v2
	s_mul_i32 s2, s2, s12
	v_lshl_add_u64 v[46:47], s[4:5], 0, v[44:45]
	v_lshlrev_b32_e32 v44, 4, v32
	v_ashrrev_i32_e32 v55, 31, v54
	v_lshrrev_b32_e32 v123, 3, v3
	v_lshrrev_b32_e32 v129, 3, v2
	s_mul_hi_u32 s2, s12, s2
	v_lshlrev_b32_e32 v2, 2, v34
	v_mov_b32_e32 v3, v45
	v_mul_lo_u32 v48, s38, v8
	s_add_i32 s2, s12, s2
	v_add_u32_e32 v148, 0, v2
	v_lshl_add_u64 v[60:61], s[22:23], 0, v[2:3]
	v_lshl_add_u64 v[2:3], v[54:55], 2, v[44:45]
	v_ashrrev_i32_e32 v49, 31, v48
	v_writelane_b32 v175, s2, 24
	s_mov_b32 s2, s46
	v_lshl_add_u64 v[2:3], s[20:21], 0, v[2:3]
	s_mov_b64 s[70:71], 0x80
	v_mul_lo_u32 v50, s38, v9
	v_mul_lo_u32 v56, s34, v9
	v_writelane_b32 v175, s2, 25
	v_lshl_add_u64 v[62:63], v[2:3], 0, s[70:71]
	v_lshl_add_u64 v[2:3], v[48:49], 2, v[44:45]
	v_lshl_add_u32 v52, s38, 5, v50
	v_lshl_add_u32 v58, s34, 5, v56
	v_writelane_b32 v175, s3, 26
	s_lshl_b64 s[10:11], s[46:47], 1
	v_lshl_add_u64 v[2:3], s[18:19], 0, v[2:3]
	s_mov_b32 s13, 0x10001
	v_ashrrev_i32_e32 v51, 31, v50
	v_ashrrev_i32_e32 v53, 31, v52
	;; [unrolled: 1-line block ×4, first 2 shown]
	v_writelane_b32 v175, s10, 27
	v_and_b32_e32 v64, 7, v0
	v_lshl_add_u64 v[68:69], v[2:3], 0, s[70:71]
	v_mul_lo_u32 v2, s53, v125
	v_and_b32_e32 v152, 7, v71
	v_cmp_gt_u32_e64 s[4:5], 4, v71
	v_mul_u32_u24_e32 v116, 0xd0, v10
	v_add_u32_e32 v117, 64, v4
	v_add_u32_e32 v118, 0x44, v4
	v_cmp_gt_u32_e64 s[6:7], 16, v7
	v_mul_u32_u24_e32 v130, 0xd0, v11
	v_mul_u32_u24_e32 v131, 0xd0, v14
	v_lshrrev_b32_e32 v132, 3, v15
	v_mul_u32_u24_e32 v133, 0xd0, v16
	v_mul_u32_u24_e32 v134, 0xd0, v18
	v_lshrrev_b32_e32 v135, 3, v19
	;; [unrolled: 3-line block ×3, first 2 shown]
	v_mul_u32_u24_e32 v139, 0xd0, v23
	v_mul_u32_u24_e32 v140, 0xd0, v25
	;; [unrolled: 1-line block ×3, first 2 shown]
	v_lshrrev_b32_e32 v142, 3, v28
	v_mul_u32_u24_e32 v143, 0xd0, v29
	v_lshrrev_b32_e32 v144, 3, v30
	v_mul_u32_u24_e32 v145, 0xd0, v27
	;; [unrolled: 2-line block ×3, first 2 shown]
	v_writelane_b32 v175, s11, 28
	s_lshl_b64 s[72:73], s[34:35], 8
	v_lshlrev_b32_e32 v66, 4, v64
	v_mov_b32_e32 v67, v45
	s_lshl_b64 s[74:75], s[38:39], 8
	s_mov_b32 s47, 0x3fb8aa3b
	s_mov_b32 s2, 0xc2ce8ed0
	;; [unrolled: 1-line block ×5, first 2 shown]
	v_mul_lo_u32 v149, v1, s13
	v_add3_u32 v70, v2, v36, 32
	v_add_u32_e32 v150, 0x1a00, v79
	v_lshrrev_b32_e32 v151, 3, v71
	v_mul_u32_u24_e32 v153, 0xd0, v71
	v_add_u32_e32 v154, 0xd00, v128
	v_lshrrev_b32_e32 v155, 3, v5
	v_and_b32_e32 v72, 7, v5
	v_lshrrev_b32_e32 v156, 3, v13
	v_and_b32_e32 v74, 7, v13
	;; [unrolled: 2-line block ×6, first 2 shown]
	v_mbcnt_hi_u32_b32 v161, -1, v65
	v_mov_b32_e32 v162, 0x7f800000
	v_mad_u64_u32 v[84:85], s[10:11], v152, s53, v[34:35]
	v_lshl_add_u64 v[86:87], v[56:57], 2, s[20:21]
	v_lshl_add_u64 v[88:89], v[58:59], 2, s[20:21]
	;; [unrolled: 1-line block ×4, first 2 shown]
	v_writelane_b32 v175, s53, 29
	s_branch .LBB14_12
.LBB14_10:                              ;   in Loop: Header=BB14_12 Depth=1
	s_or_b64 exec, exec, s[78:79]
	s_barrier
.LBB14_11:                              ;   in Loop: Header=BB14_12 Depth=1
	s_add_i32 s8, s56, s96
	s_abs_i32 s10, s8
	s_mul_hi_u32 s11, s10, s52
	s_mul_i32 s11, s11, s97
	s_sub_i32 s10, s10, s11
	s_ashr_i32 s9, s8, 31
	s_sub_i32 s11, s10, s97
	s_cmp_ge_u32 s10, s97
	s_cselect_b32 s10, s11, s10
	s_sub_i32 s11, s10, s97
	s_cmp_ge_u32 s10, s97
	s_cselect_b32 s10, s11, s10
	s_xor_b32 s10, s10, s9
	s_sub_i32 s9, s9, s10
	s_add_i32 s56, s8, s9
	s_sub_i32 s9, s60, s56
	s_min_i32 s8, s96, s9
	s_cmp_gt_i32 s60, s56
	s_cselect_b64 s[10:11], -1, 0
	s_cmp_le_i32 s96, s9
	s_cselect_b64 s[12:13], -1, 0
	s_and_b64 s[12:13], s[12:13], s[10:11]
	s_mov_b32 s86, 0
	s_and_b64 vcc, exec, s[12:13]
	s_cbranch_vccz .LBB14_213
.LBB14_12:                              ; =>This Loop Header: Depth=1
                                        ;     Child Loop BB14_143 Depth 2
                                        ;     Child Loop BB14_42 Depth 2
	s_ashr_i32 s9, s56, 31
	v_readlane_b32 s10, v175, 18
	s_xor_b32 s9, s9, s10
	s_abs_i32 s10, s56
	v_readlane_b32 s11, v175, 19
	s_mul_hi_u32 s11, s10, s11
	s_mul_i32 s12, s11, s59
	s_sub_i32 s10, s10, s12
	s_add_i32 s12, s11, 1
	s_sub_i32 s13, s10, s59
	s_cmp_ge_u32 s10, s59
	s_cselect_b32 s11, s12, s11
	s_cselect_b32 s10, s13, s10
	s_add_i32 s12, s11, 1
	s_cmp_ge_u32 s10, s59
	s_cselect_b32 s10, s12, s11
	s_xor_b32 s10, s10, s9
	s_sub_i32 s10, s10, s9
	s_mul_i32 s9, s10, s95
	s_sub_i32 s9, s56, s9
	s_ashr_i32 s11, s9, 31
	v_readlane_b32 s12, v175, 20
	s_xor_b32 s11, s11, s12
	s_abs_i32 s12, s9
	v_readlane_b32 s13, v175, 21
	s_mul_hi_u32 s13, s12, s13
	s_mul_i32 s14, s13, s98
	s_sub_i32 s12, s12, s14
	s_add_i32 s14, s13, 1
	s_sub_i32 s15, s12, s98
	s_cmp_ge_u32 s12, s98
	s_cselect_b32 s13, s14, s13
	s_cselect_b32 s12, s15, s12
	s_add_i32 s14, s13, 1
	s_cmp_ge_u32 s12, s98
	s_cselect_b32 s12, s14, s13
	s_xor_b32 s12, s12, s11
	s_sub_i32 s11, s12, s11
	v_readlane_b32 s12, v175, 2
	s_mul_i32 s12, s11, s12
	s_sub_i32 s12, s9, s12
	s_ashr_i32 s9, s12, 31
	v_readlane_b32 s13, v175, 22
	s_xor_b32 s9, s9, s13
	s_abs_i32 s13, s12
	v_readlane_b32 s14, v175, 23
	s_mul_hi_u32 s14, s13, s14
	s_mul_i32 s15, s14, s99
	s_sub_i32 s13, s13, s15
	s_add_i32 s15, s14, 1
	s_sub_i32 s33, s13, s99
	s_cmp_ge_u32 s13, s99
	s_cselect_b32 s14, s15, s14
	s_cselect_b32 s13, s33, s13
	s_add_i32 s15, s14, 1
	s_cmp_ge_u32 s13, s99
	s_cselect_b32 s13, s15, s14
	s_xor_b32 s13, s13, s9
	s_sub_i32 s9, s13, s9
	v_readlane_b32 s13, v175, 1
	s_mul_i32 s13, s9, s13
	s_sub_i32 s12, s12, s13
	s_ashr_i32 s13, s12, 31
	v_readlane_b32 s14, v175, 5
	s_abs_i32 s12, s12
	s_xor_b32 s13, s13, s14
	s_mul_hi_u32 s14, s12, s52
	s_mul_i32 s15, s14, s97
	s_sub_i32 s12, s12, s15
	s_add_i32 s15, s14, 1
	s_sub_i32 s33, s12, s97
	s_cmp_ge_u32 s12, s97
	s_cselect_b32 s14, s15, s14
	s_cselect_b32 s12, s33, s12
	s_add_i32 s15, s14, 1
	s_cmp_ge_u32 s12, s97
	s_cselect_b32 s12, s15, s14
	v_readlane_b32 s14, v175, 9
	s_xor_b32 s12, s12, s13
	v_readlane_b32 s15, v175, 10
	s_andn2_b64 vcc, exec, s[14:15]
	s_sub_i32 s93, s12, s13
	s_cbranch_vccnz .LBB14_14
; %bb.13:                               ;   in Loop: Header=BB14_12 Depth=1
	v_readlane_b32 s12, v175, 0
	s_mul_i32 s12, s10, s12
	s_add_i32 s12, s93, s12
	s_ashr_i32 s13, s12, 31
	s_lshl_b64 s[12:13], s[12:13], 2
	s_add_u32 s12, s26, s12
	s_addc_u32 s13, s27, s13
	global_load_dword v2, v45, s[12:13]
	s_waitcnt vmcnt(0)
	v_readfirstlane_b32 s12, v2
	s_ashr_i32 s13, s12, 31
	s_lshr_b32 s13, s13, 26
	s_add_i32 s12, s12, s13
	s_ashr_i32 s12, s12, 6
	s_min_i32 s8, s8, s12
.LBB14_14:                              ;   in Loop: Header=BB14_12 Depth=1
	s_mul_i32 s12, s11, s3
	s_lshl_b32 s67, s9, 3
	s_mul_i32 s9, s10, s55
	s_add_i32 s14, s67, s12
	s_ashr_i32 s12, s9, 31
	s_add_u32 s9, s16, s9
	s_mul_i32 s13, s14, s54
	s_addc_u32 s12, s17, s12
	s_ashr_i32 s15, s13, 31
	s_add_u32 s82, s9, s13
	s_addc_u32 s83, s12, s15
	s_ashr_i32 s15, s10, 31
	s_mul_hi_u32 s9, s40, s10
	s_mul_i32 s12, s40, s15
	s_add_i32 s9, s9, s12
	s_mul_i32 s12, s41, s10
	v_readlane_b32 s68, v175, 3
	s_add_i32 s9, s9, s12
	s_mul_i32 s92, s40, s10
	v_readlane_b32 s69, v175, 4
	s_add_u32 s12, s18, s92
	s_mul_i32 s42, s11, s69
	s_addc_u32 s13, s19, s9
	s_ashr_i32 s66, s42, 31
	s_add_u32 s69, s12, s42
	s_addc_u32 s33, s13, s66
	s_abs_i32 s12, s10
	v_readlane_b32 s13, v175, 24
	s_mul_hi_u32 s13, s12, s13
	s_mul_i32 s13, s13, s58
	s_sub_i32 s12, s12, s13
	s_sub_i32 s13, s12, s58
	s_cmp_ge_u32 s12, s58
	s_cselect_b32 s12, s13, s12
	s_sub_i32 s13, s12, s58
	s_cmp_ge_u32 s12, s58
	s_cselect_b32 s12, s13, s12
	s_xor_b32 s12, s12, s15
	s_sub_i32 s12, s12, s15
	s_ashr_i32 s13, s12, 31
	s_mul_i32 s13, s50, s13
	s_mul_hi_u32 s53, s50, s12
	s_add_i32 s13, s53, s13
	s_mul_i32 s53, s51, s12
	s_add_i32 s85, s13, s53
	s_mul_i32 s84, s50, s12
	s_mul_i32 s12, s36, s37
	s_add_u32 s80, s22, s84
	s_mul_i32 s12, s12, s10
	s_addc_u32 s81, s23, s85
	s_add_i32 s12, s14, s12
	s_mul_i32 s62, s12, 48
	s_lshl_b64 s[12:13], s[62:63], 3
	s_add_u32 s76, s28, s12
	s_addc_u32 s77, s29, s13
	s_mul_hi_u32 s12, s48, s10
	s_mul_i32 s13, s48, s15
	s_add_i32 s12, s12, s13
	s_mul_i32 s13, s49, s10
	s_add_i32 s62, s12, s13
	s_mul_i32 s53, s48, s10
	s_add_u32 s10, s20, s53
	s_mul_i32 s12, s11, s43
	s_addc_u32 s15, s21, s62
	s_ashr_i32 s13, s12, 31
	s_add_u32 s61, s10, s12
	s_addc_u32 s68, s15, s13
	s_ashr_i32 s15, s14, 31
	s_lshl_b64 s[10:11], s[14:15], 2
	s_add_u32 s14, s24, s10
	s_addc_u32 s15, s25, s11
	v_readlane_b32 s10, v175, 7
	v_readlane_b32 s11, v175, 8
	s_and_b64 s[10:11], s[10:11], exec
	s_cselect_b32 s79, 0, s15
	s_cselect_b32 s78, 0, s14
	s_cmp_lg_u32 s86, 0
	v_or_b32_e32 v85, s67, v152
	s_cbranch_scc0 .LBB14_44
; %bb.15:                               ;   in Loop: Header=BB14_12 Depth=1
	s_lshl_b32 s94, s93, 2
	v_add_u32_e32 v2, s94, v151
	v_cmp_le_i32_e64 s[10:11], s36, v2
	v_cmp_le_i32_e64 s[14:15], s3, v85
	v_cmp_gt_i32_e32 vcc, s3, v85
	s_or_b64 s[10:11], s[10:11], s[14:15]
	s_and_saveexec_b64 s[14:15], s[10:11]
	s_xor_b64 s[10:11], exec, s[14:15]
; %bb.16:                               ;   in Loop: Header=BB14_12 Depth=1
	v_add_u32_e32 v2, v148, v153
	ds_write_b32 v2, v45
                                        ; implicit-def: $vgpr2
; %bb.17:                               ;   in Loop: Header=BB14_12 Depth=1
	s_andn2_saveexec_b64 s[10:11], s[10:11]
	s_cbranch_execz .LBB14_19
; %bb.18:                               ;   in Loop: Header=BB14_12 Depth=1
	v_mad_u64_u32 v[2:3], s[14:15], v2, s57, v[84:85]
	v_ashrrev_i32_e32 v3, 31, v2
	v_lshl_add_u64 v[2:3], v[2:3], 3, s[82:83]
	global_load_dwordx2 v[2:3], v[2:3], off
	s_waitcnt vmcnt(0)
	v_cvt_pk_f16_f32 v2, v2, v3
	v_pk_mul_f16 v2, v2, v149
	v_add_u32_e32 v3, v148, v153
	ds_write_b32 v3, v2
.LBB14_19:                              ;   in Loop: Header=BB14_12 Depth=1
	s_or_b64 exec, exec, s[10:11]
	v_add_u32_e32 v2, s94, v121
	v_cmp_le_i32_e64 s[10:11], s36, v2
	s_xor_b64 s[14:15], vcc, -1
	s_or_b64 s[10:11], s[10:11], s[14:15]
	s_and_saveexec_b64 s[88:89], s[10:11]
	s_xor_b64 s[10:11], exec, s[88:89]
; %bb.20:                               ;   in Loop: Header=BB14_12 Depth=1
	v_add_u32_e32 v2, v148, v153
	ds_write_b32 v2, v45 offset:1664
                                        ; implicit-def: $vgpr2
; %bb.21:                               ;   in Loop: Header=BB14_12 Depth=1
	s_andn2_saveexec_b64 s[10:11], s[10:11]
	s_cbranch_execz .LBB14_23
; %bb.22:                               ;   in Loop: Header=BB14_12 Depth=1
	v_mad_u64_u32 v[2:3], s[88:89], v2, s57, v[84:85]
	v_ashrrev_i32_e32 v3, 31, v2
	v_lshl_add_u64 v[2:3], v[2:3], 3, s[82:83]
	global_load_dwordx2 v[2:3], v[2:3], off
	s_waitcnt vmcnt(0)
	v_cvt_pk_f16_f32 v2, v2, v3
	v_pk_mul_f16 v2, v2, v149
	v_add_u32_e32 v3, v148, v153
	ds_write_b32 v3, v2 offset:1664
.LBB14_23:                              ;   in Loop: Header=BB14_12 Depth=1
	s_or_b64 exec, exec, s[10:11]
	v_add_u32_e32 v2, s94, v122
	v_cmp_le_i32_e32 vcc, s36, v2
	s_or_b64 s[10:11], vcc, s[14:15]
	s_and_saveexec_b64 s[88:89], s[10:11]
	s_xor_b64 s[10:11], exec, s[88:89]
; %bb.24:                               ;   in Loop: Header=BB14_12 Depth=1
	v_add_u32_e32 v2, v148, v153
	ds_write_b32 v2, v45 offset:3328
                                        ; implicit-def: $vgpr2
; %bb.25:                               ;   in Loop: Header=BB14_12 Depth=1
	s_andn2_saveexec_b64 s[10:11], s[10:11]
	s_cbranch_execz .LBB14_27
; %bb.26:                               ;   in Loop: Header=BB14_12 Depth=1
	v_mad_u64_u32 v[2:3], s[88:89], v2, s57, v[84:85]
	v_ashrrev_i32_e32 v3, 31, v2
	v_lshl_add_u64 v[2:3], v[2:3], 3, s[82:83]
	global_load_dwordx2 v[2:3], v[2:3], off
	s_waitcnt vmcnt(0)
	v_cvt_pk_f16_f32 v2, v2, v3
	v_pk_mul_f16 v2, v2, v149
	v_add_u32_e32 v3, v148, v153
	ds_write_b32 v3, v2 offset:3328
.LBB14_27:                              ;   in Loop: Header=BB14_12 Depth=1
	s_or_b64 exec, exec, s[10:11]
	v_add_u32_e32 v2, s94, v123
	v_cmp_le_i32_e32 vcc, s36, v2
	s_or_b64 s[10:11], vcc, s[14:15]
	s_and_saveexec_b64 s[14:15], s[10:11]
	s_xor_b64 s[10:11], exec, s[14:15]
; %bb.28:                               ;   in Loop: Header=BB14_12 Depth=1
	v_add_u32_e32 v2, v148, v153
	ds_write_b32 v2, v45 offset:4992
                                        ; implicit-def: $vgpr2
; %bb.29:                               ;   in Loop: Header=BB14_12 Depth=1
	s_andn2_saveexec_b64 s[10:11], s[10:11]
	s_cbranch_execz .LBB14_31
; %bb.30:                               ;   in Loop: Header=BB14_12 Depth=1
	v_mad_u64_u32 v[2:3], s[14:15], v2, s57, v[84:85]
	v_ashrrev_i32_e32 v3, 31, v2
	v_lshl_add_u64 v[2:3], v[2:3], 3, s[82:83]
	global_load_dwordx2 v[2:3], v[2:3], off
	s_waitcnt vmcnt(0)
	v_cvt_pk_f16_f32 v2, v2, v3
	v_pk_mul_f16 v2, v2, v149
	v_add_u32_e32 v3, v148, v153
	ds_write_b32 v3, v2 offset:4992
.LBB14_31:                              ;   in Loop: Header=BB14_12 Depth=1
	s_or_b64 exec, exec, s[10:11]
	v_or_b32_e32 v2, s67, v125
	v_cmp_gt_i32_e32 vcc, s3, v2
	v_cmp_le_i32_e64 s[10:11], s3, v2
	v_add_u32_e32 v2, s94, v126
	v_cmp_le_i32_e64 s[14:15], s36, v2
	s_or_b64 s[10:11], s[14:15], s[10:11]
	s_and_saveexec_b64 s[14:15], s[10:11]
	s_xor_b64 s[10:11], exec, s[14:15]
; %bb.32:                               ;   in Loop: Header=BB14_12 Depth=1
	ds_write_b32 v128, v45 offset:128
                                        ; implicit-def: $vgpr2
; %bb.33:                               ;   in Loop: Header=BB14_12 Depth=1
	s_andn2_saveexec_b64 s[10:11], s[10:11]
	s_cbranch_execz .LBB14_35
; %bb.34:                               ;   in Loop: Header=BB14_12 Depth=1
	v_mad_u64_u32 v[2:3], s[14:15], v2, s57, v[70:71]
	v_ashrrev_i32_e32 v3, 31, v2
	v_lshl_add_u64 v[2:3], v[2:3], 3, s[82:83]
	global_load_dwordx2 v[2:3], v[2:3], off
	s_waitcnt vmcnt(0)
	v_cvt_pk_f16_f32 v2, v2, v3
	v_pk_mul_f16 v2, v2, v149
	v_add_u32_e32 v3, v124, v127
	ds_write_b32 v3, v2 offset:128
.LBB14_35:                              ;   in Loop: Header=BB14_12 Depth=1
	s_or_b64 exec, exec, s[10:11]
	v_add_u32_e32 v2, s94, v129
	v_cmp_le_i32_e64 s[10:11], s36, v2
	s_xor_b64 s[14:15], vcc, -1
	s_or_b64 s[10:11], s[10:11], s[14:15]
	s_and_saveexec_b64 s[14:15], s[10:11]
	s_xor_b64 s[10:11], exec, s[14:15]
; %bb.36:                               ;   in Loop: Header=BB14_12 Depth=1
	ds_write_b32 v154, v45 offset:128
                                        ; implicit-def: $vgpr2
; %bb.37:                               ;   in Loop: Header=BB14_12 Depth=1
	s_andn2_saveexec_b64 s[10:11], s[10:11]
	s_cbranch_execz .LBB14_39
; %bb.38:                               ;   in Loop: Header=BB14_12 Depth=1
	v_mad_u64_u32 v[2:3], s[14:15], v2, s57, v[70:71]
	v_ashrrev_i32_e32 v3, 31, v2
	v_lshl_add_u64 v[2:3], v[2:3], 3, s[82:83]
	global_load_dwordx2 v[2:3], v[2:3], off
	s_waitcnt vmcnt(0)
	v_cvt_pk_f16_f32 v2, v2, v3
	v_pk_mul_f16 v2, v2, v149
	v_add_u32_e32 v3, v124, v127
	ds_write_b32 v3, v2 offset:3456
.LBB14_39:                              ;   in Loop: Header=BB14_12 Depth=1
	s_or_b64 exec, exec, s[10:11]
	s_waitcnt lgkmcnt(0)
	s_barrier
	ds_read2_b64 v[10:13], v115 offset1:4
	ds_read2_b64 v[6:9], v115 offset0:8 offset1:12
	ds_read2_b64 v[2:5], v115 offset0:16 offset1:20
	s_add_i32 s87, s8, -1
	s_cmp_ge_i32 s86, s87
	s_waitcnt lgkmcnt(0)
	s_barrier
	s_cbranch_scc1 .LBB14_45
; %bb.40:                               ;   in Loop: Header=BB14_12 Depth=1
	v_add_u32_e32 v14, s94, v71
	v_mul_hi_u32 v15, s44, v14
	v_add_u32_e32 v15, v14, v15
	v_lshrrev_b32_e32 v15, s45, v15
	v_mul_lo_u32 v15, v15, s36
	v_readlane_b32 s10, v175, 25
	v_sub_u32_e32 v14, v14, v15
	v_readlane_b32 s11, v175, 26
	v_mad_i64_i32 v[14:15], s[10:11], v14, s10, 0
	v_lshl_add_u64 v[14:15], v[14:15], 1, s[80:81]
	v_lshlrev_b32_e32 v44, 1, v38
	v_lshl_add_u64 v[94:95], v[14:15], 0, v[44:45]
	v_and_b32_e32 v14, 64, v161
	v_add_u32_e32 v14, 64, v14
	v_xor_b32_e32 v15, 32, v161
	v_cmp_lt_i32_e32 vcc, v15, v14
	s_lshl_b32 s10, s86, 6
	v_mov_b32_e32 v26, 0
	v_cndmask_b32_e32 v15, v161, v15, vcc
	v_lshlrev_b32_e32 v102, 2, v15
	v_xor_b32_e32 v15, 16, v161
	v_cmp_lt_i32_e32 vcc, v15, v14
	v_mov_b32_e32 v17, 0xfeffffff
	v_mov_b32_e32 v16, 0
	v_cndmask_b32_e32 v14, v161, v15, vcc
	v_lshlrev_b32_e32 v103, 2, v14
	v_mov_b32_e32 v96, 0
	v_mov_b32_e32 v23, 0
	;; [unrolled: 1-line block ×11, first 2 shown]
	s_ashr_i32 s11, s10, 31
	s_and_saveexec_b64 s[14:15], s[4:5]
	s_cbranch_execz .LBB14_42
.LBB14_41:                              ;   in Loop: Header=BB14_12 Depth=1
	v_lshl_add_u64 v[14:15], s[10:11], 1, v[94:95]
	global_load_dword v14, v[14:15], off
	s_waitcnt vmcnt(0)
	ds_write_b32 v75, v14 offset:13312
.LBB14_42:                              ;   Parent Loop BB14_12 Depth=1
                                        ; =>  This Inner Loop Header: Depth=2
	s_or_b64 exec, exec, s[14:15]
	s_mul_hi_i32 s15, s10, s38
	s_mul_i32 s14, s10, s38
	s_lshl_b64 s[14:15], s[14:15], 2
	s_add_u32 s14, s69, s14
	s_addc_u32 s15, s33, s15
	v_lshl_add_u64 v[14:15], v[48:49], 2, s[14:15]
	v_lshlrev_b32_e32 v44, 2, v40
	v_lshl_add_u64 v[18:19], v[14:15], 0, v[44:45]
	v_lshl_add_u64 v[20:21], v[50:51], 2, s[14:15]
	v_lshlrev_b32_e32 v14, 2, v42
	v_mov_b32_e32 v15, v45
	v_lshl_add_u64 v[24:25], v[20:21], 0, v[14:15]
	v_lshl_add_u64 v[20:21], v[52:53], 2, s[14:15]
	;; [unrolled: 1-line block ×3, first 2 shown]
	global_load_dwordx4 v[18:21], v[18:19], off offset:128
	s_mul_hi_i32 s15, s10, s34
	s_mul_i32 s14, s10, s34
	s_lshl_b64 s[14:15], s[14:15], 2
	s_add_u32 s14, s61, s14
	s_addc_u32 s15, s68, s15
	s_add_i32 s86, s86, 1
	s_add_i32 s10, s10, 64
	s_cmp_lt_i32 s86, s87
	s_waitcnt vmcnt(0)
	ds_write_b128 v77, v[18:21]
	global_load_dwordx4 v[18:21], v[24:25], off
	v_add_u32_e32 v24, v73, v116
	s_waitcnt vmcnt(0)
	ds_write_b128 v79, v[18:21]
	global_load_dwordx4 v[18:21], v[28:29], off
	s_waitcnt vmcnt(0)
	ds_write_b128 v150, v[18:21]
	s_waitcnt lgkmcnt(0)
	s_barrier
	ds_read2_b64 v[18:21], v24 offset1:4
	s_waitcnt lgkmcnt(0)
	v_mfma_f32_16x16x16_f16 v[106:109], v[18:19], v[10:11], 0
	v_mfma_f32_16x16x16_f16 v[18:21], v[20:21], v[12:13], v[106:109]
	s_nop 6
	ds_read2_b64 v[106:109], v24 offset0:8 offset1:12
	s_waitcnt lgkmcnt(0)
	v_mfma_f32_16x16x16_f16 v[18:21], v[106:107], v[6:7], v[18:21]
	v_mfma_f32_16x16x16_f16 v[18:21], v[108:109], v[8:9], v[18:21]
	ds_read2_b64 v[106:109], v24 offset0:16 offset1:20
	v_add_u32_e32 v24, 0x1800, v24
	s_waitcnt lgkmcnt(0)
	v_mfma_f32_16x16x16_f16 v[18:21], v[106:107], v[2:3], v[18:21]
	v_mfma_f32_16x16x16_f16 v[18:21], v[108:109], v[4:5], v[18:21]
	ds_read2_b64 v[106:109], v24 offset0:64 offset1:68
	s_waitcnt lgkmcnt(0)
	v_mfma_f32_16x16x16_f16 v[164:167], v[106:107], v[10:11], 0
	v_mfma_f32_16x16x16_f16 v[106:109], v[108:109], v[12:13], v[164:167]
	s_nop 6
	ds_read2_b64 v[164:167], v24 offset0:72 offset1:76
	s_waitcnt lgkmcnt(0)
	v_mfma_f32_16x16x16_f16 v[106:109], v[164:165], v[6:7], v[106:109]
	v_mfma_f32_16x16x16_f16 v[106:109], v[166:167], v[8:9], v[106:109]
	ds_read2_b64 v[164:167], v24 offset0:80 offset1:84
	v_add_u32_e32 v24, 0x3400, v81
	s_waitcnt lgkmcnt(0)
	s_barrier
	ds_read2_b32 v[24:25], v24 offset1:1
	v_mfma_f32_16x16x16_f16 v[106:109], v[164:165], v[2:3], v[106:109]
	s_waitcnt lgkmcnt(0)
	v_cvt_f32_f16_e32 v28, v24
	v_cvt_f32_f16_sdwa v24, v24 dst_sel:DWORD dst_unused:UNUSED_PAD src0_sel:WORD_1
	v_add_f32_e32 v18, v18, v28
	v_add_f32_e32 v19, v19, v24
	v_cvt_f32_f16_e32 v24, v25
	v_mfma_f32_16x16x16_f16 v[106:109], v[166:167], v[4:5], v[106:109]
	v_cvt_f32_f16_sdwa v25, v25 dst_sel:DWORD dst_unused:UNUSED_PAD src0_sel:WORD_1
	v_add_f32_e32 v28, v20, v24
	ds_read_b32 v20, v117 offset:13312
	v_add_f32_e32 v21, v21, v25
	v_add_f32_e32 v29, 0x40051340, v21
	s_waitcnt lgkmcnt(0)
	v_cvt_f32_f16_e32 v24, v20
	v_cvt_f32_f16_sdwa v20, v20 dst_sel:DWORD dst_unused:UNUSED_PAD src0_sel:WORD_1
	v_add_f32_e32 v25, v106, v24
	v_add_f32_e32 v32, v107, v20
	ds_read_b32 v20, v118 offset:13312
	s_waitcnt lgkmcnt(0)
	v_cvt_f32_f16_e32 v24, v20
	v_cvt_f32_f16_sdwa v20, v20 dst_sel:DWORD dst_unused:UNUSED_PAD src0_sel:WORD_1
	v_add_f32_e32 v33, v108, v24
	v_add_f32_e32 v101, v109, v20
	;; [unrolled: 1-line block ×4, first 2 shown]
	v_max3_f32 v20, v17, v20, v24
	v_add_f32_e32 v24, 0x40051340, v28
	v_max3_f32 v20, v20, v24, v29
	v_add_f32_e32 v24, 0x40051340, v25
	v_add_f32_e32 v29, 0x40051340, v32
	v_max3_f32 v20, v20, v24, v29
	v_add_f32_e32 v24, 0x40051340, v33
	v_add_f32_e32 v29, 0x40051340, v101
	v_max3_f32 v20, v20, v24, v29
	ds_bpermute_b32 v24, v102, v20
	s_waitcnt lgkmcnt(0)
	v_max_f32_e32 v24, v24, v24
	v_max_f32_e32 v20, v20, v24
	ds_bpermute_b32 v24, v103, v20
	s_waitcnt lgkmcnt(0)
	v_max_f32_e32 v24, v24, v24
	v_max_f32_e32 v100, v20, v24
	v_sub_f32_e32 v18, v18, v100
	v_mul_f32_e32 v20, 0x3fb8aa3b, v18
	v_fma_f32 v24, v18, s47, -v20
	v_rndne_f32_e32 v29, v20
	v_fmac_f32_e32 v24, 0x32a5705f, v18
	v_sub_f32_e32 v20, v20, v29
	v_add_f32_e32 v20, v20, v24
	v_exp_f32_e32 v20, v20
	v_cvt_i32_f32_e32 v24, v29
	v_cmp_ngt_f32_e32 vcc, s2, v18
	v_sub_f32_e32 v17, v17, v100
	v_ldexp_f32 v20, v20, v24
	v_cndmask_b32_e32 v20, 0, v20, vcc
	v_cmp_nlt_f32_e32 vcc, s46, v18
	v_sub_f32_e32 v18, v19, v100
	v_mul_f32_e32 v19, 0x3fb8aa3b, v18
	v_fma_f32 v24, v18, s47, -v19
	v_rndne_f32_e32 v29, v19
	v_fmac_f32_e32 v24, 0x32a5705f, v18
	v_sub_f32_e32 v19, v19, v29
	v_add_f32_e32 v19, v19, v24
	v_exp_f32_e32 v19, v19
	v_cvt_i32_f32_e32 v24, v29
	v_cndmask_b32_e32 v20, v162, v20, vcc
	v_cmp_ngt_f32_e32 vcc, s2, v18
	v_ldexp_f32 v19, v19, v24
	s_nop 0
	v_cndmask_b32_e32 v19, 0, v19, vcc
	v_cmp_nlt_f32_e32 vcc, s46, v18
	s_nop 1
	v_cndmask_b32_e32 v24, v162, v19, vcc
	v_sub_f32_e32 v19, v28, v100
	v_mul_f32_e32 v28, 0x3fb8aa3b, v19
	v_fma_f32 v29, v19, s47, -v28
	v_rndne_f32_e32 v106, v28
	v_fmac_f32_e32 v29, 0x32a5705f, v19
	v_sub_f32_e32 v28, v28, v106
	v_add_f32_e32 v28, v28, v29
	v_exp_f32_e32 v28, v28
	v_cvt_i32_f32_e32 v29, v106
	v_cmp_ngt_f32_e32 vcc, s2, v19
	v_add_f32_e32 v18, v20, v24
	v_ldexp_f32 v28, v28, v29
	v_cndmask_b32_e32 v28, 0, v28, vcc
	v_cmp_nlt_f32_e32 vcc, s46, v19
	v_sub_f32_e32 v19, v21, v100
	v_mul_f32_e32 v21, 0x3fb8aa3b, v19
	v_fma_f32 v29, v19, s47, -v21
	v_rndne_f32_e32 v106, v21
	v_fmac_f32_e32 v29, 0x32a5705f, v19
	v_sub_f32_e32 v21, v21, v106
	v_add_f32_e32 v21, v21, v29
	v_exp_f32_e32 v21, v21
	v_cvt_i32_f32_e32 v29, v106
	v_cndmask_b32_e32 v28, v162, v28, vcc
	v_cmp_ngt_f32_e32 vcc, s2, v19
	v_add_f32_e32 v18, v28, v18
	v_ldexp_f32 v21, v21, v29
	v_cndmask_b32_e32 v21, 0, v21, vcc
	v_cmp_nlt_f32_e32 vcc, s46, v19
	s_nop 1
	v_cndmask_b32_e32 v29, v162, v21, vcc
	v_add_f32_e32 v19, v29, v18
	v_sub_f32_e32 v18, v25, v100
	v_mul_f32_e32 v21, 0x3fb8aa3b, v18
	v_fma_f32 v25, v18, s47, -v21
	v_rndne_f32_e32 v106, v21
	v_fmac_f32_e32 v25, 0x32a5705f, v18
	v_sub_f32_e32 v21, v21, v106
	v_add_f32_e32 v21, v21, v25
	v_exp_f32_e32 v21, v21
	v_cvt_i32_f32_e32 v25, v106
	v_cmp_ngt_f32_e32 vcc, s2, v18
	v_ldexp_f32 v21, v21, v25
	s_nop 0
	v_cndmask_b32_e32 v21, 0, v21, vcc
	v_cmp_nlt_f32_e32 vcc, s46, v18
	s_nop 1
	v_cndmask_b32_e32 v18, v162, v21, vcc
	v_add_f32_e32 v21, v18, v19
	v_sub_f32_e32 v19, v32, v100
	v_mul_f32_e32 v25, 0x3fb8aa3b, v19
	v_fma_f32 v32, v19, s47, -v25
	v_rndne_f32_e32 v106, v25
	v_fmac_f32_e32 v32, 0x32a5705f, v19
	v_sub_f32_e32 v25, v25, v106
	v_add_f32_e32 v25, v25, v32
	v_exp_f32_e32 v25, v25
	v_cvt_i32_f32_e32 v32, v106
	v_cmp_ngt_f32_e32 vcc, s2, v19
	v_ldexp_f32 v25, v25, v32
	s_nop 0
	;; [unrolled: 17-line block ×4, first 2 shown]
	v_cndmask_b32_e32 v33, 0, v33, vcc
	v_cmp_nlt_f32_e32 vcc, s46, v25
	s_nop 1
	v_cndmask_b32_e32 v25, v162, v33, vcc
	v_add_f32_e32 v101, v25, v32
	v_mul_f32_e32 v32, 0x3fb8aa3b, v17
	v_fma_f32 v33, v17, s47, -v32
	v_rndne_f32_e32 v106, v32
	v_fmac_f32_e32 v33, 0x32a5705f, v17
	v_sub_f32_e32 v32, v32, v106
	v_add_f32_e32 v32, v32, v33
	v_exp_f32_e32 v32, v32
	v_cvt_i32_f32_e32 v33, v106
	v_cmp_ngt_f32_e32 vcc, s2, v17
	v_ldexp_f32 v32, v32, v33
	s_nop 0
	v_cndmask_b32_e32 v32, 0, v32, vcc
	v_cmp_nlt_f32_e32 vcc, s46, v17
	s_nop 1
	v_cndmask_b32_e32 v32, v162, v32, vcc
	v_cmp_le_f32_e32 vcc, s64, v17
	s_nop 1
	v_cndmask_b32_e32 v17, 0, v32, vcc
	v_fmac_f32_e32 v101, v16, v17
	v_cvt_f16_f32_e32 v16, v17
	v_mul_u32_u24_e32 v16, 0x10001, v16
	v_pk_mul_f16 v107, v105, v16
	v_pk_mul_f16 v106, v104, v16
	;; [unrolled: 1-line block ×12, first 2 shown]
	v_lshl_add_u64 v[16:17], v[54:55], 2, s[14:15]
	v_lshl_add_u64 v[16:17], v[16:17], 0, v[44:45]
	global_load_dwordx4 v[96:99], v[16:17], off offset:128
	v_lshl_add_u64 v[16:17], v[56:57], 2, s[14:15]
	v_lshl_add_u64 v[16:17], v[16:17], 0, v[14:15]
	v_cvt_f32_f16_sdwa v109, v22 dst_sel:DWORD dst_unused:UNUSED_PAD src0_sel:WORD_1
	s_waitcnt vmcnt(0)
	ds_write_b128 v77, v[96:99]
	global_load_dwordx4 v[96:99], v[16:17], off
	v_lshl_add_u64 v[16:17], v[58:59], 2, s[14:15]
	v_lshl_add_u64 v[14:15], v[16:17], 0, v[14:15]
	global_load_dwordx4 v[14:17], v[14:15], off
	s_waitcnt vmcnt(1)
	ds_write_b128 v79, v[96:99]
	v_cvt_pk_f16_f32 v99, v28, v29
	v_cvt_pk_f16_f32 v98, v20, v24
	s_waitcnt vmcnt(0)
	ds_write_b128 v150, v[14:17]
	s_waitcnt lgkmcnt(0)
	s_barrier
	ds_read_u16 v44, v83 offset:208
	v_cvt_f32_f16_e32 v14, v107
	v_cvt_f32_f16_sdwa v15, v107 dst_sel:DWORD dst_unused:UNUSED_PAD src0_sel:WORD_1
	v_cvt_f32_f16_e32 v16, v106
	v_cvt_f32_f16_sdwa v17, v106 dst_sel:DWORD dst_unused:UNUSED_PAD src0_sel:WORD_1
	ds_read_u16 v96, v112
	ds_read_u16 v106, v112 offset:32
	ds_read_u16 v97, v113
	ds_read_u16 v107, v113 offset:32
	s_waitcnt lgkmcnt(1)
	v_perm_b32 v97, v97, v96, s65
	ds_read_u16 v96, v83
	ds_read_u16 v108, v83 offset:32
	ds_read_u16 v20, v83 offset:6656
	;; [unrolled: 1-line block ×5, first 2 shown]
	s_waitcnt lgkmcnt(5)
	v_perm_b32 v96, v44, v96, s65
	s_nop 1
	v_mfma_f32_16x16x16_f16 v[14:17], v[96:97], v[98:99], v[14:17]
	s_waitcnt lgkmcnt(0)
	v_perm_b32 v29, v29, v28, s65
	v_perm_b32 v28, v24, v20, s65
	ds_read_u16 v24, v83 offset:240
	s_nop 3
	v_cvt_f16_f32_e32 v14, v14
	v_cvt_f16_f32_e32 v15, v15
	;; [unrolled: 1-line block ×4, first 2 shown]
	v_cvt_pk_f16_f32 v97, v21, v25
	v_perm_b32 v25, v107, v106, s65
	s_waitcnt lgkmcnt(0)
	v_perm_b32 v24, v24, v108, s65
	v_cvt_pk_f16_f32 v96, v18, v19
	v_cvt_f32_f16_e32 v18, v33
	v_cvt_f32_f16_sdwa v19, v33 dst_sel:DWORD dst_unused:UNUSED_PAD src0_sel:WORD_1
	v_cvt_f32_f16_e32 v20, v32
	v_cvt_f32_f16_sdwa v21, v32 dst_sel:DWORD dst_unused:UNUSED_PAD src0_sel:WORD_1
	v_cvt_f32_f16_e32 v14, v14
	v_cvt_f32_f16_e32 v15, v15
	;; [unrolled: 1-line block ×4, first 2 shown]
	v_mfma_f32_16x16x16_f16 v[18:21], v[24:25], v[98:99], v[18:21]
	v_cvt_f32_f16_e32 v106, v23
	v_cvt_f32_f16_sdwa v107, v23 dst_sel:DWORD dst_unused:UNUSED_PAD src0_sel:WORD_1
	v_cvt_f32_f16_e32 v108, v22
	v_mfma_f32_16x16x16_f16 v[14:17], v[28:29], v[96:97], v[14:17]
	ds_read_u16 v24, v83 offset:6688
	ds_read_u16 v28, v83 offset:6896
	;; [unrolled: 1-line block ×4, first 2 shown]
	v_cvt_f16_f32_e32 v18, v18
	v_cvt_f16_f32_e32 v19, v19
	v_cvt_f16_f32_e32 v20, v20
	v_cvt_f16_f32_e32 v21, v21
	s_waitcnt lgkmcnt(0)
	v_perm_b32 v25, v29, v25, s65
	v_perm_b32 v24, v28, v24, s65
	v_cvt_f32_f16_e32 v18, v18
	v_cvt_f32_f16_e32 v19, v19
	;; [unrolled: 1-line block ×4, first 2 shown]
	s_nop 1
	v_mfma_f32_16x16x16_f16 v[18:21], v[24:25], v[96:97], v[18:21]
	ds_read_u16 v24, v83 offset:64
	ds_read_u16 v25, v83 offset:272
	;; [unrolled: 1-line block ×4, first 2 shown]
	s_waitcnt lgkmcnt(2)
	v_perm_b32 v22, v25, v24, s65
	s_waitcnt lgkmcnt(0)
	v_perm_b32 v23, v29, v28, s65
	ds_read_u16 v28, v83 offset:6720
	ds_read_u16 v32, v83 offset:6928
	ds_read_u16 v29, v112 offset:6720
	ds_read_u16 v33, v113 offset:6720
	v_mfma_f32_16x16x16_f16 v[22:25], v[22:23], v[98:99], v[106:109]
	s_waitcnt lgkmcnt(0)
	v_perm_b32 v29, v33, v29, s65
	v_perm_b32 v28, v32, v28, s65
	v_cvt_f32_f16_e32 v106, v27
	s_nop 3
	v_cvt_f16_f32_e32 v22, v22
	v_cvt_f16_f32_e32 v23, v23
	;; [unrolled: 1-line block ×4, first 2 shown]
	v_cvt_f32_f16_e32 v22, v22
	v_cvt_f32_f16_e32 v23, v23
	;; [unrolled: 1-line block ×4, first 2 shown]
	v_cvt_f32_f16_sdwa v107, v27 dst_sel:DWORD dst_unused:UNUSED_PAD src0_sel:WORD_1
	v_cvt_f32_f16_e32 v108, v26
	v_mfma_f32_16x16x16_f16 v[22:25], v[28:29], v[96:97], v[22:25]
	ds_read_u16 v28, v83 offset:96
	ds_read_u16 v29, v83 offset:304
	;; [unrolled: 1-line block ×4, first 2 shown]
	v_cvt_f32_f16_sdwa v109, v26 dst_sel:DWORD dst_unused:UNUSED_PAD src0_sel:WORD_1
	s_waitcnt lgkmcnt(2)
	v_perm_b32 v26, v29, v28, s65
	s_nop 0
	v_cvt_pk_f16_f32 v23, v22, v23
	s_waitcnt lgkmcnt(0)
	v_perm_b32 v27, v33, v32, s65
	v_cvt_pk_f16_f32 v22, v24, v25
	s_nop 0
	v_mfma_f32_16x16x16_f16 v[26:29], v[26:27], v[98:99], v[106:109]
	ds_read_u16 v32, v83 offset:6752
	ds_read_u16 v44, v83 offset:6960
	;; [unrolled: 1-line block ×4, first 2 shown]
	v_cvt_f32_f16_sdwa v107, v31 dst_sel:DWORD dst_unused:UNUSED_PAD src0_sel:WORD_1
	v_cvt_f32_f16_e32 v108, v30
	s_nop 1
	v_cvt_f16_f32_e32 v26, v26
	v_cvt_f16_f32_e32 v27, v27
	;; [unrolled: 1-line block ×4, first 2 shown]
	s_waitcnt lgkmcnt(0)
	v_perm_b32 v33, v106, v33, s65
	v_perm_b32 v32, v44, v32, s65
	v_cvt_f32_f16_e32 v26, v26
	v_cvt_f32_f16_e32 v27, v27
	;; [unrolled: 1-line block ×5, first 2 shown]
	v_cvt_f32_f16_sdwa v109, v30 dst_sel:DWORD dst_unused:UNUSED_PAD src0_sel:WORD_1
	v_mfma_f32_16x16x16_f16 v[26:29], v[32:33], v[96:97], v[26:29]
	ds_read_u16 v32, v83 offset:128
	ds_read_u16 v33, v83 offset:336
	;; [unrolled: 1-line block ×4, first 2 shown]
	s_waitcnt lgkmcnt(2)
	v_perm_b32 v30, v33, v32, s65
	s_nop 1
	v_cvt_pk_f16_f32 v26, v26, v27
	s_waitcnt lgkmcnt(0)
	v_perm_b32 v31, v110, v44, s65
	v_cvt_pk_f16_f32 v27, v20, v21
	s_nop 0
	v_mfma_f32_16x16x16_f16 v[30:33], v[30:31], v[98:99], v[106:109]
	ds_read_u16 v44, v83 offset:6784
	s_nop 1
	ds_read_u16 v106, v83 offset:6992
	ds_read_u16 v107, v112 offset:6784
	;; [unrolled: 1-line block ×3, first 2 shown]
	v_cvt_f32_f16_sdwa v109, v104 dst_sel:DWORD dst_unused:UNUSED_PAD src0_sel:WORD_1
	s_nop 0
	v_cvt_f16_f32_e32 v30, v30
	v_cvt_f16_f32_e32 v31, v31
	v_cvt_f16_f32_e32 v32, v32
	v_cvt_f16_f32_e32 v33, v33
	s_waitcnt lgkmcnt(0)
	v_perm_b32 v107, v108, v107, s65
	v_perm_b32 v106, v106, v44, s65
	ds_read_u16 v44, v83 offset:160
	ds_read_u16 v110, v83 offset:368
	;; [unrolled: 1-line block ×4, first 2 shown]
	v_cvt_f32_f16_e32 v30, v30
	v_cvt_f32_f16_e32 v31, v31
	;; [unrolled: 1-line block ×5, first 2 shown]
	s_waitcnt lgkmcnt(2)
	v_perm_b32 v104, v110, v44, s65
	v_mfma_f32_16x16x16_f16 v[30:33], v[106:107], v[96:97], v[30:33]
	v_cvt_f32_f16_e32 v106, v105
	v_cvt_f32_f16_sdwa v107, v105 dst_sel:DWORD dst_unused:UNUSED_PAD src0_sel:WORD_1
	s_waitcnt lgkmcnt(0)
	v_perm_b32 v105, v163, v111, s65
	s_nop 1
	v_mfma_f32_16x16x16_f16 v[104:107], v[104:105], v[98:99], v[106:109]
	s_nop 0
	v_cvt_pk_f16_f32 v31, v30, v31
	v_cvt_pk_f16_f32 v30, v32, v33
	s_nop 4
	v_cvt_f16_f32_e32 v99, v104
	v_cvt_f16_f32_e32 v104, v105
	;; [unrolled: 1-line block ×4, first 2 shown]
	ds_read_u16 v44, v83 offset:6816
	ds_read_u16 v98, v83 offset:7024
	;; [unrolled: 1-line block ×4, first 2 shown]
	v_cvt_f32_f16_e32 v108, v99
	v_cvt_f32_f16_e32 v109, v104
	s_waitcnt lgkmcnt(2)
	v_perm_b32 v98, v98, v44, s65
	v_cvt_f32_f16_e32 v110, v105
	s_waitcnt lgkmcnt(0)
	v_perm_b32 v99, v163, v107, s65
	v_cvt_f32_f16_e32 v111, v106
	v_cvt_pk_f16_f32 v105, v14, v15
	v_cvt_pk_f16_f32 v104, v16, v17
	v_mfma_f32_16x16x16_f16 v[106:109], v[98:99], v[96:97], v[108:111]
	v_cvt_pk_f16_f32 v96, v28, v29
	v_cvt_pk_f16_f32 v99, v18, v19
	s_barrier
	s_nop 4
	v_cvt_pk_f16_f32 v98, v106, v107
	v_cvt_pk_f16_f32 v97, v108, v109
	s_cbranch_scc0 .LBB14_46
; %bb.43:                               ;   in Loop: Header=BB14_42 Depth=2
	v_mov_b32_e32 v16, v101
	v_mov_b32_e32 v17, v100
	s_ashr_i32 s11, s10, 31
	s_and_saveexec_b64 s[14:15], s[4:5]
	s_cbranch_execnz .LBB14_41
	s_branch .LBB14_42
.LBB14_44:                              ;   in Loop: Header=BB14_12 Depth=1
	s_cbranch_execz .LBB14_11
	s_branch .LBB14_116
.LBB14_45:                              ;   in Loop: Header=BB14_12 Depth=1
	v_mov_b32_e32 v100, 0xfeffffff
	v_mov_b32_e32 v101, 0
	;; [unrolled: 1-line block ×14, first 2 shown]
.LBB14_46:                              ;   in Loop: Header=BB14_12 Depth=1
	s_lshl_b32 s10, s86, 6
	s_ashr_i32 s11, s10, 31
	s_and_saveexec_b64 s[14:15], s[4:5]
	s_cbranch_execz .LBB14_48
; %bb.47:                               ;   in Loop: Header=BB14_12 Depth=1
	v_or_b32_e32 v14, s94, v71
	v_mul_hi_u32 v15, s44, v14
	v_add_u32_e32 v15, v14, v15
	v_lshrrev_b32_e32 v15, s45, v15
	s_lshl_b64 s[86:87], s[10:11], 1
	v_mul_lo_u32 v15, v15, s36
	v_readlane_b32 s88, v175, 25
	s_add_u32 s86, s80, s86
	v_sub_u32_e32 v14, v14, v15
	v_readlane_b32 s89, v175, 26
	s_addc_u32 s87, s81, s87
	v_mad_i64_i32 v[14:15], s[88:89], v14, s88, 0
	v_lshl_add_u64 v[14:15], v[14:15], 1, s[86:87]
	v_lshlrev_b32_e32 v44, 1, v38
	v_lshl_add_u64 v[14:15], v[14:15], 0, v[44:45]
	global_load_dword v14, v[14:15], off
	s_waitcnt vmcnt(0)
	ds_write_b32 v75, v14 offset:13312
.LBB14_48:                              ;   in Loop: Header=BB14_12 Depth=1
	s_or_b64 exec, exec, s[14:15]
	s_mul_hi_i32 s15, s10, s38
	s_mul_i32 s14, s10, s38
	s_lshl_b64 s[14:15], s[14:15], 2
	s_add_u32 s14, s69, s14
	s_addc_u32 s15, s33, s15
	v_lshl_add_u64 v[14:15], v[48:49], 2, s[14:15]
	v_lshlrev_b32_e32 v44, 2, v40
	v_lshl_add_u64 v[16:17], v[14:15], 0, v[44:45]
	v_lshl_add_u64 v[18:19], v[50:51], 2, s[14:15]
	v_lshlrev_b32_e32 v14, 2, v42
	v_mov_b32_e32 v15, v45
	v_lshl_add_u64 v[20:21], v[18:19], 0, v[14:15]
	v_lshl_add_u64 v[18:19], v[52:53], 2, s[14:15]
	;; [unrolled: 1-line block ×3, first 2 shown]
	global_load_dwordx4 v[16:19], v[16:17], off offset:128
	s_mul_hi_i32 s11, s10, s34
	s_mul_i32 s10, s10, s34
	s_lshl_b64 s[10:11], s[10:11], 2
	s_add_u32 s10, s61, s10
	s_addc_u32 s11, s68, s11
	s_cmp_lg_u64 s[78:79], 0
	s_waitcnt vmcnt(0)
	ds_write_b128 v77, v[16:19]
	global_load_dwordx4 v[16:19], v[20:21], off
	v_add_u32_e32 v20, v73, v116
	s_waitcnt vmcnt(0)
	ds_write_b128 v79, v[16:19]
	global_load_dwordx4 v[16:19], v[24:25], off
	s_waitcnt vmcnt(0)
	ds_write_b128 v150, v[16:19]
	s_waitcnt lgkmcnt(0)
	s_barrier
	ds_read2_b64 v[16:19], v20 offset1:4
	s_waitcnt lgkmcnt(0)
	v_mfma_f32_16x16x16_f16 v[106:109], v[16:17], v[10:11], 0
	v_mfma_f32_16x16x16_f16 v[16:19], v[18:19], v[12:13], v[106:109]
	s_nop 6
	ds_read2_b64 v[106:109], v20 offset0:8 offset1:12
	s_waitcnt lgkmcnt(0)
	v_mfma_f32_16x16x16_f16 v[16:19], v[106:107], v[6:7], v[16:19]
	v_mfma_f32_16x16x16_f16 v[16:19], v[108:109], v[8:9], v[16:19]
	ds_read2_b64 v[106:109], v20 offset0:16 offset1:20
	v_add_u32_e32 v20, 0x1800, v20
	s_waitcnt lgkmcnt(0)
	v_mfma_f32_16x16x16_f16 v[16:19], v[106:107], v[2:3], v[16:19]
	v_mfma_f32_16x16x16_f16 v[16:19], v[108:109], v[4:5], v[16:19]
	ds_read2_b64 v[106:109], v20 offset0:64 offset1:68
	s_waitcnt lgkmcnt(0)
	v_mfma_f32_16x16x16_f16 v[164:167], v[106:107], v[10:11], 0
	v_mfma_f32_16x16x16_f16 v[10:13], v[108:109], v[12:13], v[164:167]
	ds_read2_b64 v[106:109], v20 offset0:72 offset1:76
	s_waitcnt lgkmcnt(0)
	v_mfma_f32_16x16x16_f16 v[10:13], v[106:107], v[6:7], v[10:13]
	v_mfma_f32_16x16x16_f16 v[6:9], v[108:109], v[8:9], v[10:13]
	s_nop 6
	ds_read2_b64 v[10:13], v20 offset0:80 offset1:84
	s_waitcnt lgkmcnt(0)
	v_mfma_f32_16x16x16_f16 v[6:9], v[10:11], v[2:3], v[6:9]
	v_add_u32_e32 v2, 0x3400, v81
	s_barrier
	ds_read2_b32 v[2:3], v2 offset1:1
	v_mfma_f32_16x16x16_f16 v[10:13], v[12:13], v[4:5], v[6:9]
	s_waitcnt lgkmcnt(0)
	v_cvt_f32_f16_e32 v4, v2
	v_cvt_f32_f16_sdwa v2, v2 dst_sel:DWORD dst_unused:UNUSED_PAD src0_sel:WORD_1
	s_nop 0
	v_add_f32_e32 v6, v16, v4
	v_add_f32_e32 v7, v17, v2
	v_cvt_f32_f16_e32 v2, v3
	v_cvt_f32_f16_sdwa v3, v3 dst_sel:DWORD dst_unused:UNUSED_PAD src0_sel:WORD_1
	v_add_f32_e32 v8, v18, v2
	ds_read_b32 v2, v117 offset:13312
	v_add_f32_e32 v9, v19, v3
	s_waitcnt lgkmcnt(0)
	v_cvt_f32_f16_e32 v3, v2
	v_cvt_f32_f16_sdwa v2, v2 dst_sel:DWORD dst_unused:UNUSED_PAD src0_sel:WORD_1
	v_add_f32_e32 v5, v10, v3
	v_add_f32_e32 v4, v11, v2
	ds_read_b32 v2, v118 offset:13312
	v_add_f32_e32 v10, 0x40051340, v6
	v_add_f32_e32 v11, 0x40051340, v7
	v_max3_f32 v10, v100, v10, v11
	v_add_f32_e32 v11, 0x40051340, v8
	s_waitcnt lgkmcnt(0)
	v_cvt_f32_f16_e32 v3, v2
	v_cvt_f32_f16_sdwa v2, v2 dst_sel:DWORD dst_unused:UNUSED_PAD src0_sel:WORD_1
	v_add_f32_e32 v3, v12, v3
	v_add_f32_e32 v12, 0x40051340, v9
	;; [unrolled: 1-line block ×3, first 2 shown]
	v_max3_f32 v10, v10, v11, v12
	v_add_f32_e32 v11, 0x40051340, v5
	v_add_f32_e32 v12, 0x40051340, v4
	v_max3_f32 v10, v10, v11, v12
	v_add_f32_e32 v11, 0x40051340, v3
	v_add_f32_e32 v12, 0x40051340, v2
	v_max3_f32 v10, v10, v11, v12
	v_and_b32_e32 v11, 64, v161
	v_add_u32_e32 v11, 64, v11
	v_xor_b32_e32 v12, 32, v161
	v_cmp_lt_i32_e32 vcc, v12, v11
	s_nop 1
	v_cndmask_b32_e32 v12, v161, v12, vcc
	v_lshlrev_b32_e32 v17, 2, v12
	ds_bpermute_b32 v12, v17, v10
	s_waitcnt lgkmcnt(0)
	v_max_f32_e32 v12, v12, v12
	v_max_f32_e32 v10, v10, v12
	v_xor_b32_e32 v12, 16, v161
	v_cmp_lt_i32_e32 vcc, v12, v11
	s_nop 1
	v_cndmask_b32_e32 v11, v161, v12, vcc
	v_lshlrev_b32_e32 v20, 2, v11
	ds_bpermute_b32 v11, v20, v10
	s_waitcnt lgkmcnt(0)
	v_max_f32_e32 v11, v11, v11
	v_max_f32_e32 v16, v10, v11
	v_sub_f32_e32 v6, v6, v16
	v_mul_f32_e32 v10, 0x3fb8aa3b, v6
	v_fma_f32 v11, v6, s47, -v10
	v_rndne_f32_e32 v12, v10
	v_fmac_f32_e32 v11, 0x32a5705f, v6
	v_sub_f32_e32 v10, v10, v12
	v_add_f32_e32 v10, v10, v11
	v_exp_f32_e32 v10, v10
	v_cvt_i32_f32_e32 v11, v12
	v_cmp_ngt_f32_e32 vcc, s2, v6
	v_sub_f32_e32 v7, v7, v16
	v_sub_f32_e32 v8, v8, v16
	v_ldexp_f32 v10, v10, v11
	v_cndmask_b32_e32 v10, 0, v10, vcc
	v_cmp_nlt_f32_e32 vcc, s46, v6
	v_sub_f32_e32 v9, v9, v16
	v_sub_f32_e32 v5, v5, v16
	v_cndmask_b32_e32 v6, v162, v10, vcc
	v_mul_f32_e32 v10, 0x3fb8aa3b, v7
	v_fma_f32 v11, v7, s47, -v10
	v_rndne_f32_e32 v12, v10
	v_fmac_f32_e32 v11, 0x32a5705f, v7
	v_sub_f32_e32 v10, v10, v12
	v_add_f32_e32 v10, v10, v11
	v_exp_f32_e32 v10, v10
	v_cvt_i32_f32_e32 v11, v12
	v_cmp_ngt_f32_e32 vcc, s2, v7
	v_sub_f32_e32 v4, v4, v16
	v_sub_f32_e32 v3, v3, v16
	v_ldexp_f32 v10, v10, v11
	v_mul_f32_e32 v11, 0x3fb8aa3b, v8
	v_fma_f32 v12, v8, s47, -v11
	v_rndne_f32_e32 v13, v11
	v_fmac_f32_e32 v12, 0x32a5705f, v8
	v_sub_f32_e32 v11, v11, v13
	v_add_f32_e32 v11, v11, v12
	v_exp_f32_e32 v11, v11
	v_cvt_i32_f32_e32 v12, v13
	v_cndmask_b32_e32 v10, 0, v10, vcc
	v_cmp_nlt_f32_e32 vcc, s46, v7
	v_sub_f32_e32 v2, v2, v16
	v_ldexp_f32 v11, v11, v12
	v_cndmask_b32_e32 v7, v162, v10, vcc
	v_cmp_ngt_f32_e32 vcc, s2, v8
	v_add_f32_e32 v10, v6, v7
	s_nop 0
	v_cndmask_b32_e32 v11, 0, v11, vcc
	v_cmp_nlt_f32_e32 vcc, s46, v8
	s_nop 1
	v_cndmask_b32_e32 v8, v162, v11, vcc
	v_mul_f32_e32 v11, 0x3fb8aa3b, v9
	v_fma_f32 v12, v9, s47, -v11
	v_rndne_f32_e32 v13, v11
	v_fmac_f32_e32 v12, 0x32a5705f, v9
	v_sub_f32_e32 v11, v11, v13
	v_add_f32_e32 v11, v11, v12
	v_exp_f32_e32 v11, v11
	v_cvt_i32_f32_e32 v12, v13
	v_cmp_ngt_f32_e32 vcc, s2, v9
	v_add_f32_e32 v10, v8, v10
	v_ldexp_f32 v11, v11, v12
	v_cndmask_b32_e32 v11, 0, v11, vcc
	v_cmp_nlt_f32_e32 vcc, s46, v9
	s_nop 1
	v_cndmask_b32_e32 v9, v162, v11, vcc
	v_mul_f32_e32 v11, 0x3fb8aa3b, v5
	v_fma_f32 v12, v5, s47, -v11
	v_rndne_f32_e32 v13, v11
	v_fmac_f32_e32 v12, 0x32a5705f, v5
	v_sub_f32_e32 v11, v11, v13
	v_add_f32_e32 v11, v11, v12
	v_exp_f32_e32 v11, v11
	v_cvt_i32_f32_e32 v12, v13
	v_cmp_ngt_f32_e32 vcc, s2, v5
	v_add_f32_e32 v10, v9, v10
	v_ldexp_f32 v11, v11, v12
	v_cndmask_b32_e32 v11, 0, v11, vcc
	v_cmp_nlt_f32_e32 vcc, s46, v5
	s_nop 1
	v_cndmask_b32_e32 v28, v162, v11, vcc
	v_add_f32_e32 v5, v28, v10
	v_mul_f32_e32 v10, 0x3fb8aa3b, v4
	v_fma_f32 v11, v4, s47, -v10
	v_rndne_f32_e32 v12, v10
	v_fmac_f32_e32 v11, 0x32a5705f, v4
	v_sub_f32_e32 v10, v10, v12
	v_add_f32_e32 v10, v10, v11
	v_exp_f32_e32 v10, v10
	v_cvt_i32_f32_e32 v11, v12
	v_cmp_ngt_f32_e32 vcc, s2, v4
	v_ldexp_f32 v10, v10, v11
	s_nop 0
	v_cndmask_b32_e32 v10, 0, v10, vcc
	v_cmp_nlt_f32_e32 vcc, s46, v4
	s_nop 1
	v_cndmask_b32_e32 v29, v162, v10, vcc
	v_add_f32_e32 v4, v29, v5
	v_mul_f32_e32 v5, 0x3fb8aa3b, v3
	v_fma_f32 v10, v3, s47, -v5
	v_rndne_f32_e32 v11, v5
	v_fmac_f32_e32 v10, 0x32a5705f, v3
	v_sub_f32_e32 v5, v5, v11
	v_add_f32_e32 v5, v5, v10
	v_exp_f32_e32 v5, v5
	v_cvt_i32_f32_e32 v10, v11
	v_cmp_ngt_f32_e32 vcc, s2, v3
	v_ldexp_f32 v5, v5, v10
	s_nop 0
	;; [unrolled: 16-line block ×3, first 2 shown]
	v_cndmask_b32_e32 v4, 0, v4, vcc
	v_cmp_nlt_f32_e32 vcc, s46, v2
	v_sub_f32_e32 v2, v100, v16
	s_nop 0
	v_cndmask_b32_e32 v33, v162, v4, vcc
	v_add_f32_e32 v21, v33, v3
	v_mul_f32_e32 v3, 0x3fb8aa3b, v2
	v_fma_f32 v4, v2, s47, -v3
	v_rndne_f32_e32 v5, v3
	v_fmac_f32_e32 v4, 0x32a5705f, v2
	v_sub_f32_e32 v3, v3, v5
	v_add_f32_e32 v3, v3, v4
	v_exp_f32_e32 v3, v3
	v_cvt_i32_f32_e32 v4, v5
	v_cmp_ngt_f32_e32 vcc, s2, v2
	v_ldexp_f32 v3, v3, v4
	s_nop 0
	v_cndmask_b32_e32 v3, 0, v3, vcc
	v_cmp_nlt_f32_e32 vcc, s46, v2
	s_nop 1
	v_cndmask_b32_e32 v3, v162, v3, vcc
	v_cmp_le_f32_e32 vcc, s64, v2
	s_nop 1
	v_cndmask_b32_e32 v2, 0, v3, vcc
	v_fmac_f32_e32 v21, v101, v2
	v_cvt_f16_f32_e32 v2, v2
	v_mul_u32_u24_e32 v2, 0x10001, v2
	v_pk_mul_f16 v19, v105, v2
	v_pk_mul_f16 v18, v104, v2
	;; [unrolled: 1-line block ×12, first 2 shown]
	v_lshl_add_u64 v[2:3], v[54:55], 2, s[10:11]
	v_lshl_add_u64 v[2:3], v[2:3], 0, v[44:45]
	global_load_dwordx4 v[2:5], v[2:3], off offset:128
	v_cvt_f32_f16_e32 v96, v10
	v_cvt_f32_f16_sdwa v97, v10 dst_sel:DWORD dst_unused:UNUSED_PAD src0_sel:WORD_1
	v_cvt_f32_f16_e32 v98, v12
	v_cvt_f32_f16_sdwa v99, v12 dst_sel:DWORD dst_unused:UNUSED_PAD src0_sel:WORD_1
	v_cvt_f32_f16_sdwa v101, v26 dst_sel:DWORD dst_unused:UNUSED_PAD src0_sel:WORD_1
	s_waitcnt vmcnt(0)
	ds_write_b128 v77, v[2:5]
	v_lshl_add_u64 v[2:3], v[56:57], 2, s[10:11]
	v_lshl_add_u64 v[2:3], v[2:3], 0, v[14:15]
	global_load_dwordx4 v[2:5], v[2:3], off
	s_waitcnt vmcnt(0)
	ds_write_b128 v79, v[2:5]
	v_lshl_add_u64 v[2:3], v[58:59], 2, s[10:11]
	v_lshl_add_u64 v[2:3], v[2:3], 0, v[14:15]
	global_load_dwordx4 v[2:5], v[2:3], off
	s_cselect_b64 s[10:11], -1, 0
	s_and_b64 s[14:15], s[0:1], s[10:11]
	s_waitcnt vmcnt(0)
	ds_write_b128 v150, v[2:5]
	s_waitcnt lgkmcnt(0)
	s_barrier
	ds_read_u16 v14, v83 offset:208
	v_cvt_f32_f16_e32 v4, v18
	v_cvt_f32_f16_sdwa v5, v18 dst_sel:DWORD dst_unused:UNUSED_PAD src0_sel:WORD_1
	ds_read_u16 v15, v112
	ds_read_u16 v23, v112 offset:32
	ds_read_u16 v18, v113
	ds_read_u16 v30, v113 offset:32
	v_cvt_f32_f16_e32 v2, v19
	v_cvt_f32_f16_sdwa v3, v19 dst_sel:DWORD dst_unused:UNUSED_PAD src0_sel:WORD_1
	v_cvt_pk_f16_f32 v19, v8, v9
	s_waitcnt lgkmcnt(1)
	v_perm_b32 v15, v18, v15, s65
	ds_read_u16 v18, v83
	ds_read_u16 v31, v83 offset:32
	s_waitcnt lgkmcnt(1)
	v_perm_b32 v14, v14, v18, s65
	v_cvt_pk_f16_f32 v18, v6, v7
	ds_read_u16 v6, v83 offset:6656
	ds_read_u16 v8, v83 offset:6864
	;; [unrolled: 1-line block ×4, first 2 shown]
	v_mfma_f32_16x16x16_f16 v[2:5], v[14:15], v[18:19], v[2:5]
	s_waitcnt lgkmcnt(2)
	v_perm_b32 v6, v8, v6, s65
	s_waitcnt lgkmcnt(0)
	v_perm_b32 v7, v9, v7, s65
	v_cvt_pk_f16_f32 v15, v32, v33
	s_nop 2
	v_cvt_f16_f32_e32 v2, v2
	v_cvt_f16_f32_e32 v3, v3
	;; [unrolled: 1-line block ×4, first 2 shown]
	v_cvt_f32_f16_e32 v2, v2
	v_cvt_f32_f16_e32 v3, v3
	;; [unrolled: 1-line block ×4, first 2 shown]
	v_cvt_pk_f16_f32 v14, v28, v29
	ds_read_u16 v8, v83 offset:240
	v_perm_b32 v9, v30, v23, s65
	v_mfma_f32_16x16x16_f16 v[2:5], v[6:7], v[14:15], v[2:5]
	v_cvt_f32_f16_e32 v6, v94
	v_cvt_f32_f16_sdwa v7, v94 dst_sel:DWORD dst_unused:UNUSED_PAD src0_sel:WORD_1
	s_waitcnt lgkmcnt(0)
	v_perm_b32 v8, v8, v31, s65
	s_nop 3
	v_cvt_f16_f32_e32 v4, v4
	v_cvt_f16_f32_e32 v5, v5
	;; [unrolled: 1-line block ×4, first 2 shown]
	v_perm_b32 v22, v5, v4, s65
	v_cvt_f32_f16_e32 v4, v95
	v_cvt_f32_f16_sdwa v5, v95 dst_sel:DWORD dst_unused:UNUSED_PAD src0_sel:WORD_1
	v_cvt_f32_f16_sdwa v95, v11 dst_sel:DWORD dst_unused:UNUSED_PAD src0_sel:WORD_1
	s_nop 0
	v_mfma_f32_16x16x16_f16 v[4:7], v[8:9], v[18:19], v[4:7]
	ds_read_u16 v8, v83 offset:6688
	ds_read_u16 v23, v83 offset:6896
	;; [unrolled: 1-line block ×4, first 2 shown]
	s_nop 3
	v_cvt_f16_f32_e32 v4, v4
	v_cvt_f16_f32_e32 v5, v5
	;; [unrolled: 1-line block ×4, first 2 shown]
	s_waitcnt lgkmcnt(0)
	v_perm_b32 v9, v30, v9, s65
	v_perm_b32 v8, v23, v8, s65
	v_cvt_f32_f16_e32 v4, v4
	v_cvt_f32_f16_e32 v5, v5
	;; [unrolled: 1-line block ×4, first 2 shown]
	ds_read_u16 v30, v83 offset:64
	ds_read_u16 v33, v83 offset:272
	;; [unrolled: 1-line block ×4, first 2 shown]
	v_mfma_f32_16x16x16_f16 v[4:7], v[8:9], v[14:15], v[4:7]
	v_cvt_f32_f16_e32 v8, v24
	v_cvt_f32_f16_sdwa v9, v24 dst_sel:DWORD dst_unused:UNUSED_PAD src0_sel:WORD_1
	s_waitcnt lgkmcnt(2)
	v_perm_b32 v24, v33, v30, s65
	s_nop 3
	v_cvt_f16_f32_e32 v6, v6
	v_cvt_f16_f32_e32 v7, v7
	;; [unrolled: 1-line block ×4, first 2 shown]
	v_perm_b32 v23, v7, v6, s65
	v_cvt_f32_f16_e32 v6, v25
	v_cvt_f32_f16_sdwa v7, v25 dst_sel:DWORD dst_unused:UNUSED_PAD src0_sel:WORD_1
	s_waitcnt lgkmcnt(0)
	v_perm_b32 v25, v94, v44, s65
	v_cvt_f32_f16_e32 v94, v11
	s_nop 0
	v_mfma_f32_16x16x16_f16 v[6:9], v[24:25], v[18:19], v[6:9]
	ds_read_u16 v24, v83 offset:6720
	ds_read_u16 v30, v83 offset:6928
	;; [unrolled: 1-line block ×4, first 2 shown]
	s_nop 3
	v_cvt_f16_f32_e32 v6, v6
	v_cvt_f16_f32_e32 v7, v7
	;; [unrolled: 1-line block ×4, first 2 shown]
	s_waitcnt lgkmcnt(0)
	v_perm_b32 v25, v33, v25, s65
	v_perm_b32 v24, v30, v24, s65
	v_cvt_f32_f16_e32 v6, v6
	v_cvt_f32_f16_e32 v7, v7
	;; [unrolled: 1-line block ×4, first 2 shown]
	s_nop 1
	v_mfma_f32_16x16x16_f16 v[6:9], v[24:25], v[14:15], v[6:9]
	s_nop 7
	v_cvt_f16_f32_e32 v8, v8
	v_cvt_f16_f32_e32 v9, v9
	;; [unrolled: 1-line block ×4, first 2 shown]
	v_perm_b32 v24, v9, v8, s65
	ds_read_u16 v8, v83 offset:96
	ds_read_u16 v25, v83 offset:304
	;; [unrolled: 1-line block ×4, first 2 shown]
	s_waitcnt lgkmcnt(2)
	v_perm_b32 v8, v25, v8, s65
	s_waitcnt lgkmcnt(0)
	v_perm_b32 v9, v30, v9, s65
	s_nop 1
	v_mfma_f32_16x16x16_f16 v[8:11], v[8:9], v[18:19], v[94:97]
	ds_read_u16 v25, v83 offset:6752
	ds_read_u16 v30, v83 offset:6960
	s_nop 0
	ds_read_u16 v94, v112 offset:6752
	ds_read_u16 v95, v113 offset:6752
	v_cvt_f32_f16_e32 v96, v13
	v_cvt_f32_f16_sdwa v97, v13 dst_sel:DWORD dst_unused:UNUSED_PAD src0_sel:WORD_1
	s_nop 0
	v_cvt_f16_f32_e32 v8, v8
	v_cvt_f16_f32_e32 v9, v9
	;; [unrolled: 1-line block ×4, first 2 shown]
	s_waitcnt lgkmcnt(0)
	v_perm_b32 v95, v95, v94, s65
	v_perm_b32 v94, v30, v25, s65
	v_cvt_f32_f16_e32 v8, v8
	v_cvt_f32_f16_e32 v9, v9
	;; [unrolled: 1-line block ×4, first 2 shown]
	s_nop 1
	v_mfma_f32_16x16x16_f16 v[8:11], v[94:95], v[14:15], v[8:11]
	s_nop 7
	v_cvt_f16_f32_e32 v10, v10
	v_cvt_f16_f32_e32 v11, v11
	;; [unrolled: 1-line block ×4, first 2 shown]
	v_perm_b32 v25, v11, v10, s65
	ds_read_u16 v10, v83 offset:128
	ds_read_u16 v30, v83 offset:336
	;; [unrolled: 1-line block ×4, first 2 shown]
	s_waitcnt lgkmcnt(2)
	v_perm_b32 v10, v30, v10, s65
	s_waitcnt lgkmcnt(0)
	v_perm_b32 v11, v100, v11, s65
	v_cvt_f32_f16_e32 v100, v26
	s_nop 0
	v_mfma_f32_16x16x16_f16 v[10:13], v[10:11], v[18:19], v[96:99]
	ds_read_u16 v30, v83 offset:6784
	s_nop 1
	ds_read_u16 v96, v83 offset:6992
	ds_read_u16 v97, v112 offset:6784
	;; [unrolled: 1-line block ×3, first 2 shown]
	v_cvt_f32_f16_sdwa v99, v27 dst_sel:DWORD dst_unused:UNUSED_PAD src0_sel:WORD_1
	s_nop 0
	v_cvt_f16_f32_e32 v10, v10
	v_cvt_f16_f32_e32 v11, v11
	;; [unrolled: 1-line block ×4, first 2 shown]
	s_waitcnt lgkmcnt(0)
	v_perm_b32 v97, v98, v97, s65
	v_perm_b32 v96, v96, v30, s65
	v_cvt_f32_f16_e32 v10, v10
	v_cvt_f32_f16_e32 v11, v11
	;; [unrolled: 1-line block ×5, first 2 shown]
	s_nop 0
	v_mfma_f32_16x16x16_f16 v[10:13], v[96:97], v[14:15], v[10:13]
	s_nop 7
	v_cvt_f16_f32_e32 v12, v12
	v_cvt_f16_f32_e32 v13, v13
	;; [unrolled: 1-line block ×4, first 2 shown]
	v_perm_b32 v30, v13, v12, s65
	ds_read_u16 v12, v83 offset:160
	ds_read_u16 v102, v83 offset:368
	;; [unrolled: 1-line block ×4, first 2 shown]
	s_waitcnt lgkmcnt(2)
	v_perm_b32 v12, v102, v12, s65
	s_waitcnt lgkmcnt(0)
	v_perm_b32 v13, v103, v13, s65
	s_nop 1
	v_mfma_f32_16x16x16_f16 v[98:101], v[12:13], v[18:19], v[98:101]
	ds_read_u16 v12, v83 offset:6816
	ds_read_u16 v13, v83 offset:7024
	;; [unrolled: 1-line block ×4, first 2 shown]
	s_waitcnt lgkmcnt(0)
	s_barrier
	s_nop 1
	v_cvt_f16_f32_e32 v18, v98
	v_cvt_f16_f32_e32 v19, v99
	;; [unrolled: 1-line block ×4, first 2 shown]
	v_cvt_f32_f16_e32 v98, v18
	v_cvt_f32_f16_e32 v99, v19
	v_perm_b32 v19, v103, v102, s65
	v_perm_b32 v18, v13, v12, s65
	v_cvt_f32_f16_e32 v100, v26
	v_cvt_f32_f16_e32 v101, v27
	v_perm_b32 v26, v97, v96, s65
	s_nop 0
	v_mfma_f32_16x16x16_f16 v[12:15], v[18:19], v[14:15], v[98:101]
	v_perm_b32 v18, v44, v33, s65
	v_perm_b32 v19, v32, v31, s65
	s_nop 5
	v_cvt_f16_f32_e32 v14, v14
	v_cvt_f16_f32_e32 v15, v15
	;; [unrolled: 1-line block ×4, first 2 shown]
	v_perm_b32 v14, v15, v14, s65
	ds_bpermute_b32 v15, v17, v21
	v_perm_b32 v27, v98, v27, s65
	s_waitcnt lgkmcnt(0)
	v_add_f32_e32 v15, v21, v15
	ds_bpermute_b32 v17, v20, v15
	v_perm_b32 v21, v29, v28, s65
	s_waitcnt lgkmcnt(0)
	v_add_f32_e32 v17, v15, v17
	v_perm_b32 v15, v95, v94, s65
	s_and_saveexec_b64 s[10:11], s[14:15]
	s_cbranch_execz .LBB14_50
; %bb.49:                               ;   in Loop: Header=BB14_12 Depth=1
	v_cvt_pk_f16_f32 v3, v2, v3
	v_lshlrev_b32_e32 v2, 2, v64
	v_cvt_pk_f16_f32 v4, v4, v5
	v_cvt_pk_f16_f32 v5, v6, v7
	v_cvt_pk_f16_f32 v6, v8, v9
	global_load_dword v9, v2, s[78:79]
	v_cvt_pk_f16_f32 v7, v10, v11
	v_max_f32_e32 v10, v16, v16
	v_cvt_pk_f16_f32 v8, v12, v13
	s_waitcnt vmcnt(0)
	v_max_f32_e32 v2, v9, v9
	v_max_f32_e32 v2, v10, v2
	v_sub_f32_e32 v10, v16, v2
	v_mul_f32_e32 v11, 0x3fb8aa3b, v10
	v_fma_f32 v12, v10, s47, -v11
	v_rndne_f32_e32 v13, v11
	v_fmac_f32_e32 v12, 0x32a5705f, v10
	v_sub_f32_e32 v11, v11, v13
	v_add_f32_e32 v11, v11, v12
	v_exp_f32_e32 v11, v11
	v_cvt_i32_f32_e32 v12, v13
	v_cmp_ngt_f32_e32 vcc, s2, v10
	v_sub_f32_e32 v9, v9, v2
	v_ldexp_f32 v11, v11, v12
	v_cndmask_b32_e32 v11, 0, v11, vcc
	v_cmp_nlt_f32_e32 vcc, s46, v10
	s_nop 1
	v_cndmask_b32_e32 v11, v162, v11, vcc
	v_cmp_le_f32_e32 vcc, s64, v10
	s_nop 1
	v_cndmask_b32_e32 v10, 0, v11, vcc
	v_cvt_f16_f32_e32 v11, v10
	v_cmp_ngt_f32_e32 vcc, s2, v9
	v_mul_u32_u24_e32 v11, 0x10001, v11
	v_pk_mul_f16 v21, v3, v11
	v_mul_f32_e32 v3, 0x3fb8aa3b, v9
	v_pk_mul_f16 v19, v4, v11
	v_pk_mul_f16 v18, v5, v11
	v_fma_f32 v4, v9, s47, -v3
	v_rndne_f32_e32 v5, v3
	v_fmac_f32_e32 v4, 0x32a5705f, v9
	v_sub_f32_e32 v3, v3, v5
	v_add_f32_e32 v3, v3, v4
	v_exp_f32_e32 v3, v3
	v_cvt_i32_f32_e32 v4, v5
	v_pk_mul_f16 v22, v22, v11
	v_pk_mul_f16 v23, v23, v11
	;; [unrolled: 1-line block ×3, first 2 shown]
	v_ldexp_f32 v3, v3, v4
	v_cndmask_b32_e32 v3, 0, v3, vcc
	v_cmp_nlt_f32_e32 vcc, s46, v9
	v_pk_mul_f16 v15, v6, v11
	v_pk_mul_f16 v25, v25, v11
	v_cndmask_b32_e32 v3, v162, v3, vcc
	v_fmac_f32_e32 v3, v17, v10
	v_pk_mul_f16 v26, v7, v11
	v_pk_mul_f16 v30, v30, v11
	;; [unrolled: 1-line block ×4, first 2 shown]
	v_mov_b64_e32 v[16:17], v[2:3]
.LBB14_50:                              ;   in Loop: Header=BB14_12 Depth=1
	s_or_b64 exec, exec, s[10:11]
	s_and_saveexec_b64 s[10:11], s[6:7]
; %bb.51:                               ;   in Loop: Header=BB14_12 Depth=1
	v_add_u32_e32 v2, 0, v119
	ds_write2_b32 v2, v16, v17 offset0:48 offset1:49
; %bb.52:                               ;   in Loop: Header=BB14_12 Depth=1
	s_or_b64 exec, exec, s[10:11]
	s_waitcnt lgkmcnt(0)
	s_barrier
	s_mov_b64 s[10:11], exec
	v_readlane_b32 s14, v175, 11
	v_readlane_b32 s15, v175, 12
	s_and_b64 s[14:15], s[10:11], s[14:15]
	s_xor_b64 s[10:11], s[14:15], s[10:11]
	s_mov_b64 exec, s[14:15]
	s_cbranch_execz .LBB14_54
; %bb.53:                               ;   in Loop: Header=BB14_12 Depth=1
	s_barrier
                                        ; implicit-def: $vgpr20
.LBB14_54:                              ;   in Loop: Header=BB14_12 Depth=1
	s_andn2_saveexec_b64 s[10:11], s[10:11]
	s_cbranch_execz .LBB14_60
; %bb.55:                               ;   in Loop: Header=BB14_12 Depth=1
	v_add_u32_e32 v3, 0, v120
	ds_read_b64 v[6:7], v3 offset:192
	s_waitcnt lgkmcnt(0)
	s_barrier
	ds_bpermute_b32 v2, v20, v6
	v_max_f32_e32 v4, v6, v6
	s_waitcnt lgkmcnt(0)
	v_max_f32_e32 v2, v2, v2
	v_max_f32_e32 v2, v4, v2
	v_sub_f32_e32 v4, v6, v2
	v_mul_f32_e32 v5, 0x3fb8aa3b, v4
	v_fma_f32 v6, v4, s47, -v5
	v_rndne_f32_e32 v8, v5
	v_fmac_f32_e32 v6, 0x32a5705f, v4
	v_sub_f32_e32 v5, v5, v8
	v_add_f32_e32 v5, v5, v6
	v_cvt_i32_f32_e32 v8, v8
	v_exp_f32_e32 v5, v5
	v_cmp_ngt_f32_e32 vcc, s2, v4
	v_ldexp_f32 v5, v5, v8
	s_nop 0
	v_cndmask_b32_e32 v5, 0, v5, vcc
	v_cmp_nlt_f32_e32 vcc, s46, v4
	s_nop 1
	v_cndmask_b32_e32 v4, v162, v5, vcc
	v_mul_f32_e32 v5, v7, v4
	ds_bpermute_b32 v5, v20, v5
	s_waitcnt lgkmcnt(0)
	v_fmac_f32_e32 v5, v7, v4
	s_mov_b64 s[14:15], exec
	v_readlane_b32 s86, v175, 16
	v_readlane_b32 s87, v175, 17
	s_and_b64 s[86:87], s[14:15], s[86:87]
	s_mov_b64 exec, s[86:87]
; %bb.56:                               ;   in Loop: Header=BB14_12 Depth=1
	ds_write_b64 v3, v[4:5] offset:192
; %bb.57:                               ;   in Loop: Header=BB14_12 Depth=1
	s_or_b64 exec, exec, s[14:15]
	s_and_saveexec_b64 s[14:15], s[6:7]
	s_cbranch_execz .LBB14_59
; %bb.58:                               ;   in Loop: Header=BB14_12 Depth=1
	v_mov_b32_e32 v3, v5
	global_store_dwordx2 v[46:47], v[2:3], off
.LBB14_59:                              ;   in Loop: Header=BB14_12 Depth=1
	s_or_b64 exec, exec, s[14:15]
.LBB14_60:                              ;   in Loop: Header=BB14_12 Depth=1
	s_or_b64 exec, exec, s[10:11]
	ds_write2_b32 v114, v21, v22 offset1:1
	ds_write2_b32 v114, v19, v23 offset0:8 offset1:9
	ds_write2_b32 v114, v18, v24 offset0:16 offset1:17
	;; [unrolled: 1-line block ×5, first 2 shown]
	s_waitcnt lgkmcnt(0)
	s_barrier
	s_and_saveexec_b64 s[86:87], s[0:1]
	s_cbranch_execz .LBB14_115
; %bb.61:                               ;   in Loop: Header=BB14_12 Depth=1
	v_add_u32_e32 v3, s94, v155
	v_or_b32_e32 v2, s67, v72
	v_cmp_gt_i32_e64 s[10:11], s36, v3
	v_cmp_gt_i32_e32 vcc, s3, v2
	s_and_b64 s[14:15], s[10:11], vcc
	v_mov_b32_e32 v2, 0x47
	s_and_saveexec_b64 s[10:11], s[14:15]
	s_cbranch_execz .LBB14_63
; %bb.62:                               ;   in Loop: Header=BB14_12 Depth=1
	v_mad_u64_u32 v[2:3], s[14:15], v3, s37, v[72:73]
	v_add_u32_e32 v3, 0, v130
	v_add_u32_e32 v3, 0xc0, v3
	ds_read2st64_b32 v[4:5], v3 offset1:13
	v_add_u32_e32 v3, v148, v130
	ds_read2st64_b32 v[6:7], v3 offset1:13
	v_mad_u64_u32 v[2:3], s[14:15], v2, 48, v[34:35]
	v_ashrrev_i32_e32 v3, 31, v2
	v_lshl_add_u64 v[2:3], v[2:3], 3, s[76:77]
	s_waitcnt lgkmcnt(0)
	v_cvt_f32_f16_e32 v8, v6
	v_cvt_f32_f16_sdwa v9, v6 dst_sel:DWORD dst_unused:UNUSED_PAD src0_sel:WORD_1
	v_cvt_f32_f16_e32 v6, v7
	v_cvt_f32_f16_sdwa v7, v7 dst_sel:DWORD dst_unused:UNUSED_PAD src0_sel:WORD_1
	v_pk_fma_f32 v[8:9], v[4:5], v[8:9], 0 op_sel_hi:[0,1,0]
	v_mov_b32_e32 v4, v5
	v_pk_fma_f32 v[4:5], v[4:5], v[6:7], v[8:9] op_sel_hi:[0,1,1]
	global_store_dwordx2 v[2:3], v[4:5], off
	v_mov_b32_e32 v2, 0
.LBB14_63:                              ;   in Loop: Header=BB14_12 Depth=1
	s_or_b64 exec, exec, s[10:11]
	s_movk_i32 s10, 0x47
	v_cmp_gt_i32_e64 s[10:11], s10, v2
	s_mov_b64 s[14:15], -1
	s_and_saveexec_b64 s[88:89], s[10:11]
; %bb.64:                               ;   in Loop: Header=BB14_12 Depth=1
	v_cmp_eq_u32_e64 s[10:11], 0, v2
	s_orn2_b64 s[14:15], s[10:11], exec
; %bb.65:                               ;   in Loop: Header=BB14_12 Depth=1
	s_or_b64 exec, exec, s[88:89]
	s_and_saveexec_b64 s[88:89], s[14:15]
	s_cbranch_execz .LBB14_98
; %bb.66:                               ;   in Loop: Header=BB14_12 Depth=1
	v_add_u32_e32 v3, s94, v156
	v_or_b32_e32 v2, s67, v74
	v_cmp_gt_i32_e64 s[10:11], s36, v3
	v_cmp_gt_i32_e64 s[14:15], s3, v2
	s_and_b64 s[14:15], s[10:11], s[14:15]
	v_mov_b32_e32 v2, 0x47
	s_and_saveexec_b64 s[10:11], s[14:15]
	s_cbranch_execz .LBB14_68
; %bb.67:                               ;   in Loop: Header=BB14_12 Depth=1
	v_mad_u64_u32 v[2:3], s[14:15], v3, s37, v[74:75]
	v_add_u32_e32 v3, 0, v131
	v_add_u32_e32 v3, 0xc0, v3
	ds_read2st64_b32 v[4:5], v3 offset1:13
	v_add_u32_e32 v3, v148, v131
	ds_read2st64_b32 v[6:7], v3 offset1:13
	v_mad_u64_u32 v[2:3], s[14:15], v2, 48, v[34:35]
	v_ashrrev_i32_e32 v3, 31, v2
	v_lshl_add_u64 v[2:3], v[2:3], 3, s[76:77]
	s_waitcnt lgkmcnt(0)
	v_cvt_f32_f16_e32 v8, v6
	v_cvt_f32_f16_sdwa v9, v6 dst_sel:DWORD dst_unused:UNUSED_PAD src0_sel:WORD_1
	v_cvt_f32_f16_e32 v6, v7
	v_cvt_f32_f16_sdwa v7, v7 dst_sel:DWORD dst_unused:UNUSED_PAD src0_sel:WORD_1
	v_pk_fma_f32 v[8:9], v[4:5], v[8:9], 0 op_sel_hi:[0,1,0]
	v_mov_b32_e32 v4, v5
	v_pk_fma_f32 v[4:5], v[4:5], v[6:7], v[8:9] op_sel_hi:[0,1,1]
	global_store_dwordx2 v[2:3], v[4:5], off
	v_mov_b32_e32 v2, 0
.LBB14_68:                              ;   in Loop: Header=BB14_12 Depth=1
	s_or_b64 exec, exec, s[10:11]
	s_movk_i32 s10, 0x47
	v_cmp_gt_i32_e64 s[10:11], s10, v2
	s_mov_b64 s[14:15], -1
	s_and_saveexec_b64 s[90:91], s[10:11]
; %bb.69:                               ;   in Loop: Header=BB14_12 Depth=1
	v_cmp_eq_u32_e64 s[10:11], 0, v2
	s_orn2_b64 s[14:15], s[10:11], exec
; %bb.70:                               ;   in Loop: Header=BB14_12 Depth=1
	s_or_b64 exec, exec, s[90:91]
	s_and_b64 exec, exec, s[14:15]
	s_cbranch_execz .LBB14_98
; %bb.71:                               ;   in Loop: Header=BB14_12 Depth=1
	v_add_u32_e32 v3, s94, v132
	v_cmp_gt_i32_e64 s[10:11], s36, v3
	s_and_b64 s[14:15], s[10:11], vcc
	v_mov_b32_e32 v2, 0x47
	s_and_saveexec_b64 s[10:11], s[14:15]
	s_cbranch_execz .LBB14_73
; %bb.72:                               ;   in Loop: Header=BB14_12 Depth=1
	v_mad_u64_u32 v[2:3], s[14:15], v3, s37, v[72:73]
	v_add_u32_e32 v3, 0, v133
	v_add_u32_e32 v3, 0xc0, v3
	ds_read2st64_b32 v[4:5], v3 offset1:13
	v_add_u32_e32 v3, v148, v133
	ds_read2st64_b32 v[6:7], v3 offset1:13
	v_mad_u64_u32 v[2:3], s[14:15], v2, 48, v[34:35]
	v_ashrrev_i32_e32 v3, 31, v2
	v_lshl_add_u64 v[2:3], v[2:3], 3, s[76:77]
	s_waitcnt lgkmcnt(0)
	v_cvt_f32_f16_e32 v8, v6
	v_cvt_f32_f16_sdwa v9, v6 dst_sel:DWORD dst_unused:UNUSED_PAD src0_sel:WORD_1
	v_cvt_f32_f16_e32 v6, v7
	v_cvt_f32_f16_sdwa v7, v7 dst_sel:DWORD dst_unused:UNUSED_PAD src0_sel:WORD_1
	v_pk_fma_f32 v[8:9], v[4:5], v[8:9], 0 op_sel_hi:[0,1,0]
	v_mov_b32_e32 v4, v5
	v_pk_fma_f32 v[4:5], v[4:5], v[6:7], v[8:9] op_sel_hi:[0,1,1]
	global_store_dwordx2 v[2:3], v[4:5], off
	v_mov_b32_e32 v2, 0
.LBB14_73:                              ;   in Loop: Header=BB14_12 Depth=1
	s_or_b64 exec, exec, s[10:11]
	s_movk_i32 s10, 0x47
	v_cmp_gt_i32_e64 s[10:11], s10, v2
	s_mov_b64 s[14:15], -1
	s_and_saveexec_b64 s[90:91], s[10:11]
; %bb.74:                               ;   in Loop: Header=BB14_12 Depth=1
	v_cmp_eq_u32_e64 s[10:11], 0, v2
	s_orn2_b64 s[14:15], s[10:11], exec
; %bb.75:                               ;   in Loop: Header=BB14_12 Depth=1
	s_or_b64 exec, exec, s[90:91]
	s_and_b64 exec, exec, s[14:15]
	s_cbranch_execz .LBB14_98
; %bb.76:                               ;   in Loop: Header=BB14_12 Depth=1
	v_add_u32_e32 v3, s94, v157
	v_or_b32_e32 v2, s67, v76
	v_cmp_gt_i32_e64 s[10:11], s36, v3
	v_cmp_gt_i32_e64 s[14:15], s3, v2
	s_and_b64 s[14:15], s[10:11], s[14:15]
	v_mov_b32_e32 v2, 0x47
	s_and_saveexec_b64 s[10:11], s[14:15]
	s_cbranch_execz .LBB14_78
; %bb.77:                               ;   in Loop: Header=BB14_12 Depth=1
	v_mad_u64_u32 v[2:3], s[14:15], v3, s37, v[76:77]
	v_add_u32_e32 v3, 0, v134
	v_add_u32_e32 v3, 0xc0, v3
	ds_read2st64_b32 v[4:5], v3 offset1:13
	v_add_u32_e32 v3, v148, v134
	ds_read2st64_b32 v[6:7], v3 offset1:13
	v_mad_u64_u32 v[2:3], s[14:15], v2, 48, v[34:35]
	v_ashrrev_i32_e32 v3, 31, v2
	v_lshl_add_u64 v[2:3], v[2:3], 3, s[76:77]
	s_waitcnt lgkmcnt(0)
	v_cvt_f32_f16_e32 v8, v6
	v_cvt_f32_f16_sdwa v9, v6 dst_sel:DWORD dst_unused:UNUSED_PAD src0_sel:WORD_1
	v_cvt_f32_f16_e32 v6, v7
	v_cvt_f32_f16_sdwa v7, v7 dst_sel:DWORD dst_unused:UNUSED_PAD src0_sel:WORD_1
	v_pk_fma_f32 v[8:9], v[4:5], v[8:9], 0 op_sel_hi:[0,1,0]
	v_mov_b32_e32 v4, v5
	v_pk_fma_f32 v[4:5], v[4:5], v[6:7], v[8:9] op_sel_hi:[0,1,1]
	global_store_dwordx2 v[2:3], v[4:5], off
	v_mov_b32_e32 v2, 0
.LBB14_78:                              ;   in Loop: Header=BB14_12 Depth=1
	s_or_b64 exec, exec, s[10:11]
	s_movk_i32 s10, 0x47
	v_cmp_gt_i32_e64 s[10:11], s10, v2
	s_mov_b64 s[14:15], -1
	s_and_saveexec_b64 s[90:91], s[10:11]
; %bb.79:                               ;   in Loop: Header=BB14_12 Depth=1
	v_cmp_eq_u32_e64 s[10:11], 0, v2
	s_orn2_b64 s[14:15], s[10:11], exec
; %bb.80:                               ;   in Loop: Header=BB14_12 Depth=1
	s_or_b64 exec, exec, s[90:91]
	s_and_b64 exec, exec, s[14:15]
	s_cbranch_execz .LBB14_98
; %bb.81:                               ;   in Loop: Header=BB14_12 Depth=1
	v_add_u32_e32 v3, s94, v135
	v_cmp_gt_i32_e64 s[10:11], s36, v3
	s_and_b64 s[14:15], s[10:11], vcc
	v_mov_b32_e32 v2, 0x47
	s_and_saveexec_b64 s[10:11], s[14:15]
	s_cbranch_execz .LBB14_83
; %bb.82:                               ;   in Loop: Header=BB14_12 Depth=1
	v_mad_u64_u32 v[2:3], s[14:15], v3, s37, v[72:73]
	v_add_u32_e32 v3, 0, v136
	v_add_u32_e32 v3, 0xc0, v3
	ds_read2st64_b32 v[4:5], v3 offset1:13
	v_add_u32_e32 v3, v148, v136
	ds_read2st64_b32 v[6:7], v3 offset1:13
	v_mad_u64_u32 v[2:3], s[14:15], v2, 48, v[34:35]
	v_ashrrev_i32_e32 v3, 31, v2
	v_lshl_add_u64 v[2:3], v[2:3], 3, s[76:77]
	s_waitcnt lgkmcnt(0)
	v_cvt_f32_f16_e32 v8, v6
	v_cvt_f32_f16_sdwa v9, v6 dst_sel:DWORD dst_unused:UNUSED_PAD src0_sel:WORD_1
	v_cvt_f32_f16_e32 v6, v7
	v_cvt_f32_f16_sdwa v7, v7 dst_sel:DWORD dst_unused:UNUSED_PAD src0_sel:WORD_1
	v_pk_fma_f32 v[8:9], v[4:5], v[8:9], 0 op_sel_hi:[0,1,0]
	v_mov_b32_e32 v4, v5
	v_pk_fma_f32 v[4:5], v[4:5], v[6:7], v[8:9] op_sel_hi:[0,1,1]
	global_store_dwordx2 v[2:3], v[4:5], off
	v_mov_b32_e32 v2, 0
.LBB14_83:                              ;   in Loop: Header=BB14_12 Depth=1
	s_or_b64 exec, exec, s[10:11]
	s_movk_i32 s10, 0x47
	v_cmp_gt_i32_e64 s[10:11], s10, v2
	s_mov_b64 s[14:15], -1
	s_and_saveexec_b64 s[90:91], s[10:11]
; %bb.84:                               ;   in Loop: Header=BB14_12 Depth=1
	v_cmp_eq_u32_e64 s[10:11], 0, v2
	s_orn2_b64 s[14:15], s[10:11], exec
; %bb.85:                               ;   in Loop: Header=BB14_12 Depth=1
	s_or_b64 exec, exec, s[90:91]
	s_and_b64 exec, exec, s[14:15]
	s_cbranch_execz .LBB14_98
; %bb.86:                               ;   in Loop: Header=BB14_12 Depth=1
	v_add_u32_e32 v3, s94, v158
	v_or_b32_e32 v2, s67, v78
	v_cmp_gt_i32_e64 s[10:11], s36, v3
	v_cmp_gt_i32_e64 s[14:15], s3, v2
	s_and_b64 s[14:15], s[10:11], s[14:15]
	v_mov_b32_e32 v2, 0x47
	s_and_saveexec_b64 s[10:11], s[14:15]
	s_cbranch_execz .LBB14_88
; %bb.87:                               ;   in Loop: Header=BB14_12 Depth=1
	v_mad_u64_u32 v[2:3], s[14:15], v3, s37, v[78:79]
	v_add_u32_e32 v3, 0, v137
	v_add_u32_e32 v3, 0xc0, v3
	ds_read2st64_b32 v[4:5], v3 offset1:13
	v_add_u32_e32 v3, v148, v137
	ds_read2st64_b32 v[6:7], v3 offset1:13
	v_mad_u64_u32 v[2:3], s[14:15], v2, 48, v[34:35]
	v_ashrrev_i32_e32 v3, 31, v2
	v_lshl_add_u64 v[2:3], v[2:3], 3, s[76:77]
	s_waitcnt lgkmcnt(0)
	v_cvt_f32_f16_e32 v8, v6
	v_cvt_f32_f16_sdwa v9, v6 dst_sel:DWORD dst_unused:UNUSED_PAD src0_sel:WORD_1
	v_cvt_f32_f16_e32 v6, v7
	v_cvt_f32_f16_sdwa v7, v7 dst_sel:DWORD dst_unused:UNUSED_PAD src0_sel:WORD_1
	v_pk_fma_f32 v[8:9], v[4:5], v[8:9], 0 op_sel_hi:[0,1,0]
	v_mov_b32_e32 v4, v5
	v_pk_fma_f32 v[4:5], v[4:5], v[6:7], v[8:9] op_sel_hi:[0,1,1]
	global_store_dwordx2 v[2:3], v[4:5], off
	v_mov_b32_e32 v2, 0
.LBB14_88:                              ;   in Loop: Header=BB14_12 Depth=1
	s_or_b64 exec, exec, s[10:11]
	s_movk_i32 s10, 0x47
	v_cmp_gt_i32_e64 s[10:11], s10, v2
	s_mov_b64 s[14:15], -1
	s_and_saveexec_b64 s[90:91], s[10:11]
; %bb.89:                               ;   in Loop: Header=BB14_12 Depth=1
	v_cmp_eq_u32_e64 s[10:11], 0, v2
	s_orn2_b64 s[14:15], s[10:11], exec
; %bb.90:                               ;   in Loop: Header=BB14_12 Depth=1
	s_or_b64 exec, exec, s[90:91]
	s_and_b64 exec, exec, s[14:15]
	s_cbranch_execz .LBB14_98
; %bb.91:                               ;   in Loop: Header=BB14_12 Depth=1
	v_add_u32_e32 v3, s94, v138
	v_cmp_gt_i32_e64 s[10:11], s36, v3
	s_and_b64 s[14:15], s[10:11], vcc
	v_mov_b32_e32 v2, 0x47
	s_and_saveexec_b64 s[10:11], s[14:15]
	s_cbranch_execz .LBB14_93
; %bb.92:                               ;   in Loop: Header=BB14_12 Depth=1
	v_mad_u64_u32 v[2:3], s[14:15], v3, s37, v[72:73]
	v_add_u32_e32 v3, 0, v139
	v_add_u32_e32 v3, 0xc0, v3
	ds_read2st64_b32 v[4:5], v3 offset1:13
	v_add_u32_e32 v3, v148, v139
	ds_read2st64_b32 v[6:7], v3 offset1:13
	v_mad_u64_u32 v[2:3], s[14:15], v2, 48, v[34:35]
	v_ashrrev_i32_e32 v3, 31, v2
	v_lshl_add_u64 v[2:3], v[2:3], 3, s[76:77]
	s_waitcnt lgkmcnt(0)
	v_cvt_f32_f16_e32 v8, v6
	v_cvt_f32_f16_sdwa v9, v6 dst_sel:DWORD dst_unused:UNUSED_PAD src0_sel:WORD_1
	v_cvt_f32_f16_e32 v6, v7
	v_cvt_f32_f16_sdwa v7, v7 dst_sel:DWORD dst_unused:UNUSED_PAD src0_sel:WORD_1
	v_pk_fma_f32 v[8:9], v[4:5], v[8:9], 0 op_sel_hi:[0,1,0]
	v_mov_b32_e32 v4, v5
	v_pk_fma_f32 v[4:5], v[4:5], v[6:7], v[8:9] op_sel_hi:[0,1,1]
	global_store_dwordx2 v[2:3], v[4:5], off
	v_mov_b32_e32 v2, 0
.LBB14_93:                              ;   in Loop: Header=BB14_12 Depth=1
	s_or_b64 exec, exec, s[10:11]
	s_movk_i32 s10, 0x47
	v_cmp_gt_i32_e32 vcc, s10, v2
	s_mov_b64 s[10:11], -1
	s_and_saveexec_b64 s[14:15], vcc
; %bb.94:                               ;   in Loop: Header=BB14_12 Depth=1
	v_cmp_eq_u32_e32 vcc, 0, v2
	s_orn2_b64 s[10:11], vcc, exec
; %bb.95:                               ;   in Loop: Header=BB14_12 Depth=1
	s_or_b64 exec, exec, s[14:15]
	s_and_b64 exec, exec, s[10:11]
	s_cbranch_execz .LBB14_98
; %bb.96:                               ;   in Loop: Header=BB14_12 Depth=1
	v_add_u32_e32 v2, s94, v159
	v_or_b32_e32 v3, s67, v80
	v_cmp_gt_i32_e32 vcc, s36, v2
	v_cmp_gt_i32_e64 s[10:11], s3, v3
	s_and_b64 s[10:11], vcc, s[10:11]
	s_and_b64 exec, exec, s[10:11]
	s_cbranch_execz .LBB14_98
; %bb.97:                               ;   in Loop: Header=BB14_12 Depth=1
	v_mad_u64_u32 v[2:3], s[10:11], v2, s37, v[80:81]
	v_add_u32_e32 v3, 0, v140
	v_add_u32_e32 v3, 0xc0, v3
	ds_read2st64_b32 v[4:5], v3 offset1:13
	v_add_u32_e32 v3, v148, v140
	ds_read2st64_b32 v[6:7], v3 offset1:13
	v_mad_u64_u32 v[2:3], s[10:11], v2, 48, v[34:35]
	v_ashrrev_i32_e32 v3, 31, v2
	v_lshl_add_u64 v[2:3], v[2:3], 3, s[76:77]
	s_waitcnt lgkmcnt(0)
	v_cvt_f32_f16_e32 v8, v6
	v_cvt_f32_f16_sdwa v9, v6 dst_sel:DWORD dst_unused:UNUSED_PAD src0_sel:WORD_1
	v_cvt_f32_f16_e32 v6, v7
	v_cvt_f32_f16_sdwa v7, v7 dst_sel:DWORD dst_unused:UNUSED_PAD src0_sel:WORD_1
	v_pk_fma_f32 v[8:9], v[4:5], v[8:9], 0 op_sel_hi:[0,1,0]
	v_mov_b32_e32 v4, v5
	v_pk_fma_f32 v[4:5], v[4:5], v[6:7], v[8:9] op_sel_hi:[0,1,1]
	global_store_dwordx2 v[2:3], v[4:5], off
.LBB14_98:                              ;   in Loop: Header=BB14_12 Depth=1
	s_or_b64 exec, exec, s[88:89]
	v_add_u32_e32 v3, s94, v160
	v_or_b32_e32 v2, s67, v82
	v_cmp_gt_i32_e64 s[10:11], s36, v3
	v_cmp_gt_i32_e32 vcc, s3, v2
	s_and_b64 s[14:15], s[10:11], vcc
	v_mov_b32_e32 v2, 0x47
	s_and_saveexec_b64 s[10:11], s[14:15]
	s_cbranch_execz .LBB14_100
; %bb.99:                               ;   in Loop: Header=BB14_12 Depth=1
	v_add_u32_e32 v4, v124, v141
	v_add_u32_e32 v4, 0x80, v4
	ds_read2st64_b32 v[4:5], v4 offset1:13
	v_mad_u64_u32 v[2:3], s[14:15], v3, s37, v[82:83]
	v_mul_lo_u32 v6, v2, 48
	v_add_u32_e32 v2, 0, v141
	v_add_u32_e32 v2, 0xc0, v2
	ds_read2st64_b32 v[2:3], v2 offset1:13
	s_waitcnt lgkmcnt(1)
	v_cvt_f32_f16_e32 v8, v4
	v_cvt_f32_f16_sdwa v9, v4 dst_sel:DWORD dst_unused:UNUSED_PAD src0_sel:WORD_1
	v_cvt_f32_f16_e32 v4, v5
	v_cvt_f32_f16_sdwa v5, v5 dst_sel:DWORD dst_unused:UNUSED_PAD src0_sel:WORD_1
	v_ashrrev_i32_e32 v7, 31, v6
	v_or_b32_e32 v6, v6, v36
	s_waitcnt lgkmcnt(0)
	v_pk_fma_f32 v[8:9], v[2:3], v[8:9], 0 op_sel_hi:[0,1,0]
	v_mov_b32_e32 v2, v3
	v_lshl_add_u64 v[6:7], v[6:7], 3, s[76:77]
	v_pk_fma_f32 v[2:3], v[2:3], v[4:5], v[8:9] op_sel_hi:[0,1,1]
	global_store_dwordx2 v[6:7], v[2:3], off offset:256
	v_mov_b32_e32 v2, 0
.LBB14_100:                             ;   in Loop: Header=BB14_12 Depth=1
	s_or_b64 exec, exec, s[10:11]
	s_movk_i32 s10, 0x47
	v_cmp_gt_i32_e64 s[10:11], s10, v2
	s_mov_b64 s[14:15], -1
	s_and_saveexec_b64 s[88:89], s[10:11]
; %bb.101:                              ;   in Loop: Header=BB14_12 Depth=1
	v_cmp_eq_u32_e64 s[10:11], 0, v2
	s_orn2_b64 s[14:15], s[10:11], exec
; %bb.102:                              ;   in Loop: Header=BB14_12 Depth=1
	s_or_b64 exec, exec, s[88:89]
	s_and_b64 exec, exec, s[14:15]
	s_cbranch_execz .LBB14_115
; %bb.103:                              ;   in Loop: Header=BB14_12 Depth=1
	v_add_u32_e32 v3, s94, v142
	v_cmp_gt_i32_e64 s[10:11], s36, v3
	s_and_b64 s[14:15], s[10:11], vcc
	v_mov_b32_e32 v2, 0x47
	s_and_saveexec_b64 s[10:11], s[14:15]
	s_cbranch_execz .LBB14_105
; %bb.104:                              ;   in Loop: Header=BB14_12 Depth=1
	v_add_u32_e32 v4, v124, v143
	v_add_u32_e32 v4, 0x80, v4
	ds_read2st64_b32 v[4:5], v4 offset1:13
	v_mad_u64_u32 v[2:3], s[14:15], v3, s37, v[82:83]
	v_mul_lo_u32 v6, v2, 48
	v_add_u32_e32 v2, 0, v143
	v_add_u32_e32 v2, 0xc0, v2
	ds_read2st64_b32 v[2:3], v2 offset1:13
	s_waitcnt lgkmcnt(1)
	v_cvt_f32_f16_e32 v8, v4
	v_cvt_f32_f16_sdwa v9, v4 dst_sel:DWORD dst_unused:UNUSED_PAD src0_sel:WORD_1
	v_cvt_f32_f16_e32 v4, v5
	v_cvt_f32_f16_sdwa v5, v5 dst_sel:DWORD dst_unused:UNUSED_PAD src0_sel:WORD_1
	v_ashrrev_i32_e32 v7, 31, v6
	v_or_b32_e32 v6, v6, v36
	s_waitcnt lgkmcnt(0)
	v_pk_fma_f32 v[8:9], v[2:3], v[8:9], 0 op_sel_hi:[0,1,0]
	v_mov_b32_e32 v2, v3
	v_lshl_add_u64 v[6:7], v[6:7], 3, s[76:77]
	v_pk_fma_f32 v[2:3], v[2:3], v[4:5], v[8:9] op_sel_hi:[0,1,1]
	global_store_dwordx2 v[6:7], v[2:3], off offset:256
	v_mov_b32_e32 v2, 0
.LBB14_105:                             ;   in Loop: Header=BB14_12 Depth=1
	s_or_b64 exec, exec, s[10:11]
	s_movk_i32 s10, 0x47
	v_cmp_gt_i32_e64 s[10:11], s10, v2
	s_mov_b64 s[14:15], -1
	s_and_saveexec_b64 s[88:89], s[10:11]
; %bb.106:                              ;   in Loop: Header=BB14_12 Depth=1
	v_cmp_eq_u32_e64 s[10:11], 0, v2
	s_orn2_b64 s[14:15], s[10:11], exec
; %bb.107:                              ;   in Loop: Header=BB14_12 Depth=1
	s_or_b64 exec, exec, s[88:89]
	s_and_b64 exec, exec, s[14:15]
	s_cbranch_execz .LBB14_115
; %bb.108:                              ;   in Loop: Header=BB14_12 Depth=1
	v_add_u32_e32 v3, s94, v144
	v_cmp_gt_i32_e64 s[10:11], s36, v3
	s_and_b64 s[14:15], s[10:11], vcc
	v_mov_b32_e32 v2, 0x47
	s_and_saveexec_b64 s[10:11], s[14:15]
	s_cbranch_execz .LBB14_110
; %bb.109:                              ;   in Loop: Header=BB14_12 Depth=1
	v_add_u32_e32 v4, v124, v145
	v_add_u32_e32 v4, 0x80, v4
	ds_read2st64_b32 v[4:5], v4 offset1:13
	v_mad_u64_u32 v[2:3], s[14:15], v3, s37, v[82:83]
	v_mul_lo_u32 v6, v2, 48
	v_add_u32_e32 v2, 0, v145
	v_add_u32_e32 v2, 0xc0, v2
	ds_read2st64_b32 v[2:3], v2 offset1:13
	s_waitcnt lgkmcnt(1)
	v_cvt_f32_f16_e32 v8, v4
	v_cvt_f32_f16_sdwa v9, v4 dst_sel:DWORD dst_unused:UNUSED_PAD src0_sel:WORD_1
	v_cvt_f32_f16_e32 v4, v5
	v_cvt_f32_f16_sdwa v5, v5 dst_sel:DWORD dst_unused:UNUSED_PAD src0_sel:WORD_1
	v_ashrrev_i32_e32 v7, 31, v6
	v_or_b32_e32 v6, v6, v36
	s_waitcnt lgkmcnt(0)
	v_pk_fma_f32 v[8:9], v[2:3], v[8:9], 0 op_sel_hi:[0,1,0]
	v_mov_b32_e32 v2, v3
	v_lshl_add_u64 v[6:7], v[6:7], 3, s[76:77]
	v_pk_fma_f32 v[2:3], v[2:3], v[4:5], v[8:9] op_sel_hi:[0,1,1]
	global_store_dwordx2 v[6:7], v[2:3], off offset:256
	v_mov_b32_e32 v2, 0
.LBB14_110:                             ;   in Loop: Header=BB14_12 Depth=1
	s_or_b64 exec, exec, s[10:11]
	s_movk_i32 s10, 0x47
	v_cmp_gt_i32_e64 s[10:11], s10, v2
	s_mov_b64 s[14:15], -1
	s_and_saveexec_b64 s[88:89], s[10:11]
; %bb.111:                              ;   in Loop: Header=BB14_12 Depth=1
	v_cmp_eq_u32_e64 s[10:11], 0, v2
	s_orn2_b64 s[14:15], s[10:11], exec
; %bb.112:                              ;   in Loop: Header=BB14_12 Depth=1
	s_or_b64 exec, exec, s[88:89]
	s_and_b64 exec, exec, s[14:15]
	s_cbranch_execz .LBB14_115
; %bb.113:                              ;   in Loop: Header=BB14_12 Depth=1
	v_add_u32_e32 v2, s94, v146
	v_cmp_gt_i32_e64 s[10:11], s36, v2
	s_and_b64 s[10:11], s[10:11], vcc
	s_and_b64 exec, exec, s[10:11]
	s_cbranch_execz .LBB14_115
; %bb.114:                              ;   in Loop: Header=BB14_12 Depth=1
	v_add_u32_e32 v4, v124, v147
	v_add_u32_e32 v4, 0x80, v4
	ds_read2st64_b32 v[4:5], v4 offset1:13
	v_mad_u64_u32 v[2:3], s[10:11], v2, s37, v[82:83]
	v_mul_lo_u32 v6, v2, 48
	v_add_u32_e32 v2, 0, v147
	v_add_u32_e32 v2, 0xc0, v2
	ds_read2st64_b32 v[2:3], v2 offset1:13
	s_waitcnt lgkmcnt(1)
	v_cvt_f32_f16_e32 v8, v4
	v_cvt_f32_f16_sdwa v9, v4 dst_sel:DWORD dst_unused:UNUSED_PAD src0_sel:WORD_1
	v_cvt_f32_f16_e32 v4, v5
	v_cvt_f32_f16_sdwa v5, v5 dst_sel:DWORD dst_unused:UNUSED_PAD src0_sel:WORD_1
	v_ashrrev_i32_e32 v7, 31, v6
	v_or_b32_e32 v6, v6, v36
	s_waitcnt lgkmcnt(0)
	v_pk_fma_f32 v[8:9], v[2:3], v[8:9], 0 op_sel_hi:[0,1,0]
	v_mov_b32_e32 v2, v3
	v_lshl_add_u64 v[6:7], v[6:7], 3, s[76:77]
	v_pk_fma_f32 v[2:3], v[2:3], v[4:5], v[8:9] op_sel_hi:[0,1,1]
	global_store_dwordx2 v[6:7], v[2:3], off offset:256
.LBB14_115:                             ;   in Loop: Header=BB14_12 Depth=1
	s_or_b64 exec, exec, s[86:87]
	s_barrier
	s_branch .LBB14_11
.LBB14_116:                             ;   in Loop: Header=BB14_12 Depth=1
	s_lshl_b32 s86, s93, 2
	v_add_u32_e32 v2, s86, v151
	v_cmp_le_i32_e64 s[10:11], s36, v2
	v_cmp_le_i32_e64 s[14:15], s3, v85
	v_cmp_gt_i32_e32 vcc, s3, v85
	s_or_b64 s[10:11], s[10:11], s[14:15]
	s_and_saveexec_b64 s[14:15], s[10:11]
	s_xor_b64 s[10:11], exec, s[14:15]
; %bb.117:                              ;   in Loop: Header=BB14_12 Depth=1
	v_add_u32_e32 v2, v148, v153
	ds_write_b32 v2, v45
                                        ; implicit-def: $vgpr2
; %bb.118:                              ;   in Loop: Header=BB14_12 Depth=1
	s_andn2_saveexec_b64 s[10:11], s[10:11]
	s_cbranch_execz .LBB14_120
; %bb.119:                              ;   in Loop: Header=BB14_12 Depth=1
	v_mad_u64_u32 v[2:3], s[14:15], v2, s57, v[84:85]
	v_ashrrev_i32_e32 v3, 31, v2
	v_lshl_add_u64 v[2:3], v[2:3], 3, s[82:83]
	global_load_dwordx2 v[2:3], v[2:3], off
	s_waitcnt vmcnt(0)
	v_cvt_pk_f16_f32 v2, v2, v3
	v_pk_mul_f16 v2, v2, v149
	v_add_u32_e32 v3, v148, v153
	ds_write_b32 v3, v2
.LBB14_120:                             ;   in Loop: Header=BB14_12 Depth=1
	s_or_b64 exec, exec, s[10:11]
	v_add_u32_e32 v2, s86, v121
	v_cmp_le_i32_e64 s[10:11], s36, v2
	s_xor_b64 s[14:15], vcc, -1
	s_or_b64 s[10:11], s[10:11], s[14:15]
	s_and_saveexec_b64 s[88:89], s[10:11]
	s_xor_b64 s[10:11], exec, s[88:89]
; %bb.121:                              ;   in Loop: Header=BB14_12 Depth=1
	v_add_u32_e32 v2, v148, v153
	ds_write_b32 v2, v45 offset:1664
                                        ; implicit-def: $vgpr2
; %bb.122:                              ;   in Loop: Header=BB14_12 Depth=1
	s_andn2_saveexec_b64 s[10:11], s[10:11]
	s_cbranch_execz .LBB14_124
; %bb.123:                              ;   in Loop: Header=BB14_12 Depth=1
	v_mad_u64_u32 v[2:3], s[88:89], v2, s57, v[84:85]
	v_ashrrev_i32_e32 v3, 31, v2
	v_lshl_add_u64 v[2:3], v[2:3], 3, s[82:83]
	global_load_dwordx2 v[2:3], v[2:3], off
	s_waitcnt vmcnt(0)
	v_cvt_pk_f16_f32 v2, v2, v3
	v_pk_mul_f16 v2, v2, v149
	v_add_u32_e32 v3, v148, v153
	ds_write_b32 v3, v2 offset:1664
.LBB14_124:                             ;   in Loop: Header=BB14_12 Depth=1
	s_or_b64 exec, exec, s[10:11]
	v_add_u32_e32 v2, s86, v122
	v_cmp_le_i32_e32 vcc, s36, v2
	s_or_b64 s[10:11], vcc, s[14:15]
	s_and_saveexec_b64 s[88:89], s[10:11]
	s_xor_b64 s[10:11], exec, s[88:89]
; %bb.125:                              ;   in Loop: Header=BB14_12 Depth=1
	v_add_u32_e32 v2, v148, v153
	ds_write_b32 v2, v45 offset:3328
                                        ; implicit-def: $vgpr2
; %bb.126:                              ;   in Loop: Header=BB14_12 Depth=1
	s_andn2_saveexec_b64 s[10:11], s[10:11]
	s_cbranch_execz .LBB14_128
; %bb.127:                              ;   in Loop: Header=BB14_12 Depth=1
	v_mad_u64_u32 v[2:3], s[88:89], v2, s57, v[84:85]
	v_ashrrev_i32_e32 v3, 31, v2
	v_lshl_add_u64 v[2:3], v[2:3], 3, s[82:83]
	global_load_dwordx2 v[2:3], v[2:3], off
	s_waitcnt vmcnt(0)
	v_cvt_pk_f16_f32 v2, v2, v3
	v_pk_mul_f16 v2, v2, v149
	v_add_u32_e32 v3, v148, v153
	ds_write_b32 v3, v2 offset:3328
.LBB14_128:                             ;   in Loop: Header=BB14_12 Depth=1
	s_or_b64 exec, exec, s[10:11]
	v_add_u32_e32 v2, s86, v123
	v_cmp_le_i32_e32 vcc, s36, v2
	s_or_b64 s[10:11], vcc, s[14:15]
	s_and_saveexec_b64 s[14:15], s[10:11]
	s_xor_b64 s[10:11], exec, s[14:15]
; %bb.129:                              ;   in Loop: Header=BB14_12 Depth=1
	v_add_u32_e32 v2, v148, v153
	ds_write_b32 v2, v45 offset:4992
                                        ; implicit-def: $vgpr2
; %bb.130:                              ;   in Loop: Header=BB14_12 Depth=1
	s_andn2_saveexec_b64 s[10:11], s[10:11]
	s_cbranch_execz .LBB14_132
; %bb.131:                              ;   in Loop: Header=BB14_12 Depth=1
	v_mad_u64_u32 v[2:3], s[14:15], v2, s57, v[84:85]
	v_ashrrev_i32_e32 v3, 31, v2
	v_lshl_add_u64 v[2:3], v[2:3], 3, s[82:83]
	global_load_dwordx2 v[2:3], v[2:3], off
	s_waitcnt vmcnt(0)
	v_cvt_pk_f16_f32 v2, v2, v3
	v_pk_mul_f16 v2, v2, v149
	v_add_u32_e32 v3, v148, v153
	ds_write_b32 v3, v2 offset:4992
.LBB14_132:                             ;   in Loop: Header=BB14_12 Depth=1
	s_or_b64 exec, exec, s[10:11]
	v_or_b32_e32 v2, s67, v125
	v_cmp_gt_i32_e32 vcc, s3, v2
	v_cmp_le_i32_e64 s[10:11], s3, v2
	v_add_u32_e32 v2, s86, v126
	v_cmp_le_i32_e64 s[14:15], s36, v2
	s_or_b64 s[10:11], s[14:15], s[10:11]
	s_and_saveexec_b64 s[14:15], s[10:11]
	s_xor_b64 s[10:11], exec, s[14:15]
; %bb.133:                              ;   in Loop: Header=BB14_12 Depth=1
	ds_write_b32 v128, v45 offset:128
                                        ; implicit-def: $vgpr2
; %bb.134:                              ;   in Loop: Header=BB14_12 Depth=1
	s_andn2_saveexec_b64 s[10:11], s[10:11]
	s_cbranch_execz .LBB14_136
; %bb.135:                              ;   in Loop: Header=BB14_12 Depth=1
	v_mad_u64_u32 v[2:3], s[14:15], v2, s57, v[70:71]
	v_ashrrev_i32_e32 v3, 31, v2
	v_lshl_add_u64 v[2:3], v[2:3], 3, s[82:83]
	global_load_dwordx2 v[2:3], v[2:3], off
	s_waitcnt vmcnt(0)
	v_cvt_pk_f16_f32 v2, v2, v3
	v_pk_mul_f16 v2, v2, v149
	v_add_u32_e32 v3, v124, v127
	ds_write_b32 v3, v2 offset:128
.LBB14_136:                             ;   in Loop: Header=BB14_12 Depth=1
	s_or_b64 exec, exec, s[10:11]
	v_add_u32_e32 v2, s86, v129
	v_cmp_le_i32_e64 s[10:11], s36, v2
	s_xor_b64 s[14:15], vcc, -1
	s_or_b64 s[10:11], s[10:11], s[14:15]
	s_and_saveexec_b64 s[14:15], s[10:11]
	s_xor_b64 s[10:11], exec, s[14:15]
; %bb.137:                              ;   in Loop: Header=BB14_12 Depth=1
	ds_write_b32 v154, v45 offset:128
                                        ; implicit-def: $vgpr2
; %bb.138:                              ;   in Loop: Header=BB14_12 Depth=1
	s_andn2_saveexec_b64 s[10:11], s[10:11]
	s_cbranch_execz .LBB14_140
; %bb.139:                              ;   in Loop: Header=BB14_12 Depth=1
	v_mad_u64_u32 v[2:3], s[14:15], v2, s57, v[70:71]
	v_ashrrev_i32_e32 v3, 31, v2
	v_lshl_add_u64 v[2:3], v[2:3], 3, s[82:83]
	global_load_dwordx2 v[2:3], v[2:3], off
	s_waitcnt vmcnt(0)
	v_cvt_pk_f16_f32 v2, v2, v3
	v_pk_mul_f16 v2, v2, v149
	v_add_u32_e32 v3, v124, v127
	ds_write_b32 v3, v2 offset:3456
.LBB14_140:                             ;   in Loop: Header=BB14_12 Depth=1
	s_or_b64 exec, exec, s[10:11]
	s_waitcnt lgkmcnt(0)
	s_barrier
	ds_read2_b64 v[10:13], v115 offset1:4
	ds_read2_b64 v[6:9], v115 offset0:8 offset1:12
	ds_read2_b64 v[2:5], v115 offset0:16 offset1:20
	s_cmp_lt_i32 s8, 2
	s_waitcnt lgkmcnt(0)
	s_barrier
	s_cbranch_scc1 .LBB14_145
; %bb.141:                              ;   in Loop: Header=BB14_12 Depth=1
	v_add_u32_e32 v14, s86, v71
	v_mul_hi_u32 v15, s44, v14
	v_add_u32_e32 v15, v14, v15
	v_lshrrev_b32_e32 v15, s45, v15
	v_mul_lo_u32 v15, v15, s36
	v_sub_u32_e32 v16, v14, v15
	v_and_b32_e32 v14, 64, v161
	v_add_u32_e32 v14, 64, v14
	v_xor_b32_e32 v15, 32, v161
	v_cmp_lt_i32_e32 vcc, v15, v14
	v_readlane_b32 s10, v175, 27
	v_readlane_b32 s11, v175, 28
	v_cndmask_b32_e32 v15, v161, v15, vcc
	v_lshlrev_b32_e32 v44, 2, v15
	v_xor_b32_e32 v15, 16, v161
	v_cmp_lt_i32_e32 vcc, v15, v14
	s_add_i32 s8, s8, -1
	v_mov_b32_e32 v26, 0
	v_cndmask_b32_e32 v14, v161, v15, vcc
	v_lshlrev_b32_e32 v164, 2, v14
	v_mov_b64_e32 v[14:15], s[84:85]
	v_mad_i64_i32 v[14:15], s[10:11], s10, v16, v[14:15]
	s_add_u32 s10, s53, s12
	s_addc_u32 s11, s62, s13
	v_lshl_add_u64 v[96:97], v[62:63], 0, s[10:11]
	v_lshl_add_u64 v[98:99], v[86:87], 0, s[10:11]
	;; [unrolled: 1-line block ×3, first 2 shown]
	s_add_u32 s10, s92, s42
	s_addc_u32 s11, s9, s66
	v_lshl_add_u64 v[94:95], v[60:61], 0, v[14:15]
	v_lshl_add_u64 v[102:103], v[68:69], 0, s[10:11]
	;; [unrolled: 1-line block ×4, first 2 shown]
	v_mov_b32_e32 v15, 0xfeffffff
	v_mov_b32_e32 v14, 0
	s_mov_b32 s9, s8
	v_mov_b32_e32 v27, 0
	v_mov_b32_e32 v28, 0
	;; [unrolled: 1-line block ×11, first 2 shown]
	s_and_saveexec_b64 s[10:11], s[4:5]
	s_cbranch_execz .LBB14_143
.LBB14_142:                             ;   in Loop: Header=BB14_12 Depth=1
	global_load_dword v16, v[94:95], off
	s_waitcnt vmcnt(0)
	ds_write_b32 v75, v16 offset:13312
.LBB14_143:                             ;   Parent Loop BB14_12 Depth=1
                                        ; =>  This Inner Loop Header: Depth=2
	s_or_b64 exec, exec, s[10:11]
	global_load_dwordx4 v[30:33], v[102:103], off
	v_lshl_add_u64 v[16:17], v[104:105], 0, v[66:67]
	v_lshl_add_u64 v[20:21], v[106:107], 0, v[66:67]
	s_add_i32 s9, s9, -1
	v_lshl_add_u64 v[94:95], v[94:95], 0, s[70:71]
	v_lshl_add_u64 v[102:103], v[102:103], 0, s[74:75]
	;; [unrolled: 1-line block ×4, first 2 shown]
	s_cmp_lg_u32 s9, 0
	s_waitcnt vmcnt(0)
	ds_write_b128 v77, v[30:33]
	global_load_dwordx4 v[30:33], v[16:17], off
	v_add_u32_e32 v16, v73, v116
	s_waitcnt vmcnt(0)
	ds_write_b128 v79, v[30:33]
	global_load_dwordx4 v[30:33], v[20:21], off
	s_waitcnt vmcnt(0)
	ds_write_b128 v150, v[30:33]
	s_waitcnt lgkmcnt(0)
	s_barrier
	ds_read2_b64 v[30:33], v16 offset1:4
	s_waitcnt lgkmcnt(0)
	v_mfma_f32_16x16x16_f16 v[166:169], v[30:31], v[10:11], 0
	v_mfma_f32_16x16x16_f16 v[30:33], v[32:33], v[12:13], v[166:169]
	s_nop 6
	ds_read2_b64 v[166:169], v16 offset0:8 offset1:12
	s_waitcnt lgkmcnt(0)
	v_mfma_f32_16x16x16_f16 v[30:33], v[166:167], v[6:7], v[30:33]
	v_mfma_f32_16x16x16_f16 v[30:33], v[168:169], v[8:9], v[30:33]
	ds_read2_b64 v[166:169], v16 offset0:16 offset1:20
	v_add_u32_e32 v16, 0x1800, v16
	s_waitcnt lgkmcnt(0)
	v_mfma_f32_16x16x16_f16 v[30:33], v[166:167], v[2:3], v[30:33]
	v_mfma_f32_16x16x16_f16 v[30:33], v[168:169], v[4:5], v[30:33]
	ds_read2_b64 v[166:169], v16 offset0:64 offset1:68
	s_waitcnt lgkmcnt(0)
	v_mfma_f32_16x16x16_f16 v[170:173], v[166:167], v[10:11], 0
	v_mfma_f32_16x16x16_f16 v[166:169], v[168:169], v[12:13], v[170:173]
	s_nop 6
	ds_read2_b64 v[170:173], v16 offset0:72 offset1:76
	s_waitcnt lgkmcnt(0)
	v_mfma_f32_16x16x16_f16 v[166:169], v[170:171], v[6:7], v[166:169]
	v_mfma_f32_16x16x16_f16 v[166:169], v[172:173], v[8:9], v[166:169]
	ds_read2_b64 v[170:173], v16 offset0:80 offset1:84
	v_add_u32_e32 v16, 0x3400, v81
	s_waitcnt lgkmcnt(0)
	s_barrier
	ds_read2_b32 v[16:17], v16 offset1:1
	v_mfma_f32_16x16x16_f16 v[166:169], v[170:171], v[2:3], v[166:169]
	s_waitcnt lgkmcnt(0)
	v_cvt_f32_f16_e32 v20, v16
	v_cvt_f32_f16_e32 v21, v17
	v_cvt_f32_f16_sdwa v17, v17 dst_sel:DWORD dst_unused:UNUSED_PAD src0_sel:WORD_1
	v_cvt_f32_f16_sdwa v16, v16 dst_sel:DWORD dst_unused:UNUSED_PAD src0_sel:WORD_1
	v_add_f32_e32 v20, v30, v20
	v_add_f32_e32 v21, v32, v21
	ds_read_b32 v30, v117 offset:13312
	ds_read_b32 v32, v118 offset:13312
	v_mfma_f32_16x16x16_f16 v[166:169], v[172:173], v[4:5], v[166:169]
	v_add_f32_e32 v17, v33, v17
	v_add_f32_e32 v16, v31, v16
	s_waitcnt lgkmcnt(1)
	v_cvt_f32_f16_e32 v31, v30
	s_waitcnt lgkmcnt(0)
	v_cvt_f32_f16_e32 v33, v32
	v_cvt_f32_f16_sdwa v32, v32 dst_sel:DWORD dst_unused:UNUSED_PAD src0_sel:WORD_1
	v_cvt_f32_f16_sdwa v30, v30 dst_sel:DWORD dst_unused:UNUSED_PAD src0_sel:WORD_1
	v_add_f32_e32 v85, 0x40051340, v16
	v_add_f32_e32 v31, v166, v31
	;; [unrolled: 1-line block ×5, first 2 shown]
	v_max3_f32 v32, v15, v32, v85
	v_add_f32_e32 v85, 0x40051340, v21
	v_add_f32_e32 v110, 0x40051340, v17
	;; [unrolled: 1-line block ×3, first 2 shown]
	v_max3_f32 v32, v32, v85, v110
	v_add_f32_e32 v85, 0x40051340, v31
	v_add_f32_e32 v110, 0x40051340, v30
	v_max3_f32 v32, v32, v85, v110
	v_add_f32_e32 v85, 0x40051340, v33
	v_add_f32_e32 v110, 0x40051340, v163
	v_max3_f32 v32, v32, v85, v110
	ds_bpermute_b32 v85, v44, v32
	s_waitcnt lgkmcnt(0)
	v_max_f32_e32 v85, v85, v85
	v_max_f32_e32 v32, v32, v85
	ds_bpermute_b32 v85, v164, v32
	s_waitcnt lgkmcnt(0)
	v_max_f32_e32 v85, v85, v85
	v_max_f32_e32 v85, v32, v85
	v_sub_f32_e32 v20, v20, v85
	v_mul_f32_e32 v32, 0x3fb8aa3b, v20
	v_fma_f32 v110, v20, s47, -v32
	v_rndne_f32_e32 v111, v32
	v_fmac_f32_e32 v110, 0x32a5705f, v20
	v_sub_f32_e32 v32, v32, v111
	v_add_f32_e32 v32, v32, v110
	v_exp_f32_e32 v32, v32
	v_cvt_i32_f32_e32 v110, v111
	v_cmp_ngt_f32_e32 vcc, s2, v20
	v_sub_f32_e32 v16, v16, v85
	v_sub_f32_e32 v17, v17, v85
	v_ldexp_f32 v32, v32, v110
	v_cndmask_b32_e32 v32, 0, v32, vcc
	v_cmp_nlt_f32_e32 vcc, s46, v20
	v_mul_f32_e32 v20, 0x3fb8aa3b, v16
	v_fma_f32 v110, v16, s47, -v20
	v_rndne_f32_e32 v111, v20
	v_fmac_f32_e32 v110, 0x32a5705f, v16
	v_sub_f32_e32 v20, v20, v111
	v_add_f32_e32 v20, v20, v110
	v_exp_f32_e32 v20, v20
	v_cvt_i32_f32_e32 v110, v111
	v_cndmask_b32_e32 v32, v162, v32, vcc
	v_cmp_ngt_f32_e32 vcc, s2, v16
	v_sub_f32_e32 v15, v15, v85
	v_ldexp_f32 v20, v20, v110
	v_cndmask_b32_e32 v20, 0, v20, vcc
	v_cmp_nlt_f32_e32 vcc, s46, v16
	s_nop 1
	v_cndmask_b32_e32 v110, v162, v20, vcc
	v_sub_f32_e32 v20, v21, v85
	v_mul_f32_e32 v21, 0x3fb8aa3b, v20
	v_fma_f32 v111, v20, s47, -v21
	v_rndne_f32_e32 v165, v21
	v_fmac_f32_e32 v111, 0x32a5705f, v20
	v_sub_f32_e32 v21, v21, v165
	v_add_f32_e32 v21, v21, v111
	v_exp_f32_e32 v21, v21
	v_cvt_i32_f32_e32 v111, v165
	v_cmp_ngt_f32_e32 vcc, s2, v20
	v_add_f32_e32 v16, v32, v110
	v_cvt_pk_f16_f32 v110, v32, v110
	v_ldexp_f32 v21, v21, v111
	v_cndmask_b32_e32 v21, 0, v21, vcc
	v_cmp_nlt_f32_e32 vcc, s46, v20
	v_mul_f32_e32 v20, 0x3fb8aa3b, v17
	v_rndne_f32_e32 v165, v20
	v_cndmask_b32_e32 v111, v162, v21, vcc
	v_fma_f32 v21, v17, s47, -v20
	v_fmac_f32_e32 v21, 0x32a5705f, v17
	v_sub_f32_e32 v20, v20, v165
	v_add_f32_e32 v20, v20, v21
	v_exp_f32_e32 v20, v20
	v_cvt_i32_f32_e32 v21, v165
	v_cmp_ngt_f32_e32 vcc, s2, v17
	v_add_f32_e32 v16, v111, v16
	v_ldexp_f32 v20, v20, v21
	v_cndmask_b32_e32 v20, 0, v20, vcc
	v_cmp_nlt_f32_e32 vcc, s46, v17
	v_sub_f32_e32 v17, v31, v85
	s_nop 0
	v_cndmask_b32_e32 v168, v162, v20, vcc
	v_mul_f32_e32 v20, 0x3fb8aa3b, v17
	v_fma_f32 v21, v17, s47, -v20
	v_rndne_f32_e32 v31, v20
	v_fmac_f32_e32 v21, 0x32a5705f, v17
	v_sub_f32_e32 v20, v20, v31
	v_add_f32_e32 v20, v20, v21
	v_exp_f32_e32 v20, v20
	v_cvt_i32_f32_e32 v21, v31
	v_cmp_ngt_f32_e32 vcc, s2, v17
	v_add_f32_e32 v16, v168, v16
	v_cvt_pk_f16_f32 v111, v111, v168
	v_ldexp_f32 v20, v20, v21
	v_cndmask_b32_e32 v20, 0, v20, vcc
	v_cmp_nlt_f32_e32 vcc, s46, v17
	v_sub_f32_e32 v17, v30, v85
	v_mul_f32_e32 v21, 0x3fb8aa3b, v17
	v_fma_f32 v30, v17, s47, -v21
	v_rndne_f32_e32 v31, v21
	v_fmac_f32_e32 v30, 0x32a5705f, v17
	v_sub_f32_e32 v21, v21, v31
	v_add_f32_e32 v21, v21, v30
	v_exp_f32_e32 v21, v21
	v_cvt_i32_f32_e32 v30, v31
	v_cndmask_b32_e32 v20, v162, v20, vcc
	v_cmp_ngt_f32_e32 vcc, s2, v17
	v_add_f32_e32 v16, v20, v16
	v_ldexp_f32 v21, v21, v30
	v_cndmask_b32_e32 v21, 0, v21, vcc
	v_cmp_nlt_f32_e32 vcc, s46, v17
	v_sub_f32_e32 v17, v33, v85
	v_mul_f32_e32 v30, 0x3fb8aa3b, v17
	v_fma_f32 v31, v17, s47, -v30
	v_rndne_f32_e32 v33, v30
	v_fmac_f32_e32 v31, 0x32a5705f, v17
	v_sub_f32_e32 v30, v30, v33
	v_add_f32_e32 v30, v30, v31
	v_exp_f32_e32 v30, v30
	v_cvt_i32_f32_e32 v31, v33
	v_cndmask_b32_e32 v21, v162, v21, vcc
	v_cmp_ngt_f32_e32 vcc, s2, v17
	v_add_f32_e32 v16, v21, v16
	v_ldexp_f32 v30, v30, v31
	v_cndmask_b32_e32 v30, 0, v30, vcc
	v_cmp_nlt_f32_e32 vcc, s46, v17
	v_sub_f32_e32 v17, v163, v85
	s_nop 0
	v_cndmask_b32_e32 v33, v162, v30, vcc
	v_mul_f32_e32 v30, 0x3fb8aa3b, v17
	v_fma_f32 v31, v17, s47, -v30
	v_rndne_f32_e32 v163, v30
	v_fmac_f32_e32 v31, 0x32a5705f, v17
	v_sub_f32_e32 v30, v30, v163
	v_add_f32_e32 v30, v30, v31
	v_exp_f32_e32 v30, v30
	v_cvt_i32_f32_e32 v31, v163
	v_cmp_ngt_f32_e32 vcc, s2, v17
	v_add_f32_e32 v16, v33, v16
	v_ldexp_f32 v30, v30, v31
	v_cndmask_b32_e32 v30, 0, v30, vcc
	v_cmp_nlt_f32_e32 vcc, s46, v17
	s_nop 1
	v_cndmask_b32_e32 v167, v162, v30, vcc
	v_add_f32_e32 v163, v167, v16
	v_mul_f32_e32 v16, 0x3fb8aa3b, v15
	v_fma_f32 v17, v15, s47, -v16
	v_rndne_f32_e32 v30, v16
	v_fmac_f32_e32 v17, 0x32a5705f, v15
	v_sub_f32_e32 v16, v16, v30
	v_add_f32_e32 v16, v16, v17
	v_exp_f32_e32 v16, v16
	v_cvt_i32_f32_e32 v17, v30
	v_cmp_ngt_f32_e32 vcc, s2, v15
	v_ldexp_f32 v16, v16, v17
	s_nop 0
	v_cndmask_b32_e32 v16, 0, v16, vcc
	v_cmp_nlt_f32_e32 vcc, s46, v15
	s_nop 1
	v_cndmask_b32_e32 v16, v162, v16, vcc
	v_cmp_le_f32_e32 vcc, s64, v15
	s_nop 1
	v_cndmask_b32_e32 v15, 0, v16, vcc
	v_fmac_f32_e32 v163, v14, v15
	v_cvt_f16_f32_e32 v14, v15
	v_mul_u32_u24_e32 v14, 0x10001, v14
	v_pk_mul_f16 v109, v109, v14
	v_pk_mul_f16 v108, v108, v14
	;; [unrolled: 1-line block ×12, first 2 shown]
	global_load_dwordx4 v[14:17], v[96:97], off
	v_cvt_f32_f16_e32 v168, v25
	v_cvt_f32_f16_sdwa v171, v24 dst_sel:DWORD dst_unused:UNUSED_PAD src0_sel:WORD_1
	v_lshl_add_u64 v[96:97], v[96:97], 0, s[72:73]
	s_waitcnt vmcnt(0)
	ds_write_b128 v77, v[14:17]
	v_lshl_add_u64 v[14:15], v[98:99], 0, v[66:67]
	global_load_dwordx4 v[14:17], v[14:15], off
	v_lshl_add_u64 v[98:99], v[98:99], 0, s[72:73]
	s_waitcnt vmcnt(0)
	ds_write_b128 v79, v[14:17]
	v_lshl_add_u64 v[14:15], v[100:101], 0, v[66:67]
	global_load_dwordx4 v[14:17], v[14:15], off
	v_lshl_add_u64 v[100:101], v[100:101], 0, s[72:73]
	s_waitcnt vmcnt(0)
	ds_write_b128 v150, v[14:17]
	s_waitcnt lgkmcnt(0)
	s_barrier
	ds_read_u16 v18, v83 offset:208
	ds_read_u16 v19, v112
	ds_read_u16 v22, v112 offset:32
	ds_read_u16 v23, v113
	ds_read_u16 v27, v113 offset:32
	v_cvt_f32_f16_e32 v14, v109
	v_cvt_f32_f16_sdwa v15, v109 dst_sel:DWORD dst_unused:UNUSED_PAD src0_sel:WORD_1
	v_cvt_f32_f16_e32 v16, v108
	s_waitcnt lgkmcnt(1)
	v_perm_b32 v19, v23, v19, s65
	ds_read_u16 v23, v83
	ds_read_u16 v170, v83 offset:32
	v_cvt_f32_f16_sdwa v17, v108 dst_sel:DWORD dst_unused:UNUSED_PAD src0_sel:WORD_1
	v_cvt_pk_f16_f32 v109, v33, v167
	v_cvt_pk_f16_f32 v108, v20, v21
	s_waitcnt lgkmcnt(1)
	v_perm_b32 v18, v18, v23, s65
	v_cvt_f32_f16_e32 v20, v29
	v_cvt_f32_f16_sdwa v21, v29 dst_sel:DWORD dst_unused:UNUSED_PAD src0_sel:WORD_1
	v_mfma_f32_16x16x16_f16 v[14:17], v[18:19], v[110:111], v[14:17]
	ds_read_u16 v18, v83 offset:6656
	ds_read_u16 v23, v83 offset:6864
	;; [unrolled: 1-line block ×4, first 2 shown]
	s_nop 3
	v_cvt_f16_f32_e32 v14, v14
	v_cvt_f16_f32_e32 v15, v15
	v_cvt_f16_f32_e32 v16, v16
	v_cvt_f16_f32_e32 v17, v17
	s_waitcnt lgkmcnt(0)
	v_perm_b32 v19, v32, v19, s65
	ds_read_u16 v32, v83 offset:240
	v_perm_b32 v18, v23, v18, s65
	v_cvt_f32_f16_e32 v14, v14
	v_cvt_f32_f16_e32 v15, v15
	;; [unrolled: 1-line block ×4, first 2 shown]
	v_perm_b32 v23, v27, v22, s65
	s_waitcnt lgkmcnt(0)
	v_perm_b32 v22, v32, v170, s65
	v_mfma_f32_16x16x16_f16 v[14:17], v[18:19], v[108:109], v[14:17]
	v_cvt_f32_f16_e32 v18, v169
	v_cvt_f32_f16_sdwa v19, v169 dst_sel:DWORD dst_unused:UNUSED_PAD src0_sel:WORD_1
	v_cvt_f32_f16_sdwa v169, v25 dst_sel:DWORD dst_unused:UNUSED_PAD src0_sel:WORD_1
	v_cvt_f32_f16_e32 v170, v24
	v_mfma_f32_16x16x16_f16 v[18:21], v[22:23], v[110:111], v[18:21]
	ds_read_u16 v22, v83 offset:6688
	ds_read_u16 v27, v83 offset:6896
	;; [unrolled: 1-line block ×4, first 2 shown]
	s_nop 3
	v_cvt_f16_f32_e32 v18, v18
	v_cvt_f16_f32_e32 v19, v19
	;; [unrolled: 1-line block ×4, first 2 shown]
	s_waitcnt lgkmcnt(0)
	v_perm_b32 v23, v29, v23, s65
	v_perm_b32 v22, v27, v22, s65
	v_cvt_f32_f16_e32 v18, v18
	v_cvt_f32_f16_e32 v19, v19
	v_cvt_f32_f16_e32 v20, v20
	v_cvt_f32_f16_e32 v21, v21
	s_nop 1
	v_mfma_f32_16x16x16_f16 v[18:21], v[22:23], v[108:109], v[18:21]
	ds_read_u16 v22, v83 offset:64
	ds_read_u16 v27, v83 offset:272
	;; [unrolled: 1-line block ×4, first 2 shown]
	s_waitcnt lgkmcnt(2)
	v_perm_b32 v22, v27, v22, s65
	s_waitcnt lgkmcnt(0)
	v_perm_b32 v23, v29, v23, s65
	ds_read_u16 v27, v83 offset:6720
	ds_read_u16 v29, v83 offset:6928
	;; [unrolled: 1-line block ×4, first 2 shown]
	v_mfma_f32_16x16x16_f16 v[22:25], v[22:23], v[110:111], v[168:171]
	s_waitcnt lgkmcnt(0)
	v_perm_b32 v33, v33, v32, s65
	v_perm_b32 v32, v29, v27, s65
	v_cvt_f32_f16_e32 v170, v26
	s_nop 3
	v_cvt_f16_f32_e32 v22, v22
	v_cvt_f16_f32_e32 v23, v23
	;; [unrolled: 1-line block ×4, first 2 shown]
	v_cvt_f32_f16_e32 v22, v22
	v_cvt_f32_f16_e32 v23, v23
	;; [unrolled: 1-line block ×4, first 2 shown]
	v_cvt_f32_f16_sdwa v171, v26 dst_sel:DWORD dst_unused:UNUSED_PAD src0_sel:WORD_1
	v_cvt_f32_f16_e32 v168, v28
	v_mfma_f32_16x16x16_f16 v[22:25], v[32:33], v[108:109], v[22:25]
	ds_read_u16 v29, v83 offset:96
	ds_read_u16 v32, v83 offset:304
	;; [unrolled: 1-line block ×4, first 2 shown]
	v_cvt_f32_f16_sdwa v169, v28 dst_sel:DWORD dst_unused:UNUSED_PAD src0_sel:WORD_1
	s_waitcnt lgkmcnt(2)
	v_perm_b32 v26, v32, v29, s65
	s_nop 0
	v_cvt_pk_f16_f32 v24, v24, v25
	s_waitcnt lgkmcnt(0)
	v_perm_b32 v27, v33, v27, s65
	v_cvt_pk_f16_f32 v25, v20, v21
	s_nop 0
	v_mfma_f32_16x16x16_f16 v[26:29], v[26:27], v[110:111], v[168:171]
	ds_read_u16 v32, v83 offset:6752
	ds_read_u16 v167, v83 offset:6960
	;; [unrolled: 1-line block ×4, first 2 shown]
	v_cvt_f32_f16_sdwa v169, v31 dst_sel:DWORD dst_unused:UNUSED_PAD src0_sel:WORD_1
	v_cvt_f32_f16_e32 v170, v30
	s_nop 1
	v_cvt_f16_f32_e32 v26, v26
	v_cvt_f16_f32_e32 v27, v27
	;; [unrolled: 1-line block ×4, first 2 shown]
	s_waitcnt lgkmcnt(0)
	v_perm_b32 v33, v168, v33, s65
	v_perm_b32 v32, v167, v32, s65
	v_cvt_f32_f16_e32 v26, v26
	v_cvt_f32_f16_e32 v27, v27
	v_cvt_f32_f16_e32 v28, v28
	v_cvt_f32_f16_e32 v29, v29
	v_cvt_f32_f16_e32 v168, v31
	v_cvt_f32_f16_sdwa v171, v30 dst_sel:DWORD dst_unused:UNUSED_PAD src0_sel:WORD_1
	v_mfma_f32_16x16x16_f16 v[26:29], v[32:33], v[108:109], v[26:29]
	ds_read_u16 v32, v83 offset:128
	ds_read_u16 v33, v83 offset:336
	ds_read_u16 v167, v112 offset:128
	ds_read_u16 v172, v113 offset:128
	s_waitcnt lgkmcnt(2)
	v_perm_b32 v30, v33, v32, s65
	s_nop 1
	v_cvt_pk_f16_f32 v26, v26, v27
	s_waitcnt lgkmcnt(0)
	v_perm_b32 v31, v172, v167, s65
	v_cvt_pk_f16_f32 v27, v28, v29
	v_cvt_pk_f16_f32 v28, v22, v23
	v_mfma_f32_16x16x16_f16 v[30:33], v[30:31], v[110:111], v[168:171]
	ds_read_u16 v167, v83 offset:6784
	s_nop 1
	ds_read_u16 v168, v83 offset:6992
	ds_read_u16 v169, v112 offset:6784
	;; [unrolled: 1-line block ×3, first 2 shown]
	v_cvt_f32_f16_sdwa v171, v165 dst_sel:DWORD dst_unused:UNUSED_PAD src0_sel:WORD_1
	v_cvt_pk_f16_f32 v29, v18, v19
	v_cvt_f16_f32_e32 v30, v30
	v_cvt_f16_f32_e32 v31, v31
	v_cvt_f16_f32_e32 v32, v32
	v_cvt_f16_f32_e32 v33, v33
	s_waitcnt lgkmcnt(0)
	v_perm_b32 v169, v170, v169, s65
	v_perm_b32 v168, v168, v167, s65
	ds_read_u16 v172, v83 offset:160
	ds_read_u16 v173, v83 offset:368
	;; [unrolled: 1-line block ×4, first 2 shown]
	v_cvt_f32_f16_e32 v30, v30
	v_cvt_f32_f16_e32 v31, v31
	;; [unrolled: 1-line block ×4, first 2 shown]
	s_waitcnt lgkmcnt(0)
	v_perm_b32 v167, v174, v167, s65
	v_cvt_f32_f16_e32 v170, v165
	v_mfma_f32_16x16x16_f16 v[30:33], v[168:169], v[108:109], v[30:33]
	v_cvt_f32_f16_e32 v168, v166
	v_cvt_f32_f16_sdwa v169, v166 dst_sel:DWORD dst_unused:UNUSED_PAD src0_sel:WORD_1
	v_perm_b32 v166, v173, v172, s65
	s_nop 1
	v_mfma_f32_16x16x16_f16 v[166:169], v[166:167], v[110:111], v[168:171]
	s_nop 1
	v_cvt_pk_f16_f32 v23, v30, v31
	v_cvt_pk_f16_f32 v22, v32, v33
	s_nop 3
	v_cvt_f16_f32_e32 v165, v166
	v_cvt_f16_f32_e32 v166, v167
	;; [unrolled: 1-line block ×4, first 2 shown]
	ds_read_u16 v110, v83 offset:6816
	ds_read_u16 v111, v83 offset:7024
	;; [unrolled: 1-line block ×4, first 2 shown]
	v_cvt_f32_f16_e32 v171, v166
	v_cvt_f32_f16_e32 v172, v167
	s_waitcnt lgkmcnt(2)
	v_perm_b32 v166, v111, v110, s65
	v_cvt_f32_f16_e32 v170, v165
	s_waitcnt lgkmcnt(0)
	v_perm_b32 v167, v174, v169, s65
	v_cvt_f32_f16_e32 v173, v168
	s_barrier
	s_nop 0
	v_mfma_f32_16x16x16_f16 v[166:169], v[166:167], v[108:109], v[170:173]
	v_cvt_pk_f16_f32 v109, v14, v15
	v_cvt_pk_f16_f32 v108, v16, v17
	s_nop 5
	v_cvt_pk_f16_f32 v19, v166, v167
	v_cvt_pk_f16_f32 v18, v168, v169
	s_cbranch_scc0 .LBB14_146
; %bb.144:                              ;   in Loop: Header=BB14_143 Depth=2
	v_mov_b32_e32 v14, v163
	v_mov_b32_e32 v15, v85
	s_and_saveexec_b64 s[10:11], s[4:5]
	s_cbranch_execnz .LBB14_142
	s_branch .LBB14_143
.LBB14_145:                             ;   in Loop: Header=BB14_12 Depth=1
	v_mov_b32_e32 v85, 0xfeffffff
	v_mov_b32_e32 v163, 0
	s_mov_b64 s[10:11], 0
	v_mov_b32_e32 v18, 0
	v_mov_b32_e32 v19, 0
	;; [unrolled: 1-line block ×12, first 2 shown]
	s_and_saveexec_b64 s[14:15], s[4:5]
	s_cbranch_execnz .LBB14_147
	s_branch .LBB14_148
.LBB14_146:                             ;   in Loop: Header=BB14_12 Depth=1
	s_lshl_b32 s62, s8, 6
	s_mov_b64 s[10:11], s[62:63]
	s_and_saveexec_b64 s[14:15], s[4:5]
	s_cbranch_execz .LBB14_148
.LBB14_147:                             ;   in Loop: Header=BB14_12 Depth=1
	v_or_b32_e32 v14, s86, v71
	v_mul_hi_u32 v15, s44, v14
	v_add_u32_e32 v15, v14, v15
	v_lshrrev_b32_e32 v15, s45, v15
	s_lshl_b64 s[8:9], s[10:11], 1
	v_mul_lo_u32 v15, v15, s36
	v_readlane_b32 s12, v175, 25
	s_add_u32 s8, s80, s8
	v_sub_u32_e32 v14, v14, v15
	v_readlane_b32 s13, v175, 26
	s_addc_u32 s9, s81, s9
	v_mad_i64_i32 v[14:15], s[12:13], v14, s12, 0
	v_lshl_add_u64 v[14:15], v[14:15], 1, s[8:9]
	v_lshlrev_b32_e32 v44, 1, v38
	v_lshl_add_u64 v[14:15], v[14:15], 0, v[44:45]
	global_load_dword v14, v[14:15], off
	s_waitcnt vmcnt(0)
	ds_write_b32 v75, v14 offset:13312
.LBB14_148:                             ;   in Loop: Header=BB14_12 Depth=1
	s_or_b64 exec, exec, s[14:15]
	s_mul_i32 s8, s10, s39
	s_mul_hi_u32 s9, s10, s38
	s_add_i32 s9, s9, s8
	s_mul_i32 s8, s10, s38
	s_lshl_b64 s[8:9], s[8:9], 2
	s_add_u32 s8, s69, s8
	s_addc_u32 s9, s33, s9
	v_lshl_add_u64 v[14:15], v[48:49], 2, s[8:9]
	v_lshlrev_b32_e32 v44, 2, v40
	v_lshl_add_u64 v[16:17], v[14:15], 0, v[44:45]
	v_lshlrev_b32_e32 v14, 2, v42
	v_mov_b32_e32 v15, v45
	v_lshl_add_u64 v[30:31], v[52:53], 2, s[8:9]
	v_lshl_add_u64 v[94:95], v[30:31], 0, v[14:15]
	global_load_dwordx4 v[30:33], v[16:17], off offset:128
	v_lshl_add_u64 v[20:21], v[50:51], 2, s[8:9]
	v_lshl_add_u64 v[20:21], v[20:21], 0, v[14:15]
	v_add_u32_e32 v16, v73, v116
	s_mul_i32 s8, s10, s35
	s_mul_hi_u32 s9, s10, s34
	s_add_i32 s9, s9, s8
	s_mul_i32 s8, s10, s34
	s_lshl_b64 s[8:9], s[8:9], 2
	s_add_u32 s8, s61, s8
	s_addc_u32 s9, s68, s9
	s_cmp_lg_u64 s[78:79], 0
	s_waitcnt vmcnt(0)
	ds_write_b128 v77, v[30:33]
	global_load_dwordx4 v[30:33], v[20:21], off
	s_waitcnt vmcnt(0)
	ds_write_b128 v79, v[30:33]
	global_load_dwordx4 v[30:33], v[94:95], off
	s_waitcnt vmcnt(0)
	ds_write_b128 v150, v[30:33]
	s_waitcnt lgkmcnt(0)
	s_barrier
	ds_read2_b64 v[30:33], v16 offset1:4
	s_waitcnt lgkmcnt(0)
	v_mfma_f32_16x16x16_f16 v[94:97], v[30:31], v[10:11], 0
	v_mfma_f32_16x16x16_f16 v[30:33], v[32:33], v[12:13], v[94:97]
	s_nop 6
	ds_read2_b64 v[94:97], v16 offset0:8 offset1:12
	s_waitcnt lgkmcnt(0)
	v_mfma_f32_16x16x16_f16 v[30:33], v[94:95], v[6:7], v[30:33]
	v_mfma_f32_16x16x16_f16 v[30:33], v[96:97], v[8:9], v[30:33]
	ds_read2_b64 v[94:97], v16 offset0:16 offset1:20
	v_add_u32_e32 v16, 0x1800, v16
	s_waitcnt lgkmcnt(0)
	v_mfma_f32_16x16x16_f16 v[30:33], v[94:95], v[2:3], v[30:33]
	v_mfma_f32_16x16x16_f16 v[30:33], v[96:97], v[4:5], v[30:33]
	ds_read2_b64 v[94:97], v16 offset0:64 offset1:68
	s_waitcnt lgkmcnt(0)
	v_mfma_f32_16x16x16_f16 v[98:101], v[94:95], v[10:11], 0
	v_mfma_f32_16x16x16_f16 v[10:13], v[96:97], v[12:13], v[98:101]
	ds_read2_b64 v[94:97], v16 offset0:72 offset1:76
	s_waitcnt lgkmcnt(0)
	v_mfma_f32_16x16x16_f16 v[10:13], v[94:95], v[6:7], v[10:13]
	v_mfma_f32_16x16x16_f16 v[6:9], v[96:97], v[8:9], v[10:13]
	s_nop 6
	ds_read2_b64 v[10:13], v16 offset0:80 offset1:84
	s_waitcnt lgkmcnt(0)
	v_mfma_f32_16x16x16_f16 v[6:9], v[10:11], v[2:3], v[6:9]
	v_add_u32_e32 v2, 0x3400, v81
	s_barrier
	ds_read2_b32 v[2:3], v2 offset1:1
	v_mfma_f32_16x16x16_f16 v[10:13], v[12:13], v[4:5], v[6:9]
	s_waitcnt lgkmcnt(0)
	v_cvt_f32_f16_e32 v4, v2
	v_cvt_f32_f16_sdwa v2, v2 dst_sel:DWORD dst_unused:UNUSED_PAD src0_sel:WORD_1
	s_nop 0
	v_add_f32_e32 v6, v30, v4
	v_add_f32_e32 v7, v31, v2
	v_cvt_f32_f16_e32 v2, v3
	v_cvt_f32_f16_sdwa v3, v3 dst_sel:DWORD dst_unused:UNUSED_PAD src0_sel:WORD_1
	v_add_f32_e32 v8, v32, v2
	ds_read_b32 v2, v117 offset:13312
	v_add_f32_e32 v9, v33, v3
	s_waitcnt lgkmcnt(0)
	v_cvt_f32_f16_e32 v3, v2
	v_cvt_f32_f16_sdwa v2, v2 dst_sel:DWORD dst_unused:UNUSED_PAD src0_sel:WORD_1
	v_add_f32_e32 v5, v10, v3
	v_add_f32_e32 v4, v11, v2
	ds_read_b32 v2, v118 offset:13312
	v_add_f32_e32 v10, 0x40051340, v6
	v_add_f32_e32 v11, 0x40051340, v7
	v_max3_f32 v10, v85, v10, v11
	v_add_f32_e32 v11, 0x40051340, v8
	s_waitcnt lgkmcnt(0)
	v_cvt_f32_f16_e32 v3, v2
	v_cvt_f32_f16_sdwa v2, v2 dst_sel:DWORD dst_unused:UNUSED_PAD src0_sel:WORD_1
	v_add_f32_e32 v3, v12, v3
	v_add_f32_e32 v12, 0x40051340, v9
	;; [unrolled: 1-line block ×3, first 2 shown]
	v_max3_f32 v10, v10, v11, v12
	v_add_f32_e32 v11, 0x40051340, v5
	v_add_f32_e32 v12, 0x40051340, v4
	v_max3_f32 v10, v10, v11, v12
	v_add_f32_e32 v11, 0x40051340, v3
	v_add_f32_e32 v12, 0x40051340, v2
	v_max3_f32 v10, v10, v11, v12
	v_and_b32_e32 v11, 64, v161
	v_add_u32_e32 v11, 64, v11
	v_xor_b32_e32 v12, 32, v161
	v_cmp_lt_i32_e32 vcc, v12, v11
	s_nop 1
	v_cndmask_b32_e32 v12, v161, v12, vcc
	v_lshlrev_b32_e32 v17, 2, v12
	ds_bpermute_b32 v12, v17, v10
	s_waitcnt lgkmcnt(0)
	v_max_f32_e32 v12, v12, v12
	v_max_f32_e32 v10, v10, v12
	v_xor_b32_e32 v12, 16, v161
	v_cmp_lt_i32_e32 vcc, v12, v11
	s_nop 1
	v_cndmask_b32_e32 v11, v161, v12, vcc
	v_lshlrev_b32_e32 v20, 2, v11
	ds_bpermute_b32 v11, v20, v10
	s_waitcnt lgkmcnt(0)
	v_max_f32_e32 v11, v11, v11
	v_max_f32_e32 v16, v10, v11
	v_sub_f32_e32 v6, v6, v16
	v_mul_f32_e32 v10, 0x3fb8aa3b, v6
	v_fma_f32 v11, v6, s47, -v10
	v_rndne_f32_e32 v12, v10
	v_fmac_f32_e32 v11, 0x32a5705f, v6
	v_sub_f32_e32 v10, v10, v12
	v_add_f32_e32 v10, v10, v11
	v_exp_f32_e32 v10, v10
	v_cvt_i32_f32_e32 v11, v12
	v_cmp_ngt_f32_e32 vcc, s2, v6
	v_sub_f32_e32 v7, v7, v16
	v_sub_f32_e32 v8, v8, v16
	v_ldexp_f32 v10, v10, v11
	v_cndmask_b32_e32 v10, 0, v10, vcc
	v_cmp_nlt_f32_e32 vcc, s46, v6
	v_sub_f32_e32 v9, v9, v16
	v_sub_f32_e32 v5, v5, v16
	v_cndmask_b32_e32 v6, v162, v10, vcc
	v_mul_f32_e32 v10, 0x3fb8aa3b, v7
	v_fma_f32 v11, v7, s47, -v10
	v_rndne_f32_e32 v12, v10
	v_fmac_f32_e32 v11, 0x32a5705f, v7
	v_sub_f32_e32 v10, v10, v12
	v_add_f32_e32 v10, v10, v11
	v_exp_f32_e32 v10, v10
	v_cvt_i32_f32_e32 v11, v12
	v_cmp_ngt_f32_e32 vcc, s2, v7
	v_sub_f32_e32 v4, v4, v16
	v_sub_f32_e32 v3, v3, v16
	v_ldexp_f32 v10, v10, v11
	v_mul_f32_e32 v11, 0x3fb8aa3b, v8
	v_fma_f32 v12, v8, s47, -v11
	v_rndne_f32_e32 v13, v11
	v_fmac_f32_e32 v12, 0x32a5705f, v8
	v_sub_f32_e32 v11, v11, v13
	v_add_f32_e32 v11, v11, v12
	v_exp_f32_e32 v11, v11
	v_cvt_i32_f32_e32 v12, v13
	v_cndmask_b32_e32 v10, 0, v10, vcc
	v_cmp_nlt_f32_e32 vcc, s46, v7
	v_sub_f32_e32 v2, v2, v16
	v_ldexp_f32 v11, v11, v12
	v_cndmask_b32_e32 v7, v162, v10, vcc
	v_cmp_ngt_f32_e32 vcc, s2, v8
	v_add_f32_e32 v10, v6, v7
	s_nop 0
	v_cndmask_b32_e32 v11, 0, v11, vcc
	v_cmp_nlt_f32_e32 vcc, s46, v8
	s_nop 1
	v_cndmask_b32_e32 v8, v162, v11, vcc
	v_mul_f32_e32 v11, 0x3fb8aa3b, v9
	v_fma_f32 v12, v9, s47, -v11
	v_rndne_f32_e32 v13, v11
	v_fmac_f32_e32 v12, 0x32a5705f, v9
	v_sub_f32_e32 v11, v11, v13
	v_add_f32_e32 v11, v11, v12
	v_exp_f32_e32 v11, v11
	v_cvt_i32_f32_e32 v12, v13
	v_cmp_ngt_f32_e32 vcc, s2, v9
	v_add_f32_e32 v10, v8, v10
	v_ldexp_f32 v11, v11, v12
	v_cndmask_b32_e32 v11, 0, v11, vcc
	v_cmp_nlt_f32_e32 vcc, s46, v9
	s_nop 1
	v_cndmask_b32_e32 v9, v162, v11, vcc
	v_mul_f32_e32 v11, 0x3fb8aa3b, v5
	v_fma_f32 v12, v5, s47, -v11
	v_rndne_f32_e32 v13, v11
	v_fmac_f32_e32 v12, 0x32a5705f, v5
	v_sub_f32_e32 v11, v11, v13
	v_add_f32_e32 v11, v11, v12
	v_exp_f32_e32 v11, v11
	v_cvt_i32_f32_e32 v12, v13
	v_cmp_ngt_f32_e32 vcc, s2, v5
	v_add_f32_e32 v10, v9, v10
	v_ldexp_f32 v11, v11, v12
	v_cndmask_b32_e32 v11, 0, v11, vcc
	v_cmp_nlt_f32_e32 vcc, s46, v5
	s_nop 1
	v_cndmask_b32_e32 v30, v162, v11, vcc
	v_add_f32_e32 v5, v30, v10
	v_mul_f32_e32 v10, 0x3fb8aa3b, v4
	v_fma_f32 v11, v4, s47, -v10
	v_rndne_f32_e32 v12, v10
	v_fmac_f32_e32 v11, 0x32a5705f, v4
	v_sub_f32_e32 v10, v10, v12
	v_add_f32_e32 v10, v10, v11
	v_exp_f32_e32 v10, v10
	v_cvt_i32_f32_e32 v11, v12
	v_cmp_ngt_f32_e32 vcc, s2, v4
	v_ldexp_f32 v10, v10, v11
	s_nop 0
	v_cndmask_b32_e32 v10, 0, v10, vcc
	v_cmp_nlt_f32_e32 vcc, s46, v4
	s_nop 1
	v_cndmask_b32_e32 v32, v162, v10, vcc
	v_add_f32_e32 v4, v32, v5
	v_mul_f32_e32 v5, 0x3fb8aa3b, v3
	v_fma_f32 v10, v3, s47, -v5
	v_rndne_f32_e32 v11, v5
	v_fmac_f32_e32 v10, 0x32a5705f, v3
	v_sub_f32_e32 v5, v5, v11
	v_add_f32_e32 v5, v5, v10
	v_exp_f32_e32 v5, v5
	v_cvt_i32_f32_e32 v10, v11
	v_cmp_ngt_f32_e32 vcc, s2, v3
	v_ldexp_f32 v5, v5, v10
	s_nop 0
	;; [unrolled: 16-line block ×3, first 2 shown]
	v_cndmask_b32_e32 v4, 0, v4, vcc
	v_cmp_nlt_f32_e32 vcc, s46, v2
	v_sub_f32_e32 v2, v85, v16
	s_nop 0
	v_cndmask_b32_e32 v94, v162, v4, vcc
	v_add_f32_e32 v21, v94, v3
	v_mul_f32_e32 v3, 0x3fb8aa3b, v2
	v_fma_f32 v4, v2, s47, -v3
	v_rndne_f32_e32 v5, v3
	v_fmac_f32_e32 v4, 0x32a5705f, v2
	v_sub_f32_e32 v3, v3, v5
	v_add_f32_e32 v3, v3, v4
	v_exp_f32_e32 v3, v3
	v_cvt_i32_f32_e32 v4, v5
	v_cmp_ngt_f32_e32 vcc, s2, v2
	v_ldexp_f32 v3, v3, v4
	s_nop 0
	v_cndmask_b32_e32 v3, 0, v3, vcc
	v_cmp_nlt_f32_e32 vcc, s46, v2
	s_nop 1
	v_cndmask_b32_e32 v3, v162, v3, vcc
	v_cmp_le_f32_e32 vcc, s64, v2
	s_nop 1
	v_cndmask_b32_e32 v2, 0, v3, vcc
	v_fmac_f32_e32 v21, v163, v2
	v_cvt_f16_f32_e32 v2, v2
	v_mul_u32_u24_e32 v2, 0x10001, v2
	v_pk_mul_f16 v95, v109, v2
	v_pk_mul_f16 v85, v108, v2
	;; [unrolled: 1-line block ×12, first 2 shown]
	v_lshl_add_u64 v[2:3], v[54:55], 2, s[8:9]
	v_lshl_add_u64 v[2:3], v[2:3], 0, v[44:45]
	global_load_dwordx4 v[2:5], v[2:3], off offset:128
	v_cvt_pk_f16_f32 v19, v8, v9
	v_cvt_f32_f16_e32 v96, v10
	v_cvt_f32_f16_sdwa v97, v10 dst_sel:DWORD dst_unused:UNUSED_PAD src0_sel:WORD_1
	v_cvt_f32_f16_e32 v98, v12
	v_cvt_f32_f16_sdwa v99, v12 dst_sel:DWORD dst_unused:UNUSED_PAD src0_sel:WORD_1
	;; [unrolled: 2-line block ×3, first 2 shown]
	s_waitcnt vmcnt(0)
	ds_write_b128 v77, v[2:5]
	v_lshl_add_u64 v[2:3], v[56:57], 2, s[8:9]
	v_lshl_add_u64 v[2:3], v[2:3], 0, v[14:15]
	global_load_dwordx4 v[2:5], v[2:3], off
	s_waitcnt vmcnt(0)
	ds_write_b128 v79, v[2:5]
	v_lshl_add_u64 v[2:3], v[58:59], 2, s[8:9]
	v_lshl_add_u64 v[2:3], v[2:3], 0, v[14:15]
	global_load_dwordx4 v[2:5], v[2:3], off
	s_cselect_b64 s[8:9], -1, 0
	s_and_b64 s[8:9], s[0:1], s[8:9]
	s_waitcnt vmcnt(0)
	ds_write_b128 v150, v[2:5]
	s_waitcnt lgkmcnt(0)
	s_barrier
	ds_read_u16 v14, v83 offset:208
	v_cvt_f32_f16_e32 v4, v85
	v_cvt_f32_f16_sdwa v5, v85 dst_sel:DWORD dst_unused:UNUSED_PAD src0_sel:WORD_1
	ds_read_u16 v15, v112
	ds_read_u16 v44, v112 offset:32
	ds_read_u16 v18, v113
	ds_read_u16 v85, v113 offset:32
	v_cvt_f32_f16_e32 v2, v95
	v_cvt_f32_f16_sdwa v3, v95 dst_sel:DWORD dst_unused:UNUSED_PAD src0_sel:WORD_1
	s_waitcnt lgkmcnt(1)
	v_perm_b32 v15, v18, v15, s65
	ds_read_u16 v18, v83
	ds_read_u16 v95, v83 offset:32
	s_waitcnt lgkmcnt(1)
	v_perm_b32 v14, v14, v18, s65
	v_cvt_pk_f16_f32 v18, v6, v7
	ds_read_u16 v6, v83 offset:6656
	ds_read_u16 v8, v83 offset:6864
	;; [unrolled: 1-line block ×4, first 2 shown]
	v_mfma_f32_16x16x16_f16 v[2:5], v[14:15], v[18:19], v[2:5]
	s_waitcnt lgkmcnt(2)
	v_perm_b32 v6, v8, v6, s65
	s_waitcnt lgkmcnt(0)
	v_perm_b32 v7, v9, v7, s65
	v_cvt_pk_f16_f32 v15, v33, v94
	s_nop 2
	v_cvt_f16_f32_e32 v2, v2
	v_cvt_f16_f32_e32 v3, v3
	;; [unrolled: 1-line block ×4, first 2 shown]
	v_cvt_f32_f16_e32 v2, v2
	v_cvt_f32_f16_e32 v3, v3
	;; [unrolled: 1-line block ×4, first 2 shown]
	v_cvt_pk_f16_f32 v14, v30, v32
	ds_read_u16 v8, v83 offset:240
	v_perm_b32 v9, v85, v44, s65
	v_mfma_f32_16x16x16_f16 v[2:5], v[6:7], v[14:15], v[2:5]
	v_cvt_f32_f16_e32 v6, v25
	v_cvt_f32_f16_sdwa v7, v25 dst_sel:DWORD dst_unused:UNUSED_PAD src0_sel:WORD_1
	s_waitcnt lgkmcnt(0)
	v_perm_b32 v8, v8, v95, s65
	v_cvt_f32_f16_e32 v94, v11
	v_cvt_f32_f16_sdwa v95, v11 dst_sel:DWORD dst_unused:UNUSED_PAD src0_sel:WORD_1
	s_nop 1
	v_cvt_f16_f32_e32 v4, v4
	v_cvt_f16_f32_e32 v5, v5
	;; [unrolled: 1-line block ×4, first 2 shown]
	v_perm_b32 v22, v5, v4, s65
	v_cvt_f32_f16_e32 v4, v29
	v_cvt_f32_f16_sdwa v5, v29 dst_sel:DWORD dst_unused:UNUSED_PAD src0_sel:WORD_1
	s_nop 1
	v_mfma_f32_16x16x16_f16 v[4:7], v[8:9], v[18:19], v[4:7]
	ds_read_u16 v8, v83 offset:6688
	ds_read_u16 v25, v83 offset:6896
	;; [unrolled: 1-line block ×8, first 2 shown]
	v_cvt_f16_f32_e32 v4, v4
	v_cvt_f16_f32_e32 v5, v5
	v_cvt_f16_f32_e32 v6, v6
	v_cvt_f16_f32_e32 v7, v7
	s_waitcnt lgkmcnt(4)
	v_perm_b32 v9, v29, v9, s65
	v_perm_b32 v8, v25, v8, s65
	v_cvt_f32_f16_e32 v4, v4
	v_cvt_f32_f16_e32 v5, v5
	v_cvt_f32_f16_e32 v6, v6
	v_cvt_f32_f16_e32 v7, v7
	s_waitcnt lgkmcnt(0)
	v_perm_b32 v33, v85, v33, s65
	v_perm_b32 v32, v44, v32, s65
	v_mfma_f32_16x16x16_f16 v[4:7], v[8:9], v[14:15], v[4:7]
	v_cvt_f32_f16_e32 v8, v28
	v_cvt_f32_f16_sdwa v9, v28 dst_sel:DWORD dst_unused:UNUSED_PAD src0_sel:WORD_1
	s_nop 5
	v_cvt_f16_f32_e32 v6, v6
	v_cvt_f16_f32_e32 v7, v7
	v_cvt_f16_f32_e32 v29, v4
	v_cvt_f16_f32_e32 v30, v5
	v_perm_b32 v25, v7, v6, s65
	v_cvt_f32_f16_e32 v6, v31
	v_cvt_f32_f16_sdwa v7, v31 dst_sel:DWORD dst_unused:UNUSED_PAD src0_sel:WORD_1
	s_nop 1
	v_mfma_f32_16x16x16_f16 v[6:9], v[32:33], v[18:19], v[6:9]
	ds_read_u16 v28, v83 offset:6720
	ds_read_u16 v31, v83 offset:6928
	;; [unrolled: 1-line block ×4, first 2 shown]
	s_nop 3
	v_cvt_f16_f32_e32 v6, v6
	v_cvt_f16_f32_e32 v7, v7
	;; [unrolled: 1-line block ×4, first 2 shown]
	s_waitcnt lgkmcnt(0)
	v_perm_b32 v33, v33, v32, s65
	v_perm_b32 v32, v31, v28, s65
	v_cvt_f32_f16_e32 v6, v6
	v_cvt_f32_f16_e32 v7, v7
	v_cvt_f32_f16_e32 v8, v8
	v_cvt_f32_f16_e32 v9, v9
	s_nop 1
	v_mfma_f32_16x16x16_f16 v[6:9], v[32:33], v[14:15], v[6:9]
	s_nop 7
	v_cvt_f16_f32_e32 v8, v8
	v_cvt_f16_f32_e32 v9, v9
	;; [unrolled: 1-line block ×4, first 2 shown]
	v_perm_b32 v28, v9, v8, s65
	ds_read_u16 v8, v83 offset:96
	ds_read_u16 v31, v83 offset:304
	;; [unrolled: 1-line block ×4, first 2 shown]
	s_waitcnt lgkmcnt(2)
	v_perm_b32 v8, v31, v8, s65
	s_waitcnt lgkmcnt(0)
	v_perm_b32 v9, v44, v9, s65
	s_nop 1
	v_mfma_f32_16x16x16_f16 v[8:11], v[8:9], v[18:19], v[94:97]
	ds_read_u16 v31, v83 offset:6752
	ds_read_u16 v44, v83 offset:6960
	;; [unrolled: 1-line block ×4, first 2 shown]
	v_cvt_f32_f16_e32 v96, v13
	v_cvt_f32_f16_sdwa v97, v13 dst_sel:DWORD dst_unused:UNUSED_PAD src0_sel:WORD_1
	s_nop 1
	v_cvt_f16_f32_e32 v8, v8
	v_cvt_f16_f32_e32 v9, v9
	v_cvt_f16_f32_e32 v10, v10
	v_cvt_f16_f32_e32 v11, v11
	s_waitcnt lgkmcnt(0)
	v_perm_b32 v95, v94, v85, s65
	v_perm_b32 v94, v44, v31, s65
	v_cvt_f32_f16_e32 v8, v8
	v_cvt_f32_f16_e32 v9, v9
	;; [unrolled: 1-line block ×4, first 2 shown]
	s_nop 1
	v_mfma_f32_16x16x16_f16 v[8:11], v[94:95], v[14:15], v[8:11]
	s_nop 7
	v_cvt_f16_f32_e32 v10, v10
	v_cvt_f16_f32_e32 v11, v11
	v_cvt_f16_f32_e32 v85, v8
	v_cvt_f16_f32_e32 v94, v9
	v_perm_b32 v31, v11, v10, s65
	ds_read_u16 v10, v83 offset:128
	ds_read_u16 v44, v83 offset:336
	;; [unrolled: 1-line block ×4, first 2 shown]
	s_waitcnt lgkmcnt(2)
	v_perm_b32 v10, v44, v10, s65
	s_waitcnt lgkmcnt(0)
	v_perm_b32 v11, v95, v11, s65
	s_nop 1
	v_mfma_f32_16x16x16_f16 v[10:13], v[10:11], v[18:19], v[96:99]
	ds_read_u16 v44, v83 offset:6784
	ds_read_u16 v95, v83 offset:6992
	s_nop 0
	ds_read_u16 v96, v112 offset:6784
	ds_read_u16 v97, v113 offset:6784
	v_cvt_f32_f16_e32 v98, v24
	v_cvt_f32_f16_sdwa v99, v24 dst_sel:DWORD dst_unused:UNUSED_PAD src0_sel:WORD_1
	s_nop 0
	v_cvt_f16_f32_e32 v10, v10
	v_cvt_f16_f32_e32 v11, v11
	v_cvt_f16_f32_e32 v12, v12
	v_cvt_f16_f32_e32 v13, v13
	s_waitcnt lgkmcnt(0)
	v_perm_b32 v97, v97, v96, s65
	v_perm_b32 v96, v95, v44, s65
	v_cvt_f32_f16_e32 v10, v10
	v_cvt_f32_f16_e32 v11, v11
	;; [unrolled: 1-line block ×4, first 2 shown]
	s_nop 1
	v_mfma_f32_16x16x16_f16 v[10:13], v[96:97], v[14:15], v[10:13]
	s_nop 7
	v_cvt_f16_f32_e32 v12, v12
	v_cvt_f16_f32_e32 v13, v13
	;; [unrolled: 1-line block ×4, first 2 shown]
	v_perm_b32 v44, v13, v12, s65
	ds_read_u16 v12, v83 offset:160
	ds_read_u16 v97, v83 offset:368
	ds_read_u16 v13, v112 offset:160
	ds_read_u16 v102, v113 offset:160
	s_waitcnt lgkmcnt(2)
	v_perm_b32 v12, v97, v12, s65
	s_waitcnt lgkmcnt(0)
	v_perm_b32 v13, v102, v13, s65
	s_nop 1
	v_mfma_f32_16x16x16_f16 v[98:101], v[12:13], v[18:19], v[98:101]
	ds_read_u16 v12, v83 offset:6816
	ds_read_u16 v13, v83 offset:7024
	;; [unrolled: 1-line block ×4, first 2 shown]
	s_waitcnt lgkmcnt(0)
	s_barrier
	s_nop 1
	v_cvt_f16_f32_e32 v18, v98
	v_cvt_f16_f32_e32 v19, v99
	;; [unrolled: 1-line block ×4, first 2 shown]
	v_cvt_f32_f16_e32 v98, v18
	v_cvt_f32_f16_e32 v99, v19
	v_perm_b32 v19, v102, v97, s65
	v_perm_b32 v18, v13, v12, s65
	v_cvt_f32_f16_e32 v100, v23
	v_cvt_f32_f16_e32 v101, v24
	v_perm_b32 v23, v96, v95, s65
	s_nop 0
	v_mfma_f32_16x16x16_f16 v[12:15], v[18:19], v[14:15], v[98:101]
	v_perm_b32 v18, v33, v32, s65
	v_perm_b32 v19, v30, v29, s65
	s_nop 5
	v_cvt_f16_f32_e32 v14, v14
	v_cvt_f16_f32_e32 v15, v15
	;; [unrolled: 1-line block ×4, first 2 shown]
	v_perm_b32 v14, v15, v14, s65
	ds_bpermute_b32 v15, v17, v21
	v_perm_b32 v24, v97, v24, s65
	s_waitcnt lgkmcnt(0)
	v_add_f32_e32 v15, v21, v15
	ds_bpermute_b32 v17, v20, v15
	v_perm_b32 v21, v27, v26, s65
	s_waitcnt lgkmcnt(0)
	v_add_f32_e32 v17, v15, v17
	v_perm_b32 v15, v94, v85, s65
	s_and_saveexec_b64 s[10:11], s[8:9]
	s_cbranch_execz .LBB14_150
; %bb.149:                              ;   in Loop: Header=BB14_12 Depth=1
	v_lshlrev_b32_e32 v15, 2, v64
	global_load_dword v15, v15, s[78:79]
	v_cvt_pk_f16_f32 v18, v2, v3
	v_max_f32_e32 v2, v16, v16
	v_cvt_pk_f16_f32 v4, v4, v5
	v_cvt_pk_f16_f32 v5, v6, v7
	;; [unrolled: 1-line block ×5, first 2 shown]
	s_waitcnt vmcnt(0)
	v_max_f32_e32 v3, v15, v15
	v_max_f32_e32 v2, v2, v3
	v_sub_f32_e32 v3, v16, v2
	v_sub_f32_e32 v7, v15, v2
	v_mul_f32_e32 v8, 0x3fb8aa3b, v3
	v_mul_f32_e32 v9, 0x3fb8aa3b, v7
	v_fma_f32 v15, v3, s47, -v8
	v_rndne_f32_e32 v16, v8
	v_fma_f32 v19, v7, s47, -v9
	v_rndne_f32_e32 v21, v9
	v_fmac_f32_e32 v15, 0x32a5705f, v3
	v_sub_f32_e32 v8, v8, v16
	v_fmac_f32_e32 v19, 0x32a5705f, v7
	v_sub_f32_e32 v9, v9, v21
	v_add_f32_e32 v8, v8, v15
	v_cvt_i32_f32_e32 v16, v16
	v_add_f32_e32 v9, v9, v19
	v_exp_f32_e32 v8, v8
	v_cvt_i32_f32_e32 v21, v21
	v_exp_f32_e32 v9, v9
	v_cmp_ngt_f32_e32 vcc, s2, v3
	v_ldexp_f32 v8, v8, v16
	v_ldexp_f32 v9, v9, v21
	v_cndmask_b32_e32 v8, 0, v8, vcc
	v_cmp_ngt_f32_e32 vcc, s2, v7
	s_nop 1
	v_cndmask_b32_e32 v9, 0, v9, vcc
	v_cmp_nlt_f32_e32 vcc, s46, v3
	s_nop 1
	v_cndmask_b32_e32 v8, v162, v8, vcc
	v_cmp_le_f32_e32 vcc, s64, v3
	s_nop 1
	v_cndmask_b32_e32 v8, 0, v8, vcc
	v_cvt_f16_f32_e32 v12, v8
	v_cmp_nlt_f32_e32 vcc, s46, v7
	v_mul_u32_u24_e32 v7, 0x10001, v12
	s_nop 0
	v_cndmask_b32_e32 v3, v162, v9, vcc
	v_fmac_f32_e32 v3, v17, v8
	v_pk_mul_f16 v21, v18, v7
	v_pk_mul_f16 v22, v22, v7
	;; [unrolled: 1-line block ×12, first 2 shown]
	v_mov_b64_e32 v[16:17], v[2:3]
.LBB14_150:                             ;   in Loop: Header=BB14_12 Depth=1
	s_or_b64 exec, exec, s[10:11]
	s_and_saveexec_b64 s[10:11], s[6:7]
; %bb.151:                              ;   in Loop: Header=BB14_12 Depth=1
	v_add_u32_e32 v2, 0, v119
	ds_write2_b32 v2, v16, v17 offset0:48 offset1:49
; %bb.152:                              ;   in Loop: Header=BB14_12 Depth=1
	s_or_b64 exec, exec, s[10:11]
	v_readlane_b32 s10, v175, 11
	v_readlane_b32 s11, v175, 12
	s_waitcnt lgkmcnt(0)
	s_barrier
	s_and_saveexec_b64 s[8:9], s[10:11]
	s_xor_b64 s[10:11], exec, s[8:9]
	s_cbranch_execz .LBB14_154
; %bb.153:                              ;   in Loop: Header=BB14_12 Depth=1
	s_barrier
                                        ; implicit-def: $vgpr20
.LBB14_154:                             ;   in Loop: Header=BB14_12 Depth=1
	s_andn2_saveexec_b64 s[10:11], s[10:11]
	s_cbranch_execz .LBB14_158
; %bb.155:                              ;   in Loop: Header=BB14_12 Depth=1
	v_add_u32_e32 v4, 0, v120
	ds_read_b64 v[2:3], v4 offset:192
	s_waitcnt lgkmcnt(0)
	s_barrier
	ds_bpermute_b32 v5, v20, v2
	v_max_f32_e32 v6, v2, v2
	s_waitcnt lgkmcnt(0)
	v_max_f32_e32 v5, v5, v5
	v_max_f32_e32 v5, v6, v5
	v_sub_f32_e32 v2, v2, v5
	v_mul_f32_e32 v5, 0x3fb8aa3b, v2
	v_fma_f32 v6, v2, s47, -v5
	v_rndne_f32_e32 v7, v5
	v_fmac_f32_e32 v6, 0x32a5705f, v2
	v_sub_f32_e32 v5, v5, v7
	v_add_f32_e32 v5, v5, v6
	v_cvt_i32_f32_e32 v7, v7
	v_exp_f32_e32 v5, v5
	v_cmp_ngt_f32_e32 vcc, s2, v2
	v_ldexp_f32 v5, v5, v7
	s_nop 0
	v_cndmask_b32_e32 v5, 0, v5, vcc
	v_cmp_nlt_f32_e32 vcc, s46, v2
	s_nop 1
	v_cndmask_b32_e32 v2, v162, v5, vcc
	v_mul_f32_e32 v3, v3, v2
	ds_bpermute_b32 v5, v20, v3
	s_mov_b64 s[14:15], exec
	v_readlane_b32 s8, v175, 16
	v_readlane_b32 s9, v175, 17
	s_and_b64 s[8:9], s[14:15], s[8:9]
	s_mov_b64 exec, s[8:9]
	s_cbranch_execz .LBB14_157
; %bb.156:                              ;   in Loop: Header=BB14_12 Depth=1
	s_waitcnt lgkmcnt(0)
	v_add_f32_e32 v3, v3, v5
	ds_write_b64 v4, v[2:3] offset:192
.LBB14_157:                             ;   in Loop: Header=BB14_12 Depth=1
	s_or_b64 exec, exec, s[14:15]
.LBB14_158:                             ;   in Loop: Header=BB14_12 Depth=1
	s_or_b64 exec, exec, s[10:11]
	ds_write2_b32 v114, v21, v22 offset1:1
	ds_write2_b32 v114, v19, v25 offset0:8 offset1:9
	ds_write2_b32 v114, v18, v28 offset0:16 offset1:17
	;; [unrolled: 1-line block ×5, first 2 shown]
	s_waitcnt lgkmcnt(0)
	s_barrier
	s_and_saveexec_b64 s[78:79], s[0:1]
	s_cbranch_execz .LBB14_10
; %bb.159:                              ;   in Loop: Header=BB14_12 Depth=1
	v_add_u32_e32 v3, s86, v155
	v_or_b32_e32 v2, s67, v72
	v_cmp_gt_i32_e32 vcc, s36, v3
	v_cmp_gt_i32_e64 s[10:11], s3, v2
	s_and_b64 s[8:9], vcc, s[10:11]
	v_mov_b32_e32 v2, 0x47
	s_and_saveexec_b64 s[14:15], s[8:9]
	s_cbranch_execz .LBB14_161
; %bb.160:                              ;   in Loop: Header=BB14_12 Depth=1
	v_mad_u64_u32 v[2:3], s[8:9], v3, s37, v[72:73]
	v_add_u32_e32 v8, 0, v130
	v_add_u32_e32 v3, v148, v130
	ds_read2_b32 v[4:5], v8 offset0:48 offset1:49
	ds_read2st64_b32 v[6:7], v3 offset1:13
	ds_read_b32 v8, v8 offset:3520
	v_mad_u64_u32 v[2:3], s[8:9], v2, 48, v[34:35]
	v_ashrrev_i32_e32 v3, 31, v2
	s_waitcnt lgkmcnt(1)
	v_cvt_f32_f16_e32 v10, v6
	v_cvt_f32_f16_sdwa v11, v6 dst_sel:DWORD dst_unused:UNUSED_PAD src0_sel:WORD_1
	v_cvt_f32_f16_e32 v6, v7
	v_cvt_f32_f16_sdwa v7, v7 dst_sel:DWORD dst_unused:UNUSED_PAD src0_sel:WORD_1
	v_lshl_add_u64 v[2:3], v[2:3], 3, s[76:77]
	v_pk_fma_f32 v[10:11], v[4:5], v[10:11], 0 op_sel_hi:[0,1,0]
	s_waitcnt lgkmcnt(0)
	v_pk_fma_f32 v[6:7], v[8:9], v[6:7], v[10:11] op_sel_hi:[0,1,1]
	v_div_scale_f32 v4, s[8:9], v5, v5, v7
	v_rcp_f32_e32 v8, v4
	s_nop 0
	v_fma_f32 v9, -v4, v8, 1.0
	v_fmac_f32_e32 v8, v9, v8
	v_div_scale_f32 v9, vcc, v7, v5, v7
	v_mul_f32_e32 v10, v9, v8
	v_fma_f32 v11, -v4, v10, v9
	v_fmac_f32_e32 v10, v11, v8
	v_fma_f32 v4, -v4, v10, v9
	v_div_fmas_f32 v4, v4, v8, v10
	v_div_fixup_f32 v7, v4, v5, v7
	v_div_scale_f32 v4, s[8:9], v5, v5, v6
	v_rcp_f32_e32 v8, v4
	s_nop 0
	v_fma_f32 v9, -v4, v8, 1.0
	v_fmac_f32_e32 v8, v9, v8
	v_div_scale_f32 v9, vcc, v6, v5, v6
	v_mul_f32_e32 v10, v9, v8
	v_fma_f32 v11, -v4, v10, v9
	v_fmac_f32_e32 v10, v11, v8
	v_fma_f32 v4, -v4, v10, v9
	v_div_fmas_f32 v4, v4, v8, v10
	v_div_fixup_f32 v6, v4, v5, v6
	global_store_dwordx2 v[2:3], v[6:7], off
	v_mov_b32_e32 v2, 0
.LBB14_161:                             ;   in Loop: Header=BB14_12 Depth=1
	s_or_b64 exec, exec, s[14:15]
	s_movk_i32 s8, 0x47
	v_cmp_gt_i32_e32 vcc, s8, v2
	s_mov_b64 s[14:15], -1
	s_and_saveexec_b64 s[80:81], vcc
; %bb.162:                              ;   in Loop: Header=BB14_12 Depth=1
	v_cmp_eq_u32_e32 vcc, 0, v2
	s_orn2_b64 s[14:15], vcc, exec
; %bb.163:                              ;   in Loop: Header=BB14_12 Depth=1
	s_or_b64 exec, exec, s[80:81]
	s_and_saveexec_b64 s[80:81], s[14:15]
	s_cbranch_execz .LBB14_196
; %bb.164:                              ;   in Loop: Header=BB14_12 Depth=1
	v_add_u32_e32 v3, s86, v156
	v_or_b32_e32 v2, s67, v74
	v_cmp_gt_i32_e32 vcc, s36, v3
	v_cmp_gt_i32_e64 s[14:15], s3, v2
	s_and_b64 s[8:9], vcc, s[14:15]
	v_mov_b32_e32 v2, 0x47
	s_and_saveexec_b64 s[14:15], s[8:9]
	s_cbranch_execz .LBB14_166
; %bb.165:                              ;   in Loop: Header=BB14_12 Depth=1
	v_mad_u64_u32 v[2:3], s[8:9], v3, s37, v[74:75]
	v_add_u32_e32 v8, 0, v131
	v_add_u32_e32 v3, v148, v131
	ds_read2_b32 v[4:5], v8 offset0:48 offset1:49
	ds_read2st64_b32 v[6:7], v3 offset1:13
	ds_read_b32 v8, v8 offset:3520
	v_mad_u64_u32 v[2:3], s[8:9], v2, 48, v[34:35]
	v_ashrrev_i32_e32 v3, 31, v2
	s_waitcnt lgkmcnt(1)
	v_cvt_f32_f16_e32 v10, v6
	v_cvt_f32_f16_sdwa v11, v6 dst_sel:DWORD dst_unused:UNUSED_PAD src0_sel:WORD_1
	v_cvt_f32_f16_e32 v6, v7
	v_cvt_f32_f16_sdwa v7, v7 dst_sel:DWORD dst_unused:UNUSED_PAD src0_sel:WORD_1
	v_lshl_add_u64 v[2:3], v[2:3], 3, s[76:77]
	v_pk_fma_f32 v[10:11], v[4:5], v[10:11], 0 op_sel_hi:[0,1,0]
	s_waitcnt lgkmcnt(0)
	v_pk_fma_f32 v[6:7], v[8:9], v[6:7], v[10:11] op_sel_hi:[0,1,1]
	v_div_scale_f32 v4, s[8:9], v5, v5, v7
	v_rcp_f32_e32 v8, v4
	s_nop 0
	v_fma_f32 v9, -v4, v8, 1.0
	v_fmac_f32_e32 v8, v9, v8
	v_div_scale_f32 v9, vcc, v7, v5, v7
	v_mul_f32_e32 v10, v9, v8
	v_fma_f32 v11, -v4, v10, v9
	v_fmac_f32_e32 v10, v11, v8
	v_fma_f32 v4, -v4, v10, v9
	v_div_fmas_f32 v4, v4, v8, v10
	v_div_fixup_f32 v7, v4, v5, v7
	v_div_scale_f32 v4, s[8:9], v5, v5, v6
	v_rcp_f32_e32 v8, v4
	s_nop 0
	v_fma_f32 v9, -v4, v8, 1.0
	v_fmac_f32_e32 v8, v9, v8
	v_div_scale_f32 v9, vcc, v6, v5, v6
	v_mul_f32_e32 v10, v9, v8
	v_fma_f32 v11, -v4, v10, v9
	v_fmac_f32_e32 v10, v11, v8
	v_fma_f32 v4, -v4, v10, v9
	v_div_fmas_f32 v4, v4, v8, v10
	v_div_fixup_f32 v6, v4, v5, v6
	global_store_dwordx2 v[2:3], v[6:7], off
	v_mov_b32_e32 v2, 0
.LBB14_166:                             ;   in Loop: Header=BB14_12 Depth=1
	s_or_b64 exec, exec, s[14:15]
	s_movk_i32 s8, 0x47
	v_cmp_gt_i32_e32 vcc, s8, v2
	s_mov_b64 s[14:15], -1
	s_and_saveexec_b64 s[82:83], vcc
; %bb.167:                              ;   in Loop: Header=BB14_12 Depth=1
	v_cmp_eq_u32_e32 vcc, 0, v2
	s_orn2_b64 s[14:15], vcc, exec
; %bb.168:                              ;   in Loop: Header=BB14_12 Depth=1
	s_or_b64 exec, exec, s[82:83]
	s_and_b64 exec, exec, s[14:15]
	s_cbranch_execz .LBB14_196
; %bb.169:                              ;   in Loop: Header=BB14_12 Depth=1
	v_add_u32_e32 v3, s86, v132
	v_cmp_gt_i32_e32 vcc, s36, v3
	s_and_b64 s[8:9], vcc, s[10:11]
	v_mov_b32_e32 v2, 0x47
	s_and_saveexec_b64 s[14:15], s[8:9]
	s_cbranch_execz .LBB14_171
; %bb.170:                              ;   in Loop: Header=BB14_12 Depth=1
	v_mad_u64_u32 v[2:3], s[8:9], v3, s37, v[72:73]
	v_add_u32_e32 v8, 0, v133
	v_add_u32_e32 v3, v148, v133
	ds_read2_b32 v[4:5], v8 offset0:48 offset1:49
	ds_read2st64_b32 v[6:7], v3 offset1:13
	ds_read_b32 v8, v8 offset:3520
	v_mad_u64_u32 v[2:3], s[8:9], v2, 48, v[34:35]
	v_ashrrev_i32_e32 v3, 31, v2
	s_waitcnt lgkmcnt(1)
	v_cvt_f32_f16_e32 v10, v6
	v_cvt_f32_f16_sdwa v11, v6 dst_sel:DWORD dst_unused:UNUSED_PAD src0_sel:WORD_1
	v_cvt_f32_f16_e32 v6, v7
	v_cvt_f32_f16_sdwa v7, v7 dst_sel:DWORD dst_unused:UNUSED_PAD src0_sel:WORD_1
	v_lshl_add_u64 v[2:3], v[2:3], 3, s[76:77]
	v_pk_fma_f32 v[10:11], v[4:5], v[10:11], 0 op_sel_hi:[0,1,0]
	s_waitcnt lgkmcnt(0)
	v_pk_fma_f32 v[6:7], v[8:9], v[6:7], v[10:11] op_sel_hi:[0,1,1]
	v_div_scale_f32 v4, s[8:9], v5, v5, v7
	v_rcp_f32_e32 v8, v4
	s_nop 0
	v_fma_f32 v9, -v4, v8, 1.0
	v_fmac_f32_e32 v8, v9, v8
	v_div_scale_f32 v9, vcc, v7, v5, v7
	v_mul_f32_e32 v10, v9, v8
	v_fma_f32 v11, -v4, v10, v9
	v_fmac_f32_e32 v10, v11, v8
	v_fma_f32 v4, -v4, v10, v9
	v_div_fmas_f32 v4, v4, v8, v10
	v_div_fixup_f32 v7, v4, v5, v7
	v_div_scale_f32 v4, s[8:9], v5, v5, v6
	v_rcp_f32_e32 v8, v4
	s_nop 0
	v_fma_f32 v9, -v4, v8, 1.0
	v_fmac_f32_e32 v8, v9, v8
	v_div_scale_f32 v9, vcc, v6, v5, v6
	v_mul_f32_e32 v10, v9, v8
	v_fma_f32 v11, -v4, v10, v9
	v_fmac_f32_e32 v10, v11, v8
	v_fma_f32 v4, -v4, v10, v9
	v_div_fmas_f32 v4, v4, v8, v10
	v_div_fixup_f32 v6, v4, v5, v6
	global_store_dwordx2 v[2:3], v[6:7], off
	v_mov_b32_e32 v2, 0
.LBB14_171:                             ;   in Loop: Header=BB14_12 Depth=1
	s_or_b64 exec, exec, s[14:15]
	s_movk_i32 s8, 0x47
	v_cmp_gt_i32_e32 vcc, s8, v2
	s_mov_b64 s[14:15], -1
	s_and_saveexec_b64 s[82:83], vcc
; %bb.172:                              ;   in Loop: Header=BB14_12 Depth=1
	v_cmp_eq_u32_e32 vcc, 0, v2
	s_orn2_b64 s[14:15], vcc, exec
; %bb.173:                              ;   in Loop: Header=BB14_12 Depth=1
	s_or_b64 exec, exec, s[82:83]
	s_and_b64 exec, exec, s[14:15]
	s_cbranch_execz .LBB14_196
; %bb.174:                              ;   in Loop: Header=BB14_12 Depth=1
	v_add_u32_e32 v3, s86, v157
	v_or_b32_e32 v2, s67, v76
	v_cmp_gt_i32_e32 vcc, s36, v3
	v_cmp_gt_i32_e64 s[14:15], s3, v2
	s_and_b64 s[8:9], vcc, s[14:15]
	v_mov_b32_e32 v2, 0x47
	s_and_saveexec_b64 s[14:15], s[8:9]
	s_cbranch_execz .LBB14_176
; %bb.175:                              ;   in Loop: Header=BB14_12 Depth=1
	v_mad_u64_u32 v[2:3], s[8:9], v3, s37, v[76:77]
	v_add_u32_e32 v8, 0, v134
	v_add_u32_e32 v3, v148, v134
	ds_read2_b32 v[4:5], v8 offset0:48 offset1:49
	ds_read2st64_b32 v[6:7], v3 offset1:13
	ds_read_b32 v8, v8 offset:3520
	v_mad_u64_u32 v[2:3], s[8:9], v2, 48, v[34:35]
	v_ashrrev_i32_e32 v3, 31, v2
	s_waitcnt lgkmcnt(1)
	v_cvt_f32_f16_e32 v10, v6
	v_cvt_f32_f16_sdwa v11, v6 dst_sel:DWORD dst_unused:UNUSED_PAD src0_sel:WORD_1
	v_cvt_f32_f16_e32 v6, v7
	v_cvt_f32_f16_sdwa v7, v7 dst_sel:DWORD dst_unused:UNUSED_PAD src0_sel:WORD_1
	v_lshl_add_u64 v[2:3], v[2:3], 3, s[76:77]
	v_pk_fma_f32 v[10:11], v[4:5], v[10:11], 0 op_sel_hi:[0,1,0]
	s_waitcnt lgkmcnt(0)
	v_pk_fma_f32 v[6:7], v[8:9], v[6:7], v[10:11] op_sel_hi:[0,1,1]
	v_div_scale_f32 v4, s[8:9], v5, v5, v7
	v_rcp_f32_e32 v8, v4
	s_nop 0
	v_fma_f32 v9, -v4, v8, 1.0
	v_fmac_f32_e32 v8, v9, v8
	v_div_scale_f32 v9, vcc, v7, v5, v7
	v_mul_f32_e32 v10, v9, v8
	v_fma_f32 v11, -v4, v10, v9
	v_fmac_f32_e32 v10, v11, v8
	v_fma_f32 v4, -v4, v10, v9
	v_div_fmas_f32 v4, v4, v8, v10
	v_div_fixup_f32 v7, v4, v5, v7
	v_div_scale_f32 v4, s[8:9], v5, v5, v6
	v_rcp_f32_e32 v8, v4
	s_nop 0
	v_fma_f32 v9, -v4, v8, 1.0
	v_fmac_f32_e32 v8, v9, v8
	v_div_scale_f32 v9, vcc, v6, v5, v6
	v_mul_f32_e32 v10, v9, v8
	v_fma_f32 v11, -v4, v10, v9
	v_fmac_f32_e32 v10, v11, v8
	v_fma_f32 v4, -v4, v10, v9
	v_div_fmas_f32 v4, v4, v8, v10
	v_div_fixup_f32 v6, v4, v5, v6
	global_store_dwordx2 v[2:3], v[6:7], off
	v_mov_b32_e32 v2, 0
.LBB14_176:                             ;   in Loop: Header=BB14_12 Depth=1
	s_or_b64 exec, exec, s[14:15]
	s_movk_i32 s8, 0x47
	v_cmp_gt_i32_e32 vcc, s8, v2
	s_mov_b64 s[14:15], -1
	s_and_saveexec_b64 s[82:83], vcc
; %bb.177:                              ;   in Loop: Header=BB14_12 Depth=1
	v_cmp_eq_u32_e32 vcc, 0, v2
	s_orn2_b64 s[14:15], vcc, exec
; %bb.178:                              ;   in Loop: Header=BB14_12 Depth=1
	s_or_b64 exec, exec, s[82:83]
	s_and_b64 exec, exec, s[14:15]
	s_cbranch_execz .LBB14_196
; %bb.179:                              ;   in Loop: Header=BB14_12 Depth=1
	v_add_u32_e32 v3, s86, v135
	v_cmp_gt_i32_e32 vcc, s36, v3
	s_and_b64 s[8:9], vcc, s[10:11]
	v_mov_b32_e32 v2, 0x47
	s_and_saveexec_b64 s[14:15], s[8:9]
	s_cbranch_execz .LBB14_181
; %bb.180:                              ;   in Loop: Header=BB14_12 Depth=1
	v_mad_u64_u32 v[2:3], s[8:9], v3, s37, v[72:73]
	v_add_u32_e32 v8, 0, v136
	v_add_u32_e32 v3, v148, v136
	ds_read2_b32 v[4:5], v8 offset0:48 offset1:49
	ds_read2st64_b32 v[6:7], v3 offset1:13
	ds_read_b32 v8, v8 offset:3520
	v_mad_u64_u32 v[2:3], s[8:9], v2, 48, v[34:35]
	v_ashrrev_i32_e32 v3, 31, v2
	s_waitcnt lgkmcnt(1)
	v_cvt_f32_f16_e32 v10, v6
	v_cvt_f32_f16_sdwa v11, v6 dst_sel:DWORD dst_unused:UNUSED_PAD src0_sel:WORD_1
	v_cvt_f32_f16_e32 v6, v7
	v_cvt_f32_f16_sdwa v7, v7 dst_sel:DWORD dst_unused:UNUSED_PAD src0_sel:WORD_1
	v_lshl_add_u64 v[2:3], v[2:3], 3, s[76:77]
	v_pk_fma_f32 v[10:11], v[4:5], v[10:11], 0 op_sel_hi:[0,1,0]
	s_waitcnt lgkmcnt(0)
	v_pk_fma_f32 v[6:7], v[8:9], v[6:7], v[10:11] op_sel_hi:[0,1,1]
	v_div_scale_f32 v4, s[8:9], v5, v5, v7
	v_rcp_f32_e32 v8, v4
	s_nop 0
	v_fma_f32 v9, -v4, v8, 1.0
	v_fmac_f32_e32 v8, v9, v8
	v_div_scale_f32 v9, vcc, v7, v5, v7
	v_mul_f32_e32 v10, v9, v8
	v_fma_f32 v11, -v4, v10, v9
	v_fmac_f32_e32 v10, v11, v8
	v_fma_f32 v4, -v4, v10, v9
	v_div_fmas_f32 v4, v4, v8, v10
	v_div_fixup_f32 v7, v4, v5, v7
	v_div_scale_f32 v4, s[8:9], v5, v5, v6
	v_rcp_f32_e32 v8, v4
	s_nop 0
	v_fma_f32 v9, -v4, v8, 1.0
	v_fmac_f32_e32 v8, v9, v8
	v_div_scale_f32 v9, vcc, v6, v5, v6
	v_mul_f32_e32 v10, v9, v8
	v_fma_f32 v11, -v4, v10, v9
	v_fmac_f32_e32 v10, v11, v8
	v_fma_f32 v4, -v4, v10, v9
	v_div_fmas_f32 v4, v4, v8, v10
	v_div_fixup_f32 v6, v4, v5, v6
	global_store_dwordx2 v[2:3], v[6:7], off
	v_mov_b32_e32 v2, 0
.LBB14_181:                             ;   in Loop: Header=BB14_12 Depth=1
	s_or_b64 exec, exec, s[14:15]
	s_movk_i32 s8, 0x47
	v_cmp_gt_i32_e32 vcc, s8, v2
	s_mov_b64 s[14:15], -1
	s_and_saveexec_b64 s[82:83], vcc
; %bb.182:                              ;   in Loop: Header=BB14_12 Depth=1
	v_cmp_eq_u32_e32 vcc, 0, v2
	s_orn2_b64 s[14:15], vcc, exec
; %bb.183:                              ;   in Loop: Header=BB14_12 Depth=1
	s_or_b64 exec, exec, s[82:83]
	s_and_b64 exec, exec, s[14:15]
	s_cbranch_execz .LBB14_196
; %bb.184:                              ;   in Loop: Header=BB14_12 Depth=1
	v_add_u32_e32 v3, s86, v158
	v_or_b32_e32 v2, s67, v78
	v_cmp_gt_i32_e32 vcc, s36, v3
	v_cmp_gt_i32_e64 s[14:15], s3, v2
	s_and_b64 s[8:9], vcc, s[14:15]
	v_mov_b32_e32 v2, 0x47
	s_and_saveexec_b64 s[14:15], s[8:9]
	s_cbranch_execz .LBB14_186
; %bb.185:                              ;   in Loop: Header=BB14_12 Depth=1
	v_mad_u64_u32 v[2:3], s[8:9], v3, s37, v[78:79]
	v_add_u32_e32 v8, 0, v137
	v_add_u32_e32 v3, v148, v137
	ds_read2_b32 v[4:5], v8 offset0:48 offset1:49
	ds_read2st64_b32 v[6:7], v3 offset1:13
	ds_read_b32 v8, v8 offset:3520
	v_mad_u64_u32 v[2:3], s[8:9], v2, 48, v[34:35]
	v_ashrrev_i32_e32 v3, 31, v2
	s_waitcnt lgkmcnt(1)
	v_cvt_f32_f16_e32 v10, v6
	v_cvt_f32_f16_sdwa v11, v6 dst_sel:DWORD dst_unused:UNUSED_PAD src0_sel:WORD_1
	v_cvt_f32_f16_e32 v6, v7
	v_cvt_f32_f16_sdwa v7, v7 dst_sel:DWORD dst_unused:UNUSED_PAD src0_sel:WORD_1
	v_lshl_add_u64 v[2:3], v[2:3], 3, s[76:77]
	v_pk_fma_f32 v[10:11], v[4:5], v[10:11], 0 op_sel_hi:[0,1,0]
	s_waitcnt lgkmcnt(0)
	v_pk_fma_f32 v[6:7], v[8:9], v[6:7], v[10:11] op_sel_hi:[0,1,1]
	v_div_scale_f32 v4, s[8:9], v5, v5, v7
	v_rcp_f32_e32 v8, v4
	s_nop 0
	v_fma_f32 v9, -v4, v8, 1.0
	v_fmac_f32_e32 v8, v9, v8
	v_div_scale_f32 v9, vcc, v7, v5, v7
	v_mul_f32_e32 v10, v9, v8
	v_fma_f32 v11, -v4, v10, v9
	v_fmac_f32_e32 v10, v11, v8
	v_fma_f32 v4, -v4, v10, v9
	v_div_fmas_f32 v4, v4, v8, v10
	v_div_fixup_f32 v7, v4, v5, v7
	v_div_scale_f32 v4, s[8:9], v5, v5, v6
	v_rcp_f32_e32 v8, v4
	s_nop 0
	v_fma_f32 v9, -v4, v8, 1.0
	v_fmac_f32_e32 v8, v9, v8
	v_div_scale_f32 v9, vcc, v6, v5, v6
	v_mul_f32_e32 v10, v9, v8
	v_fma_f32 v11, -v4, v10, v9
	v_fmac_f32_e32 v10, v11, v8
	v_fma_f32 v4, -v4, v10, v9
	v_div_fmas_f32 v4, v4, v8, v10
	v_div_fixup_f32 v6, v4, v5, v6
	global_store_dwordx2 v[2:3], v[6:7], off
	v_mov_b32_e32 v2, 0
.LBB14_186:                             ;   in Loop: Header=BB14_12 Depth=1
	s_or_b64 exec, exec, s[14:15]
	s_movk_i32 s8, 0x47
	v_cmp_gt_i32_e32 vcc, s8, v2
	s_mov_b64 s[14:15], -1
	s_and_saveexec_b64 s[82:83], vcc
; %bb.187:                              ;   in Loop: Header=BB14_12 Depth=1
	v_cmp_eq_u32_e32 vcc, 0, v2
	s_orn2_b64 s[14:15], vcc, exec
; %bb.188:                              ;   in Loop: Header=BB14_12 Depth=1
	s_or_b64 exec, exec, s[82:83]
	s_and_b64 exec, exec, s[14:15]
	s_cbranch_execz .LBB14_196
; %bb.189:                              ;   in Loop: Header=BB14_12 Depth=1
	v_add_u32_e32 v3, s86, v138
	v_cmp_gt_i32_e32 vcc, s36, v3
	s_and_b64 s[8:9], vcc, s[10:11]
	v_mov_b32_e32 v2, 0x47
	s_and_saveexec_b64 s[10:11], s[8:9]
	s_cbranch_execz .LBB14_191
; %bb.190:                              ;   in Loop: Header=BB14_12 Depth=1
	v_mad_u64_u32 v[2:3], s[8:9], v3, s37, v[72:73]
	v_add_u32_e32 v8, 0, v139
	v_add_u32_e32 v3, v148, v139
	ds_read2_b32 v[4:5], v8 offset0:48 offset1:49
	ds_read2st64_b32 v[6:7], v3 offset1:13
	ds_read_b32 v8, v8 offset:3520
	v_mad_u64_u32 v[2:3], s[8:9], v2, 48, v[34:35]
	v_ashrrev_i32_e32 v3, 31, v2
	s_waitcnt lgkmcnt(1)
	v_cvt_f32_f16_e32 v10, v6
	v_cvt_f32_f16_sdwa v11, v6 dst_sel:DWORD dst_unused:UNUSED_PAD src0_sel:WORD_1
	v_cvt_f32_f16_e32 v6, v7
	v_cvt_f32_f16_sdwa v7, v7 dst_sel:DWORD dst_unused:UNUSED_PAD src0_sel:WORD_1
	v_lshl_add_u64 v[2:3], v[2:3], 3, s[76:77]
	v_pk_fma_f32 v[10:11], v[4:5], v[10:11], 0 op_sel_hi:[0,1,0]
	s_waitcnt lgkmcnt(0)
	v_pk_fma_f32 v[6:7], v[8:9], v[6:7], v[10:11] op_sel_hi:[0,1,1]
	v_div_scale_f32 v4, s[8:9], v5, v5, v7
	v_rcp_f32_e32 v8, v4
	s_nop 0
	v_fma_f32 v9, -v4, v8, 1.0
	v_fmac_f32_e32 v8, v9, v8
	v_div_scale_f32 v9, vcc, v7, v5, v7
	v_mul_f32_e32 v10, v9, v8
	v_fma_f32 v11, -v4, v10, v9
	v_fmac_f32_e32 v10, v11, v8
	v_fma_f32 v4, -v4, v10, v9
	v_div_fmas_f32 v4, v4, v8, v10
	v_div_fixup_f32 v7, v4, v5, v7
	v_div_scale_f32 v4, s[8:9], v5, v5, v6
	v_rcp_f32_e32 v8, v4
	s_nop 0
	v_fma_f32 v9, -v4, v8, 1.0
	v_fmac_f32_e32 v8, v9, v8
	v_div_scale_f32 v9, vcc, v6, v5, v6
	v_mul_f32_e32 v10, v9, v8
	v_fma_f32 v11, -v4, v10, v9
	v_fmac_f32_e32 v10, v11, v8
	v_fma_f32 v4, -v4, v10, v9
	v_div_fmas_f32 v4, v4, v8, v10
	v_div_fixup_f32 v6, v4, v5, v6
	global_store_dwordx2 v[2:3], v[6:7], off
	v_mov_b32_e32 v2, 0
.LBB14_191:                             ;   in Loop: Header=BB14_12 Depth=1
	s_or_b64 exec, exec, s[10:11]
	s_movk_i32 s8, 0x47
	v_cmp_gt_i32_e32 vcc, s8, v2
	s_mov_b64 s[10:11], -1
	s_and_saveexec_b64 s[14:15], vcc
; %bb.192:                              ;   in Loop: Header=BB14_12 Depth=1
	v_cmp_eq_u32_e32 vcc, 0, v2
	s_orn2_b64 s[10:11], vcc, exec
; %bb.193:                              ;   in Loop: Header=BB14_12 Depth=1
	s_or_b64 exec, exec, s[14:15]
	s_and_b64 exec, exec, s[10:11]
	s_cbranch_execz .LBB14_196
; %bb.194:                              ;   in Loop: Header=BB14_12 Depth=1
	v_add_u32_e32 v2, s86, v159
	v_or_b32_e32 v3, s67, v80
	v_cmp_gt_i32_e32 vcc, s36, v2
	v_cmp_gt_i32_e64 s[10:11], s3, v3
	s_and_b64 s[8:9], vcc, s[10:11]
	s_and_b64 exec, exec, s[8:9]
	s_cbranch_execz .LBB14_196
; %bb.195:                              ;   in Loop: Header=BB14_12 Depth=1
	v_mad_u64_u32 v[2:3], s[8:9], v2, s37, v[80:81]
	v_add_u32_e32 v8, 0, v140
	v_add_u32_e32 v3, v148, v140
	ds_read2_b32 v[4:5], v8 offset0:48 offset1:49
	ds_read2st64_b32 v[6:7], v3 offset1:13
	ds_read_b32 v8, v8 offset:3520
	v_mad_u64_u32 v[2:3], s[8:9], v2, 48, v[34:35]
	v_ashrrev_i32_e32 v3, 31, v2
	s_waitcnt lgkmcnt(1)
	v_cvt_f32_f16_e32 v10, v6
	v_cvt_f32_f16_sdwa v11, v6 dst_sel:DWORD dst_unused:UNUSED_PAD src0_sel:WORD_1
	v_cvt_f32_f16_e32 v6, v7
	v_cvt_f32_f16_sdwa v7, v7 dst_sel:DWORD dst_unused:UNUSED_PAD src0_sel:WORD_1
	v_lshl_add_u64 v[2:3], v[2:3], 3, s[76:77]
	v_pk_fma_f32 v[10:11], v[4:5], v[10:11], 0 op_sel_hi:[0,1,0]
	s_waitcnt lgkmcnt(0)
	v_pk_fma_f32 v[6:7], v[8:9], v[6:7], v[10:11] op_sel_hi:[0,1,1]
	v_div_scale_f32 v4, s[8:9], v5, v5, v7
	v_rcp_f32_e32 v8, v4
	s_nop 0
	v_fma_f32 v9, -v4, v8, 1.0
	v_fmac_f32_e32 v8, v9, v8
	v_div_scale_f32 v9, vcc, v7, v5, v7
	v_mul_f32_e32 v10, v9, v8
	v_fma_f32 v11, -v4, v10, v9
	v_fmac_f32_e32 v10, v11, v8
	v_fma_f32 v4, -v4, v10, v9
	v_div_fmas_f32 v4, v4, v8, v10
	v_div_fixup_f32 v7, v4, v5, v7
	v_div_scale_f32 v4, s[8:9], v5, v5, v6
	v_rcp_f32_e32 v8, v4
	s_nop 0
	v_fma_f32 v9, -v4, v8, 1.0
	v_fmac_f32_e32 v8, v9, v8
	v_div_scale_f32 v9, vcc, v6, v5, v6
	v_mul_f32_e32 v10, v9, v8
	v_fma_f32 v11, -v4, v10, v9
	v_fmac_f32_e32 v10, v11, v8
	v_fma_f32 v4, -v4, v10, v9
	v_div_fmas_f32 v4, v4, v8, v10
	v_div_fixup_f32 v6, v4, v5, v6
	global_store_dwordx2 v[2:3], v[6:7], off
.LBB14_196:                             ;   in Loop: Header=BB14_12 Depth=1
	s_or_b64 exec, exec, s[80:81]
	v_add_u32_e32 v3, s86, v160
	v_or_b32_e32 v2, s67, v82
	v_cmp_gt_i32_e32 vcc, s36, v3
	v_cmp_gt_i32_e64 s[10:11], s3, v2
	s_and_b64 s[8:9], vcc, s[10:11]
	v_mov_b32_e32 v2, 0x47
	s_and_saveexec_b64 s[14:15], s[8:9]
	s_cbranch_execz .LBB14_198
; %bb.197:                              ;   in Loop: Header=BB14_12 Depth=1
	v_mad_u64_u32 v[2:3], s[8:9], v3, s37, v[82:83]
	v_mul_lo_u32 v7, v2, 48
	v_add_u32_e32 v2, v124, v141
	v_add_u32_e32 v6, 0, v141
	;; [unrolled: 1-line block ×3, first 2 shown]
	ds_read2_b32 v[4:5], v6 offset0:48 offset1:49
	ds_read2st64_b32 v[2:3], v2 offset1:13
	ds_read_b32 v6, v6 offset:3520
	v_ashrrev_i32_e32 v9, 31, v7
	v_or_b32_e32 v8, v7, v36
	v_lshl_add_u64 v[8:9], v[8:9], 3, s[76:77]
	s_waitcnt lgkmcnt(1)
	v_cvt_f32_f16_e32 v10, v2
	v_cvt_f32_f16_sdwa v11, v2 dst_sel:DWORD dst_unused:UNUSED_PAD src0_sel:WORD_1
	v_cvt_f32_f16_e32 v2, v3
	v_cvt_f32_f16_sdwa v3, v3 dst_sel:DWORD dst_unused:UNUSED_PAD src0_sel:WORD_1
	v_pk_fma_f32 v[10:11], v[4:5], v[10:11], 0 op_sel_hi:[0,1,0]
	s_waitcnt lgkmcnt(0)
	v_pk_fma_f32 v[2:3], v[6:7], v[2:3], v[10:11] op_sel_hi:[0,1,1]
	v_div_scale_f32 v4, s[8:9], v5, v5, v3
	v_rcp_f32_e32 v6, v4
	s_nop 0
	v_fma_f32 v7, -v4, v6, 1.0
	v_fmac_f32_e32 v6, v7, v6
	v_div_scale_f32 v7, vcc, v3, v5, v3
	v_mul_f32_e32 v10, v7, v6
	v_fma_f32 v11, -v4, v10, v7
	v_fmac_f32_e32 v10, v11, v6
	v_fma_f32 v4, -v4, v10, v7
	v_div_fmas_f32 v4, v4, v6, v10
	v_div_fixup_f32 v3, v4, v5, v3
	v_div_scale_f32 v4, s[8:9], v5, v5, v2
	v_rcp_f32_e32 v6, v4
	s_nop 0
	v_fma_f32 v7, -v4, v6, 1.0
	v_fmac_f32_e32 v6, v7, v6
	v_div_scale_f32 v7, vcc, v2, v5, v2
	v_mul_f32_e32 v10, v7, v6
	v_fma_f32 v11, -v4, v10, v7
	v_fmac_f32_e32 v10, v11, v6
	v_fma_f32 v4, -v4, v10, v7
	v_div_fmas_f32 v4, v4, v6, v10
	v_div_fixup_f32 v2, v4, v5, v2
	global_store_dwordx2 v[8:9], v[2:3], off offset:256
	v_mov_b32_e32 v2, 0
.LBB14_198:                             ;   in Loop: Header=BB14_12 Depth=1
	s_or_b64 exec, exec, s[14:15]
	s_movk_i32 s8, 0x47
	v_cmp_gt_i32_e32 vcc, s8, v2
	s_mov_b64 s[14:15], -1
	s_and_saveexec_b64 s[80:81], vcc
; %bb.199:                              ;   in Loop: Header=BB14_12 Depth=1
	v_cmp_eq_u32_e32 vcc, 0, v2
	s_orn2_b64 s[14:15], vcc, exec
; %bb.200:                              ;   in Loop: Header=BB14_12 Depth=1
	s_or_b64 exec, exec, s[80:81]
	s_and_b64 exec, exec, s[14:15]
	s_cbranch_execz .LBB14_10
; %bb.201:                              ;   in Loop: Header=BB14_12 Depth=1
	v_add_u32_e32 v3, s86, v142
	v_cmp_gt_i32_e32 vcc, s36, v3
	s_and_b64 s[8:9], vcc, s[10:11]
	v_mov_b32_e32 v2, 0x47
	s_and_saveexec_b64 s[14:15], s[8:9]
	s_cbranch_execz .LBB14_203
; %bb.202:                              ;   in Loop: Header=BB14_12 Depth=1
	v_mad_u64_u32 v[2:3], s[8:9], v3, s37, v[82:83]
	v_mul_lo_u32 v7, v2, 48
	v_add_u32_e32 v2, v124, v143
	v_add_u32_e32 v6, 0, v143
	;; [unrolled: 1-line block ×3, first 2 shown]
	ds_read2_b32 v[4:5], v6 offset0:48 offset1:49
	ds_read2st64_b32 v[2:3], v2 offset1:13
	ds_read_b32 v6, v6 offset:3520
	v_ashrrev_i32_e32 v9, 31, v7
	v_or_b32_e32 v8, v7, v36
	v_lshl_add_u64 v[8:9], v[8:9], 3, s[76:77]
	s_waitcnt lgkmcnt(1)
	v_cvt_f32_f16_e32 v10, v2
	v_cvt_f32_f16_sdwa v11, v2 dst_sel:DWORD dst_unused:UNUSED_PAD src0_sel:WORD_1
	v_cvt_f32_f16_e32 v2, v3
	v_cvt_f32_f16_sdwa v3, v3 dst_sel:DWORD dst_unused:UNUSED_PAD src0_sel:WORD_1
	v_pk_fma_f32 v[10:11], v[4:5], v[10:11], 0 op_sel_hi:[0,1,0]
	s_waitcnt lgkmcnt(0)
	v_pk_fma_f32 v[2:3], v[6:7], v[2:3], v[10:11] op_sel_hi:[0,1,1]
	v_div_scale_f32 v4, s[8:9], v5, v5, v3
	v_rcp_f32_e32 v6, v4
	s_nop 0
	v_fma_f32 v7, -v4, v6, 1.0
	v_fmac_f32_e32 v6, v7, v6
	v_div_scale_f32 v7, vcc, v3, v5, v3
	v_mul_f32_e32 v10, v7, v6
	v_fma_f32 v11, -v4, v10, v7
	v_fmac_f32_e32 v10, v11, v6
	v_fma_f32 v4, -v4, v10, v7
	v_div_fmas_f32 v4, v4, v6, v10
	v_div_fixup_f32 v3, v4, v5, v3
	v_div_scale_f32 v4, s[8:9], v5, v5, v2
	v_rcp_f32_e32 v6, v4
	s_nop 0
	v_fma_f32 v7, -v4, v6, 1.0
	v_fmac_f32_e32 v6, v7, v6
	v_div_scale_f32 v7, vcc, v2, v5, v2
	v_mul_f32_e32 v10, v7, v6
	v_fma_f32 v11, -v4, v10, v7
	v_fmac_f32_e32 v10, v11, v6
	v_fma_f32 v4, -v4, v10, v7
	v_div_fmas_f32 v4, v4, v6, v10
	v_div_fixup_f32 v2, v4, v5, v2
	global_store_dwordx2 v[8:9], v[2:3], off offset:256
	v_mov_b32_e32 v2, 0
.LBB14_203:                             ;   in Loop: Header=BB14_12 Depth=1
	s_or_b64 exec, exec, s[14:15]
	s_movk_i32 s8, 0x47
	v_cmp_gt_i32_e32 vcc, s8, v2
	s_mov_b64 s[14:15], -1
	s_and_saveexec_b64 s[80:81], vcc
; %bb.204:                              ;   in Loop: Header=BB14_12 Depth=1
	v_cmp_eq_u32_e32 vcc, 0, v2
	s_orn2_b64 s[14:15], vcc, exec
; %bb.205:                              ;   in Loop: Header=BB14_12 Depth=1
	s_or_b64 exec, exec, s[80:81]
	s_and_b64 exec, exec, s[14:15]
	s_cbranch_execz .LBB14_10
; %bb.206:                              ;   in Loop: Header=BB14_12 Depth=1
	v_add_u32_e32 v3, s86, v144
	v_cmp_gt_i32_e32 vcc, s36, v3
	s_and_b64 s[8:9], vcc, s[10:11]
	v_mov_b32_e32 v2, 0x47
	s_and_saveexec_b64 s[14:15], s[8:9]
	s_cbranch_execz .LBB14_208
; %bb.207:                              ;   in Loop: Header=BB14_12 Depth=1
	v_mad_u64_u32 v[2:3], s[8:9], v3, s37, v[82:83]
	v_mul_lo_u32 v7, v2, 48
	v_add_u32_e32 v2, v124, v145
	v_add_u32_e32 v6, 0, v145
	;; [unrolled: 1-line block ×3, first 2 shown]
	ds_read2_b32 v[4:5], v6 offset0:48 offset1:49
	ds_read2st64_b32 v[2:3], v2 offset1:13
	ds_read_b32 v6, v6 offset:3520
	v_ashrrev_i32_e32 v9, 31, v7
	v_or_b32_e32 v8, v7, v36
	v_lshl_add_u64 v[8:9], v[8:9], 3, s[76:77]
	s_waitcnt lgkmcnt(1)
	v_cvt_f32_f16_e32 v10, v2
	v_cvt_f32_f16_sdwa v11, v2 dst_sel:DWORD dst_unused:UNUSED_PAD src0_sel:WORD_1
	v_cvt_f32_f16_e32 v2, v3
	v_cvt_f32_f16_sdwa v3, v3 dst_sel:DWORD dst_unused:UNUSED_PAD src0_sel:WORD_1
	v_pk_fma_f32 v[10:11], v[4:5], v[10:11], 0 op_sel_hi:[0,1,0]
	s_waitcnt lgkmcnt(0)
	v_pk_fma_f32 v[2:3], v[6:7], v[2:3], v[10:11] op_sel_hi:[0,1,1]
	v_div_scale_f32 v4, s[8:9], v5, v5, v3
	v_rcp_f32_e32 v6, v4
	s_nop 0
	v_fma_f32 v7, -v4, v6, 1.0
	v_fmac_f32_e32 v6, v7, v6
	v_div_scale_f32 v7, vcc, v3, v5, v3
	v_mul_f32_e32 v10, v7, v6
	v_fma_f32 v11, -v4, v10, v7
	v_fmac_f32_e32 v10, v11, v6
	v_fma_f32 v4, -v4, v10, v7
	v_div_fmas_f32 v4, v4, v6, v10
	v_div_fixup_f32 v3, v4, v5, v3
	v_div_scale_f32 v4, s[8:9], v5, v5, v2
	v_rcp_f32_e32 v6, v4
	s_nop 0
	v_fma_f32 v7, -v4, v6, 1.0
	v_fmac_f32_e32 v6, v7, v6
	v_div_scale_f32 v7, vcc, v2, v5, v2
	v_mul_f32_e32 v10, v7, v6
	v_fma_f32 v11, -v4, v10, v7
	v_fmac_f32_e32 v10, v11, v6
	v_fma_f32 v4, -v4, v10, v7
	v_div_fmas_f32 v4, v4, v6, v10
	v_div_fixup_f32 v2, v4, v5, v2
	global_store_dwordx2 v[8:9], v[2:3], off offset:256
	v_mov_b32_e32 v2, 0
.LBB14_208:                             ;   in Loop: Header=BB14_12 Depth=1
	s_or_b64 exec, exec, s[14:15]
	s_movk_i32 s8, 0x47
	v_cmp_gt_i32_e32 vcc, s8, v2
	s_mov_b64 s[14:15], -1
	s_and_saveexec_b64 s[80:81], vcc
; %bb.209:                              ;   in Loop: Header=BB14_12 Depth=1
	v_cmp_eq_u32_e32 vcc, 0, v2
	s_orn2_b64 s[14:15], vcc, exec
; %bb.210:                              ;   in Loop: Header=BB14_12 Depth=1
	s_or_b64 exec, exec, s[80:81]
	s_and_b64 exec, exec, s[14:15]
	s_cbranch_execz .LBB14_10
; %bb.211:                              ;   in Loop: Header=BB14_12 Depth=1
	v_add_u32_e32 v2, s86, v146
	v_cmp_gt_i32_e32 vcc, s36, v2
	s_and_b64 s[8:9], vcc, s[10:11]
	s_and_b64 exec, exec, s[8:9]
	s_cbranch_execz .LBB14_10
; %bb.212:                              ;   in Loop: Header=BB14_12 Depth=1
	v_add_u32_e32 v3, v124, v147
	v_add_u32_e32 v3, 0x80, v3
	ds_read2st64_b32 v[4:5], v3 offset1:13
	v_add_u32_e32 v3, 0, v147
	ds_read2_b32 v[6:7], v3 offset0:48 offset1:49
	ds_read_b32 v8, v3 offset:3520
	v_mad_u64_u32 v[2:3], s[8:9], v2, s37, v[82:83]
	s_waitcnt lgkmcnt(2)
	v_cvt_f32_f16_e32 v10, v4
	v_cvt_f32_f16_sdwa v11, v4 dst_sel:DWORD dst_unused:UNUSED_PAD src0_sel:WORD_1
	v_cvt_f32_f16_e32 v4, v5
	v_cvt_f32_f16_sdwa v5, v5 dst_sel:DWORD dst_unused:UNUSED_PAD src0_sel:WORD_1
	v_mul_lo_u32 v9, v2, 48
	s_waitcnt lgkmcnt(1)
	v_pk_fma_f32 v[2:3], v[6:7], v[10:11], 0 op_sel_hi:[0,1,0]
	s_waitcnt lgkmcnt(0)
	v_pk_fma_f32 v[2:3], v[8:9], v[4:5], v[2:3] op_sel_hi:[0,1,1]
	v_div_scale_f32 v6, s[8:9], v7, v7, v3
	v_rcp_f32_e32 v8, v6
	v_ashrrev_i32_e32 v5, 31, v9
	v_or_b32_e32 v4, v9, v36
	v_lshl_add_u64 v[4:5], v[4:5], 3, s[76:77]
	v_fma_f32 v9, -v6, v8, 1.0
	v_fmac_f32_e32 v8, v9, v8
	v_div_scale_f32 v9, vcc, v3, v7, v3
	v_mul_f32_e32 v10, v9, v8
	v_fma_f32 v11, -v6, v10, v9
	v_fmac_f32_e32 v10, v11, v8
	v_fma_f32 v6, -v6, v10, v9
	v_div_scale_f32 v9, s[8:9], v7, v7, v2
	v_rcp_f32_e32 v11, v9
	v_div_fmas_f32 v6, v6, v8, v10
	v_div_fixup_f32 v3, v6, v7, v3
	v_fma_f32 v6, -v9, v11, 1.0
	v_fmac_f32_e32 v11, v6, v11
	v_div_scale_f32 v6, vcc, v2, v7, v2
	v_mul_f32_e32 v8, v6, v11
	v_fma_f32 v10, -v9, v8, v6
	v_fmac_f32_e32 v8, v10, v11
	v_fma_f32 v6, -v9, v8, v6
	v_div_fmas_f32 v6, v6, v11, v8
	v_div_fixup_f32 v2, v6, v7, v2
	global_store_dwordx2 v[4:5], v[2:3], off offset:256
	s_branch .LBB14_10
.LBB14_213:
	v_readlane_b32 s33, v175, 13
	v_readlane_b32 s35, v175, 6
	;; [unrolled: 1-line block ×7, first 2 shown]
	s_andn2_b64 vcc, exec, s[10:11]
	s_cbranch_vccnz .LBB14_8
.LBB14_214:
	s_abs_i32 s0, s95
	v_cvt_f32_u32_e32 v2, s0
	s_sub_i32 s4, 0, s0
	s_abs_i32 s2, s56
	s_xor_b32 s1, s56, s95
	v_rcp_iflag_f32_e32 v2, v2
	s_ashr_i32 s1, s1, 31
	v_readlane_b32 s10, v175, 2
	v_readlane_b32 s11, v175, 1
	v_mul_f32_e32 v2, 0x4f7ffffe, v2
	v_cvt_u32_f32_e32 v2, v2
	v_mov_b32_e32 v12, s8
	v_readfirstlane_b32 s5, v2
	s_mul_i32 s4, s4, s5
	s_mul_hi_u32 s4, s5, s4
	s_add_i32 s5, s5, s4
	s_mul_hi_u32 s4, s2, s5
	s_mul_i32 s5, s4, s0
	s_sub_i32 s2, s2, s5
	s_add_i32 s6, s4, 1
	s_sub_i32 s5, s2, s0
	s_cmp_ge_u32 s2, s0
	s_cselect_b32 s4, s6, s4
	s_cselect_b32 s2, s5, s2
	s_add_i32 s5, s4, 1
	s_cmp_ge_u32 s2, s0
	s_cselect_b32 s0, s5, s4
	s_abs_i32 s4, s10
	v_cvt_f32_u32_e32 v2, s4
	s_xor_b32 s0, s0, s1
	s_sub_i32 s5, 0, s4
	s_sub_i32 s2, s0, s1
	v_rcp_iflag_f32_e32 v2, v2
	s_mul_i32 s0, s2, s95
	s_sub_i32 s0, s56, s0
	s_abs_i32 s6, s0
	v_mul_f32_e32 v2, 0x4f7ffffe, v2
	v_cvt_u32_f32_e32 v2, v2
	s_xor_b32 s1, s0, s10
	s_ashr_i32 s1, s1, 31
	v_readfirstlane_b32 s7, v2
	s_mul_i32 s5, s5, s7
	s_mul_hi_u32 s5, s7, s5
	s_add_i32 s7, s7, s5
	s_mul_hi_u32 s5, s6, s7
	s_mul_i32 s7, s5, s4
	s_sub_i32 s6, s6, s7
	s_add_i32 s9, s5, 1
	s_sub_i32 s7, s6, s4
	s_cmp_ge_u32 s6, s4
	s_cselect_b32 s5, s9, s5
	s_cselect_b32 s6, s7, s6
	s_add_i32 s7, s5, 1
	s_cmp_ge_u32 s6, s4
	s_cselect_b32 s4, s7, s5
	s_abs_i32 s5, s11
	v_cvt_f32_u32_e32 v2, s5
	s_xor_b32 s4, s4, s1
	s_sub_i32 s6, 0, s5
	s_sub_i32 s9, s4, s1
	v_rcp_iflag_f32_e32 v2, v2
	s_mul_i32 s1, s9, s10
	s_sub_i32 s1, s0, s1
	s_abs_i32 s4, s1
	v_mul_f32_e32 v2, 0x4f7ffffe, v2
	v_cvt_u32_f32_e32 v2, v2
	s_xor_b32 s0, s1, s11
	s_ashr_i32 s0, s0, 31
	v_readfirstlane_b32 s7, v2
	s_mul_i32 s6, s6, s7
	s_mul_hi_u32 s6, s7, s6
	s_add_i32 s7, s7, s6
	s_mul_hi_u32 s6, s4, s7
	s_mul_i32 s7, s6, s5
	s_sub_i32 s4, s4, s7
	s_add_i32 s10, s6, 1
	s_sub_i32 s7, s4, s5
	s_cmp_ge_u32 s4, s5
	s_cselect_b32 s6, s10, s6
	s_cselect_b32 s4, s7, s4
	s_add_i32 s7, s6, 1
	s_cmp_ge_u32 s4, s5
	s_cselect_b32 s4, s7, s6
	s_xor_b32 s4, s4, s0
	s_sub_i32 s0, s4, s0
	s_mul_i32 s4, s0, s11
	s_sub_i32 s1, s1, s4
	s_ashr_i32 s4, s1, 31
	v_readlane_b32 s5, v175, 5
	s_abs_i32 s1, s1
	s_xor_b32 s4, s4, s5
	s_mul_hi_u32 s5, s1, s52
	s_mul_i32 s6, s5, s97
	s_sub_i32 s1, s1, s6
	s_add_i32 s6, s5, 1
	s_sub_i32 s7, s1, s97
	s_cmp_ge_u32 s1, s97
	s_cselect_b32 s5, s6, s5
	s_cselect_b32 s1, s7, s1
	s_add_i32 s6, s5, 1
	s_cmp_ge_u32 s1, s97
	s_cselect_b32 s1, s6, s5
	s_abs_i32 s13, s12
	v_cvt_f32_u32_e32 v2, s13
	s_xor_b32 s1, s1, s4
	s_sub_i32 s1, s1, s4
	s_cmp_eq_u64 s[26:27], 0
	v_rcp_iflag_f32_e32 v2, v2
	s_nop 0
	v_mul_f32_e32 v2, 0x4f7ffffe, v2
	v_cvt_u32_f32_e32 v2, v2
	s_nop 0
	v_readfirstlane_b32 s11, v2
	s_cbranch_scc1 .LBB14_216
; %bb.215:
	v_readlane_b32 s4, v175, 0
	s_mul_i32 s4, s2, s4
	s_add_i32 s4, s1, s4
	s_ashr_i32 s5, s4, 31
	s_lshl_b64 s[4:5], s[4:5], 2
	s_add_u32 s4, s26, s4
	s_addc_u32 s5, s27, s5
	v_mov_b32_e32 v2, 0
	global_load_dword v2, v2, s[4:5]
	s_waitcnt vmcnt(0)
	v_ashrrev_i32_e32 v3, 31, v2
	v_lshrrev_b32_e32 v3, 26, v3
	v_add_u32_e32 v2, v2, v3
	v_ashrrev_i32_e32 v2, 6, v2
	v_min_i32_e32 v12, s8, v2
.LBB14_216:
	s_mul_i32 s4, s9, s3
	s_lshl_b32 s8, s0, 3
	s_add_i32 s0, s8, s4
	s_mul_i32 s4, s2, s55
	s_ashr_i32 s5, s4, 31
	s_add_u32 s4, s16, s4
	s_mul_i32 s0, s0, s54
	s_addc_u32 s5, s17, s5
	s_ashr_i32 s7, s0, 31
	s_add_u32 s6, s4, s0
	v_add_u32_e32 v55, v35, v39
	s_addc_u32 s7, s5, s7
	s_lshl_b32 s10, s1, 2
	v_lshrrev_b32_e32 v3, 3, v55
	v_and_b32_e32 v2, 7, v55
	v_add_u32_e32 v3, s10, v3
	v_or_b32_e32 v4, s8, v2
	v_cmp_le_i32_e64 s[0:1], s36, v3
	v_cmp_le_i32_e64 s[4:5], s3, v4
	s_mov_b32 s12, 0x10001
	v_lshl_add_u32 v30, v34, 2, 0
	v_cmp_gt_i32_e32 vcc, s3, v4
	s_or_b64 s[0:1], s[0:1], s[4:5]
	s_and_saveexec_b64 s[4:5], s[0:1]
	s_xor_b64 s[0:1], exec, s[4:5]
; %bb.217:
	s_movk_i32 s4, 0xd0
	v_mad_u32_u24 v3, v55, s4, v30
	v_mov_b32_e32 v4, 0
	ds_write_b32 v3, v4
                                        ; implicit-def: $vgpr3
; %bb.218:
	s_or_saveexec_b64 s[0:1], s[0:1]
	v_mul_lo_u32 v1, v1, s12
	s_xor_b64 exec, exec, s[0:1]
	s_cbranch_execz .LBB14_220
; %bb.219:
	v_mul_lo_u32 v3, v3, s57
	v_mul_lo_u32 v4, v2, s53
	v_add3_u32 v4, v4, v34, v3
	v_ashrrev_i32_e32 v5, 31, v4
	v_lshl_add_u64 v[4:5], v[4:5], 3, s[6:7]
	global_load_dwordx2 v[4:5], v[4:5], off
	s_movk_i32 s4, 0xd0
	s_waitcnt vmcnt(0)
	v_cvt_pk_f16_f32 v3, v4, v5
	v_pk_mul_f16 v3, v3, v1
	v_mad_u32_u24 v4, v55, s4, v30
	ds_write_b32 v4, v3
.LBB14_220:
	s_or_b64 exec, exec, s[0:1]
	v_add_u32_e32 v3, 8, v55
	v_lshrrev_b32_e32 v4, 3, v3
	v_add_u32_e32 v4, s10, v4
	v_cmp_le_i32_e64 s[0:1], s36, v4
	s_xor_b64 s[4:5], vcc, -1
	s_or_b64 s[0:1], s[0:1], s[4:5]
	s_and_saveexec_b64 s[14:15], s[0:1]
	s_xor_b64 s[0:1], exec, s[14:15]
; %bb.221:
	s_movk_i32 s12, 0xd0
	v_mad_u32_u24 v3, v3, s12, v30
	v_mov_b32_e32 v4, 0
	ds_write_b32 v3, v4
                                        ; implicit-def: $vgpr4
                                        ; implicit-def: $vgpr3
; %bb.222:
	s_andn2_saveexec_b64 s[0:1], s[0:1]
	s_cbranch_execz .LBB14_224
; %bb.223:
	v_mul_lo_u32 v4, v4, s57
	v_mul_lo_u32 v5, v2, s53
	v_add3_u32 v4, v5, v34, v4
	v_ashrrev_i32_e32 v5, 31, v4
	v_lshl_add_u64 v[4:5], v[4:5], 3, s[6:7]
	global_load_dwordx2 v[4:5], v[4:5], off
	s_movk_i32 s12, 0xd0
	v_mad_u32_u24 v3, v3, s12, v30
	s_waitcnt vmcnt(0)
	v_cvt_pk_f16_f32 v4, v4, v5
	v_pk_mul_f16 v4, v4, v1
	ds_write_b32 v3, v4
.LBB14_224:
	s_or_b64 exec, exec, s[0:1]
	v_add_u32_e32 v3, 16, v55
	v_lshrrev_b32_e32 v4, 3, v3
	v_add_u32_e32 v4, s10, v4
	v_cmp_le_i32_e32 vcc, s36, v4
	s_or_b64 s[0:1], vcc, s[4:5]
	s_and_saveexec_b64 s[14:15], s[0:1]
	s_xor_b64 s[0:1], exec, s[14:15]
; %bb.225:
	s_movk_i32 s12, 0xd0
	v_mad_u32_u24 v3, v3, s12, v30
	v_mov_b32_e32 v4, 0
	ds_write_b32 v3, v4
                                        ; implicit-def: $vgpr4
                                        ; implicit-def: $vgpr3
; %bb.226:
	s_andn2_saveexec_b64 s[0:1], s[0:1]
	s_cbranch_execz .LBB14_228
; %bb.227:
	v_mul_lo_u32 v4, v4, s57
	v_mul_lo_u32 v5, v2, s53
	v_add3_u32 v4, v5, v34, v4
	v_ashrrev_i32_e32 v5, 31, v4
	v_lshl_add_u64 v[4:5], v[4:5], 3, s[6:7]
	global_load_dwordx2 v[4:5], v[4:5], off
	s_movk_i32 s12, 0xd0
	v_mad_u32_u24 v3, v3, s12, v30
	s_waitcnt vmcnt(0)
	v_cvt_pk_f16_f32 v4, v4, v5
	v_pk_mul_f16 v4, v4, v1
	ds_write_b32 v3, v4
.LBB14_228:
	s_or_b64 exec, exec, s[0:1]
	v_add_u32_e32 v3, 24, v55
	v_lshrrev_b32_e32 v4, 3, v3
	v_add_u32_e32 v4, s10, v4
	v_cmp_le_i32_e32 vcc, s36, v4
	s_sub_i32 s12, 0, s13
	s_or_b64 s[0:1], vcc, s[4:5]
	s_and_saveexec_b64 s[4:5], s[0:1]
	s_xor_b64 s[0:1], exec, s[4:5]
; %bb.229:
	s_movk_i32 s4, 0xd0
	v_mad_u32_u24 v2, v3, s4, v30
	v_mov_b32_e32 v3, 0
	ds_write_b32 v2, v3
                                        ; implicit-def: $vgpr4
                                        ; implicit-def: $vgpr2
                                        ; implicit-def: $vgpr3
; %bb.230:
	s_or_saveexec_b64 s[0:1], s[0:1]
	s_mul_i32 s12, s12, s11
	v_and_b32_e32 v36, 0x3ff, v0
	s_xor_b64 exec, exec, s[0:1]
	s_cbranch_execz .LBB14_232
; %bb.231:
	v_mul_lo_u32 v0, v4, s57
	v_mul_lo_u32 v2, v2, s53
	v_add3_u32 v4, v2, v34, v0
	v_ashrrev_i32_e32 v5, 31, v4
	v_lshl_add_u64 v[4:5], v[4:5], 3, s[6:7]
	global_load_dwordx2 v[4:5], v[4:5], off
	s_movk_i32 s4, 0xd0
	v_mad_u32_u24 v2, v3, s4, v30
	s_waitcnt vmcnt(0)
	v_cvt_pk_f16_f32 v0, v4, v5
	v_pk_mul_f16 v0, v0, v1
	ds_write_b32 v2, v0
.LBB14_232:
	s_or_b64 exec, exec, s[0:1]
	v_lshrrev_b32_e32 v33, 4, v36
	v_lshl_add_u32 v2, v37, 2, v33
	v_and_b32_e32 v0, 7, v2
	v_or_b32_e32 v3, s8, v0
	v_cmp_gt_i32_e32 vcc, s3, v3
	v_cmp_le_i32_e64 s[0:1], s3, v3
	v_lshrrev_b32_e32 v3, 3, v2
	v_add_u32_e32 v3, s10, v3
	v_cmp_le_i32_e64 s[4:5], s36, v3
	s_mul_hi_u32 s12, s11, s12
	v_and_b32_e32 v32, 15, v36
	v_mul_lo_u32 v0, s53, v0
	s_or_b64 s[0:1], s[4:5], s[0:1]
	s_and_saveexec_b64 s[4:5], s[0:1]
	s_xor_b64 s[0:1], exec, s[4:5]
; %bb.233:
	v_mul_u32_u24_e32 v3, 0xd0, v2
	v_lshlrev_b32_e32 v4, 2, v32
	v_add3_u32 v3, 0, v3, v4
	v_mov_b32_e32 v4, 0
	ds_write_b32 v3, v4 offset:128
                                        ; implicit-def: $vgpr3
; %bb.234:
	s_or_saveexec_b64 s[0:1], s[0:1]
	s_abs_i32 s3, s2
	s_add_i32 s11, s11, s12
	v_lshl_add_u32 v31, v32, 2, 0
	v_add3_u32 v0, v0, v32, 32
	s_xor_b64 exec, exec, s[0:1]
	s_cbranch_execz .LBB14_236
; %bb.235:
	v_mad_u64_u32 v[4:5], s[4:5], v3, s57, v[0:1]
	v_ashrrev_i32_e32 v5, 31, v4
	v_lshl_add_u64 v[4:5], v[4:5], 3, s[6:7]
	global_load_dwordx2 v[4:5], v[4:5], off
	s_movk_i32 s4, 0xd0
	s_waitcnt vmcnt(0)
	v_cvt_pk_f16_f32 v3, v4, v5
	v_pk_mul_f16 v3, v3, v1
	v_mad_u32_u24 v4, v2, s4, v31
	ds_write_b32 v4, v3 offset:128
.LBB14_236:
	s_or_b64 exec, exec, s[0:1]
	v_add_u32_e32 v2, 16, v2
	v_lshrrev_b32_e32 v3, 3, v2
	v_add_u32_e32 v3, s10, v3
	v_cmp_le_i32_e64 s[0:1], s36, v3
	s_xor_b64 s[14:15], vcc, -1
	s_mul_hi_u32 s4, s3, s11
	s_or_b64 s[0:1], s[0:1], s[14:15]
	s_and_saveexec_b64 s[14:15], s[0:1]
	s_xor_b64 s[0:1], exec, s[14:15]
; %bb.237:
	v_mul_u32_u24_e32 v0, 0xd0, v2
	v_lshlrev_b32_e32 v1, 2, v32
	v_add3_u32 v0, 0, v0, v1
	v_mov_b32_e32 v1, 0
	ds_write_b32 v0, v1 offset:128
                                        ; implicit-def: $vgpr0
                                        ; implicit-def: $vgpr3
                                        ; implicit-def: $vgpr1
                                        ; implicit-def: $vgpr2
; %bb.238:
	s_or_saveexec_b64 s[0:1], s[0:1]
	s_ashr_i32 s8, s2, 31
	s_xor_b64 exec, exec, s[0:1]
	s_cbranch_execz .LBB14_240
; %bb.239:
	v_mad_u64_u32 v[4:5], s[14:15], v3, s57, v[0:1]
	v_ashrrev_i32_e32 v5, 31, v4
	v_lshl_add_u64 v[4:5], v[4:5], 3, s[6:7]
	global_load_dwordx2 v[4:5], v[4:5], off
	s_movk_i32 s5, 0xd0
	s_waitcnt vmcnt(0)
	v_cvt_pk_f16_f32 v0, v4, v5
	v_pk_mul_f16 v0, v0, v1
	v_mad_u32_u24 v1, v2, s5, v31
	ds_write_b32 v1, v0 offset:128
.LBB14_240:
	s_or_b64 exec, exec, s[0:1]
	s_mul_hi_u32 s0, s40, s2
	s_mul_i32 s1, s40, s8
	s_add_i32 s0, s0, s1
	s_mul_i32 s1, s41, s2
	v_readlane_b32 s6, v175, 3
	s_add_i32 s0, s0, s1
	s_mul_i32 s1, s40, s2
	v_readlane_b32 s7, v175, 4
	s_add_u32 s1, s18, s1
	s_mul_i32 s5, s9, s7
	s_addc_u32 s0, s19, s0
	s_ashr_i32 s6, s5, 31
	s_add_u32 s11, s1, s5
	s_mul_i32 s4, s4, s13
	s_addc_u32 s12, s0, s6
	s_sub_i32 s0, s3, s4
	s_sub_i32 s1, s0, s13
	s_cmp_ge_u32 s0, s13
	s_cselect_b32 s0, s1, s0
	s_sub_i32 s1, s0, s13
	s_cmp_ge_u32 s0, s13
	s_cselect_b32 s0, s1, s0
	s_xor_b32 s0, s0, s8
	s_sub_i32 s0, s0, s8
	s_ashr_i32 s1, s0, 31
	s_mul_i32 s1, s50, s1
	s_mul_hi_u32 s3, s50, s0
	s_add_i32 s1, s3, s1
	s_mul_i32 s3, s51, s0
	v_lshrrev_b32_e32 v15, 3, v36
	s_add_i32 s1, s1, s3
	s_mul_i32 s0, s50, s0
	v_and_b32_e32 v13, 0x1ff0, v43
	s_movk_i32 s6, 0xd0
	v_and_b32_e32 v1, 0x7e, v15
	s_add_u32 s4, s22, s0
	v_mad_u32_u24 v0, v13, s6, 0
	v_mul_u32_u24_e32 v58, 0xd0, v32
	v_lshlrev_b32_e32 v38, 2, v1
	s_addc_u32 s5, s23, s1
	s_mul_hi_u32 s0, s48, s2
	s_mul_i32 s1, s48, s8
	v_add3_u32 v0, v0, v58, v38
	s_add_i32 s0, s0, s1
	s_mul_i32 s1, s49, s2
	s_waitcnt lgkmcnt(0)
	s_barrier
	ds_read2_b64 v[8:11], v0 offset1:4
	ds_read2_b64 v[4:7], v0 offset0:8 offset1:12
	ds_read2_b64 v[0:3], v0 offset0:16 offset1:20
	s_add_i32 s0, s0, s1
	s_mul_i32 s1, s48, s2
	s_add_u32 s1, s20, s1
	s_mul_i32 s9, s9, s43
	s_addc_u32 s0, s21, s0
	s_ashr_i32 s3, s9, 31
	v_add_u32_e32 v62, -1, v12
	s_add_u32 s2, s1, s9
	v_cmp_ge_i32_e32 vcc, s86, v62
	v_add_u32_e32 v59, v43, v15
	s_addc_u32 s3, s0, s3
	s_and_b64 vcc, exec, vcc
	v_cmp_gt_u32_e64 s[0:1], 4, v55
	v_lshrrev_b32_e32 v56, 2, v36
	v_mul_lo_u32 v14, s38, v59
	v_and_or_b32 v57, v36, 8, v13
	v_mul_lo_u32 v12, s34, v59
	v_and_b32_e32 v52, 8, v43
	v_lshlrev_b32_e32 v53, 1, v15
	v_lshlrev_b32_e32 v51, 1, v32
	s_waitcnt lgkmcnt(0)
	s_barrier
	s_cbranch_vccnz .LBB14_247
; %bb.241:
	v_and_b32_e32 v24, 16, v41
	v_and_b32_e32 v25, 0xfc, v56
	v_add_u32_e32 v13, s10, v55
	s_movk_i32 s7, 0x90
	v_mul_u32_u24_e32 v40, 0xd0, v24
	v_add_u32_e32 v26, v25, v24
	v_lshrrev_b32_e32 v27, 3, v57
	v_add_u16_e32 v24, v25, v24
	v_mul_hi_u32 v15, s44, v13
	v_mad_u32_u24 v27, v27, s7, 0
	v_lshrrev_b16_e32 v24, 1, v24
	v_add_u32_e32 v15, v13, v15
	v_lshl_add_u32 v42, v24, 2, v27
	v_lshl_add_u32 v24, v26, 1, v27
	v_lshrrev_b32_e32 v15, s45, v15
	v_add_u32_e32 v69, 64, v24
	v_add_u32_e32 v70, 0x44, v24
	v_mbcnt_hi_u32_b32 v24, -1, v65
	v_mul_lo_u32 v15, v15, s36
	v_and_b32_e32 v25, 64, v24
	v_sub_u32_e32 v13, v13, v15
	v_add_u32_e32 v25, 64, v25
	v_xor_b32_e32 v26, 32, v24
	v_lshlrev_b32_e32 v22, 2, v36
	v_mad_i64_i32 v[18:19], s[8:9], v13, s46, 0
	v_cmp_lt_i32_e32 vcc, v26, v25
	v_mul_u32_u24_e32 v15, 0x90, v55
	v_and_b32_e32 v16, 0x7c, v22
	v_lshl_add_u64 v[18:19], v[18:19], 1, s[4:5]
	v_mov_b32_e32 v17, 0
	v_cndmask_b32_e32 v26, v24, v26, vcc
	v_add3_u32 v63, 0, v15, v16
	v_lshl_add_u64 v[18:19], v[18:19], 0, v[16:17]
	v_add_u32_e32 v13, v41, v56
	v_and_b32_e32 v16, 12, v22
	v_lshlrev_b32_e32 v71, 2, v26
	v_xor_b32_e32 v26, 16, v24
	v_mad_u32_u24 v15, v13, s6, 0
	v_lshlrev_b32_e32 v23, 2, v16
	s_movk_i32 s6, 0x80
	v_and_b32_e32 v28, 28, v22
	v_cmp_lt_i32_e32 vcc, v26, v25
	v_add3_u32 v66, v15, v23, s6
	v_mul_u32_u24_e32 v15, 0xd0, v59
	v_lshlrev_b32_e32 v22, 2, v28
	v_cndmask_b32_e32 v24, v24, v26, vcc
	v_and_b32_e32 v44, 0xfc, v53
	v_or_b32_e32 v45, 2, v53
	v_or_b32_e32 v46, 3, v53
	s_movk_i32 s6, 0x1a0
	v_mul_lo_u32 v20, s38, v13
	v_add3_u32 v67, 0, v15, v22
	v_lshl_add_u32 v22, s38, 5, v14
	v_add3_u32 v29, 0, v58, v38
	v_lshlrev_b32_e32 v72, 2, v24
	v_mul_lo_u32 v24, s34, v13
	v_lshl_add_u32 v26, s34, 5, v12
	v_mul_u32_u24_e32 v44, 0xd0, v44
	v_mul_u32_u24_e32 v45, 0xd0, v45
	;; [unrolled: 1-line block ×3, first 2 shown]
	v_mad_u32_u24 v47, v52, s6, 0
	v_ashrrev_i32_e32 v21, 31, v20
	v_ashrrev_i32_e32 v15, 31, v14
	v_add_u32_e32 v68, 0x1a00, v67
	v_ashrrev_i32_e32 v23, 31, v22
	v_ashrrev_i32_e32 v25, 31, v24
	;; [unrolled: 1-line block ×4, first 2 shown]
	v_add3_u32 v73, v47, v44, v51
	v_add3_u32 v74, v47, v45, v51
	;; [unrolled: 1-line block ×3, first 2 shown]
	s_lshl_b32 s6, s86, 6
	v_mov_b32_e32 v64, 0xfeffffff
	v_lshlrev_b32_e32 v16, 2, v16
	v_lshlrev_b32_e32 v28, 2, v28
	v_add_u32_e32 v76, v29, v40
	v_add_u32_e32 v77, 0x3400, v42
	s_mov_b32 s13, 0x3fb8aa3b
	s_mov_b32 s14, 0xc2ce8ed0
	;; [unrolled: 1-line block ×5, first 2 shown]
	v_mov_b32_e32 v78, 0x7f800000
	v_mov_b32_e32 v79, v17
	v_mov_b32_e32 v47, v17
	v_mov_b32_e32 v46, v17
	v_mov_b32_e32 v49, v17
	v_mov_b32_e32 v48, v17
	v_mov_b32_e32 v54, v17
	v_mov_b32_e32 v50, v17
	v_mov_b32_e32 v61, v17
	v_mov_b32_e32 v60, v17
	v_mov_b32_e32 v45, v17
	v_mov_b32_e32 v44, v17
	v_mov_b32_e32 v42, v17
	v_mov_b32_e32 v40, v17
	s_ashr_i32 s7, s6, 31
	s_and_saveexec_b64 s[8:9], s[0:1]
	s_cbranch_execz .LBB14_243
.LBB14_242:
	v_lshl_add_u64 v[80:81], s[6:7], 1, v[18:19]
	global_load_dword v29, v[80:81], off
	s_waitcnt vmcnt(0)
	ds_write_b32 v63, v29 offset:13312
.LBB14_243:                             ; =>This Inner Loop Header: Depth=1
	s_or_b64 exec, exec, s[8:9]
	s_mul_hi_i32 s9, s6, s38
	s_mul_i32 s8, s6, s38
	s_lshl_b64 s[8:9], s[8:9], 2
	s_add_u32 s8, s11, s8
	s_addc_u32 s9, s12, s9
	v_lshl_add_u64 v[80:81], v[20:21], 2, s[8:9]
	v_lshl_add_u64 v[92:93], v[80:81], 0, v[16:17]
	v_lshl_add_u64 v[80:81], v[14:15], 2, s[8:9]
	v_mov_b32_e32 v29, v17
	v_lshl_add_u64 v[94:95], v[80:81], 0, v[28:29]
	v_lshl_add_u64 v[80:81], v[22:23], 2, s[8:9]
	;; [unrolled: 1-line block ×3, first 2 shown]
	global_load_dwordx4 v[80:83], v[92:93], off offset:128
	global_load_dwordx4 v[84:87], v[94:95], off
	global_load_dwordx4 v[88:91], v[96:97], off
	v_add_u32_e32 v100, 0x1800, v76
	s_mul_hi_i32 s9, s6, s34
	s_mul_i32 s8, s6, s34
	s_lshl_b64 s[8:9], s[8:9], 2
	s_add_u32 s8, s2, s8
	s_addc_u32 s9, s3, s9
	s_add_i32 s86, s86, 1
	s_add_i32 s6, s6, 64
	s_waitcnt vmcnt(2)
	ds_write_b128 v66, v[80:83]
	s_waitcnt vmcnt(1)
	ds_write_b128 v67, v[84:87]
	;; [unrolled: 2-line block ×3, first 2 shown]
	s_waitcnt lgkmcnt(0)
	s_barrier
	ds_read2_b64 v[80:83], v76 offset1:4
	ds_read2_b64 v[88:91], v100 offset0:64 offset1:68
	s_waitcnt lgkmcnt(1)
	v_mfma_f32_16x16x16_f16 v[84:87], v[80:81], v[8:9], 0
	ds_read2_b64 v[96:99], v76 offset0:16 offset1:20
	v_mfma_f32_16x16x16_f16 v[80:83], v[82:83], v[10:11], v[84:87]
	s_nop 5
	ds_read2_b64 v[84:87], v76 offset0:8 offset1:12
	s_waitcnt lgkmcnt(2)
	v_mfma_f32_16x16x16_f16 v[92:95], v[88:89], v[8:9], 0
	v_mfma_f32_16x16x16_f16 v[88:91], v[90:91], v[10:11], v[92:95]
	s_waitcnt lgkmcnt(0)
	v_mfma_f32_16x16x16_f16 v[80:83], v[84:85], v[4:5], v[80:83]
	s_nop 4
	ds_read2_b64 v[92:95], v100 offset0:72 offset1:76
	v_mfma_f32_16x16x16_f16 v[80:83], v[86:87], v[6:7], v[80:83]
	ds_read2_b64 v[84:87], v100 offset0:80 offset1:84
	s_waitcnt lgkmcnt(0)
	s_barrier
	v_mfma_f32_16x16x16_f16 v[88:91], v[92:93], v[4:5], v[88:91]
	ds_read2_b32 v[92:93], v77 offset1:1
	s_waitcnt lgkmcnt(0)
	v_cvt_f32_f16_e32 v100, v92
	v_mfma_f32_16x16x16_f16 v[88:91], v[94:95], v[6:7], v[88:91]
	v_cvt_f32_f16_sdwa v92, v92 dst_sel:DWORD dst_unused:UNUSED_PAD src0_sel:WORD_1
	v_cvt_f32_f16_e32 v101, v93
	v_cvt_f32_f16_sdwa v93, v93 dst_sel:DWORD dst_unused:UNUSED_PAD src0_sel:WORD_1
	v_mfma_f32_16x16x16_f16 v[80:83], v[96:97], v[0:1], v[80:83]
	ds_read_b32 v96, v69 offset:13312
	ds_read_b32 v97, v70 offset:13312
	v_lshl_add_u64 v[94:95], v[24:25], 2, s[8:9]
	s_waitcnt lgkmcnt(1)
	v_cvt_f32_f16_e32 v102, v96
	v_mfma_f32_16x16x16_f16 v[88:91], v[84:85], v[0:1], v[88:91]
	v_cvt_f32_f16_sdwa v96, v96 dst_sel:DWORD dst_unused:UNUSED_PAD src0_sel:WORD_1
	v_mfma_f32_16x16x16_f16 v[80:83], v[98:99], v[2:3], v[80:83]
	s_waitcnt lgkmcnt(0)
	v_cvt_f32_f16_e32 v98, v97
	v_cvt_f32_f16_sdwa v97, v97 dst_sel:DWORD dst_unused:UNUSED_PAD src0_sel:WORD_1
	v_mfma_f32_16x16x16_f16 v[84:87], v[86:87], v[2:3], v[88:91]
	s_nop 3
	v_add_f32_e32 v99, v80, v100
	v_add_f32_e32 v100, v81, v92
	;; [unrolled: 1-line block ×10, first 2 shown]
	v_max3_f32 v80, v64, v80, v81
	v_add_f32_e32 v98, v86, v98
	v_add_f32_e32 v105, v87, v97
	;; [unrolled: 1-line block ×4, first 2 shown]
	v_max3_f32 v80, v80, v82, v83
	v_add_f32_e32 v86, 0x40051340, v98
	v_add_f32_e32 v87, 0x40051340, v105
	v_max3_f32 v80, v80, v84, v85
	v_max3_f32 v84, v80, v86, v87
	ds_bpermute_b32 v85, v71, v84
	v_lshl_add_u64 v[80:81], v[12:13], 2, s[8:9]
	v_lshl_add_u64 v[82:83], v[26:27], 2, s[8:9]
	;; [unrolled: 1-line block ×4, first 2 shown]
	s_waitcnt lgkmcnt(0)
	v_max_f32_e32 v80, v85, v85
	v_max_f32_e32 v106, v84, v80
	v_lshl_add_u64 v[96:97], v[82:83], 0, v[28:29]
	global_load_dwordx4 v[80:83], v[92:93], off offset:128
	global_load_dwordx4 v[84:87], v[94:95], off
	global_load_dwordx4 v[88:91], v[96:97], off
	ds_bpermute_b32 v107, v72, v106
	s_waitcnt vmcnt(2)
	ds_write_b128 v66, v[80:83]
	s_waitcnt vmcnt(1)
	ds_write_b128 v67, v[84:87]
	;; [unrolled: 2-line block ×3, first 2 shown]
	s_waitcnt lgkmcnt(3)
	v_max_f32_e32 v29, v107, v107
	v_max_f32_e32 v29, v106, v29
	v_sub_f32_e32 v92, v99, v29
	v_sub_f32_e32 v93, v100, v29
	v_mul_f32_e32 v97, 0x3fb8aa3b, v92
	v_sub_f32_e32 v94, v101, v29
	v_sub_f32_e32 v95, v103, v29
	v_mul_f32_e32 v99, 0x3fb8aa3b, v93
	v_fma_f32 v103, v92, s13, -v97
	v_rndne_f32_e32 v106, v97
	v_mul_f32_e32 v100, 0x3fb8aa3b, v94
	v_fma_f32 v107, v93, s13, -v99
	v_rndne_f32_e32 v108, v99
	v_fmac_f32_e32 v103, 0x32a5705f, v92
	v_sub_f32_e32 v97, v97, v106
	v_fma_f32 v109, v94, s13, -v100
	v_rndne_f32_e32 v110, v100
	v_fmac_f32_e32 v107, 0x32a5705f, v93
	v_sub_f32_e32 v99, v99, v108
	v_add_f32_e32 v97, v97, v103
	v_cvt_i32_f32_e32 v106, v106
	v_fmac_f32_e32 v109, 0x32a5705f, v94
	v_sub_f32_e32 v100, v100, v110
	v_add_f32_e32 v99, v99, v107
	v_exp_f32_e32 v97, v97
	v_cvt_i32_f32_e32 v108, v108
	v_add_f32_e32 v100, v100, v109
	v_exp_f32_e32 v99, v99
	v_cvt_i32_f32_e32 v110, v110
	v_exp_f32_e32 v100, v100
	v_sub_f32_e32 v96, v102, v29
	v_mul_f32_e32 v101, 0x3fb8aa3b, v95
	v_ldexp_f32 v97, v97, v106
	v_cmp_ngt_f32_e32 vcc, s14, v92
	v_mul_f32_e32 v102, 0x3fb8aa3b, v96
	v_fma_f32 v111, v95, s13, -v101
	v_rndne_f32_e32 v112, v101
	v_ldexp_f32 v99, v99, v108
	v_cndmask_b32_e32 v97, 0, v97, vcc
	v_cmp_ngt_f32_e32 vcc, s14, v93
	v_fma_f32 v113, v96, s13, -v102
	v_rndne_f32_e32 v114, v102
	v_fmac_f32_e32 v111, 0x32a5705f, v95
	v_sub_f32_e32 v101, v101, v112
	v_ldexp_f32 v100, v100, v110
	v_cndmask_b32_e32 v99, 0, v99, vcc
	v_cmp_ngt_f32_e32 vcc, s14, v94
	v_fmac_f32_e32 v113, 0x32a5705f, v96
	v_add_f32_e32 v101, v101, v111
	v_cndmask_b32_e32 v100, 0, v100, vcc
	v_cmp_nlt_f32_e32 vcc, s15, v92
	v_sub_f32_e32 v92, v102, v114
	v_cvt_i32_f32_e32 v112, v112
	v_exp_f32_e32 v101, v101
	v_add_f32_e32 v92, v92, v113
	v_cndmask_b32_e32 v97, v78, v97, vcc
	v_cmp_nlt_f32_e32 vcc, s15, v93
	v_exp_f32_e32 v92, v92
	v_cvt_i32_f32_e32 v93, v114
	v_cndmask_b32_e32 v99, v78, v99, vcc
	v_cmp_nlt_f32_e32 vcc, s15, v94
	v_ldexp_f32 v101, v101, v112
	v_ldexp_f32 v92, v92, v93
	v_cndmask_b32_e32 v106, v78, v100, vcc
	v_cmp_ngt_f32_e32 vcc, s14, v95
	v_sub_f32_e32 v93, v104, v29
	v_sub_f32_e32 v64, v64, v29
	v_cndmask_b32_e32 v94, 0, v101, vcc
	v_cmp_nlt_f32_e32 vcc, s15, v95
	s_waitcnt lgkmcnt(0)
	s_barrier
	v_cndmask_b32_e32 v107, v78, v94, vcc
	v_mul_f32_e32 v94, 0x3fb8aa3b, v93
	v_fma_f32 v95, v93, s13, -v94
	v_rndne_f32_e32 v100, v94
	v_fmac_f32_e32 v95, 0x32a5705f, v93
	v_sub_f32_e32 v94, v94, v100
	v_add_f32_e32 v94, v94, v95
	v_exp_f32_e32 v94, v94
	v_cvt_i32_f32_e32 v95, v100
	v_cmp_ngt_f32_e32 vcc, s14, v96
	s_nop 1
	v_cndmask_b32_e32 v92, 0, v92, vcc
	v_cmp_nlt_f32_e32 vcc, s15, v96
	s_nop 1
	v_cndmask_b32_e32 v104, v78, v92, vcc
	v_ldexp_f32 v92, v94, v95
	v_sub_f32_e32 v94, v98, v29
	v_mul_f32_e32 v95, 0x3fb8aa3b, v94
	v_fma_f32 v96, v94, s13, -v95
	v_rndne_f32_e32 v98, v95
	v_fmac_f32_e32 v96, 0x32a5705f, v94
	v_sub_f32_e32 v95, v95, v98
	v_add_f32_e32 v95, v95, v96
	v_exp_f32_e32 v95, v95
	v_cvt_i32_f32_e32 v96, v98
	v_cmp_ngt_f32_e32 vcc, s14, v93
	s_nop 1
	v_cndmask_b32_e32 v92, 0, v92, vcc
	v_cmp_nlt_f32_e32 vcc, s15, v93
	v_sub_f32_e32 v93, v105, v29
	s_nop 0
	v_cndmask_b32_e32 v108, v78, v92, vcc
	v_ldexp_f32 v92, v95, v96
	v_mul_f32_e32 v95, 0x3fb8aa3b, v93
	v_fma_f32 v96, v93, s13, -v95
	v_rndne_f32_e32 v98, v95
	v_fmac_f32_e32 v96, 0x32a5705f, v93
	v_sub_f32_e32 v95, v95, v98
	v_add_f32_e32 v95, v95, v96
	v_cvt_i32_f32_e32 v96, v98
	v_mul_f32_e32 v98, 0x3fb8aa3b, v64
	v_fma_f32 v100, v64, s13, -v98
	v_rndne_f32_e32 v101, v98
	v_fmac_f32_e32 v100, 0x32a5705f, v64
	v_sub_f32_e32 v98, v98, v101
	v_add_f32_e32 v98, v98, v100
	v_exp_f32_e32 v98, v98
	v_cvt_i32_f32_e32 v100, v101
	v_cmp_ngt_f32_e32 vcc, s14, v94
	v_exp_f32_e32 v95, v95
	v_cvt_pk_f16_f32 v101, v106, v107
	v_cndmask_b32_e32 v92, 0, v92, vcc
	v_cmp_nlt_f32_e32 vcc, s15, v94
	v_ldexp_f32 v94, v98, v100
	v_cvt_pk_f16_f32 v100, v97, v99
	v_cndmask_b32_e32 v105, v78, v92, vcc
	v_cmp_ngt_f32_e32 vcc, s14, v64
	v_ldexp_f32 v92, v95, v96
	v_cvt_pk_f16_f32 v102, v104, v108
	v_cndmask_b32_e32 v94, 0, v94, vcc
	v_cmp_nlt_f32_e32 vcc, s15, v64
	s_nop 1
	v_cndmask_b32_e32 v94, v78, v94, vcc
	v_cmp_le_f32_e32 vcc, s16, v64
	s_nop 1
	v_cndmask_b32_e32 v109, 0, v94, vcc
	v_cvt_f16_f32_e32 v64, v109
	v_cmp_ngt_f32_e32 vcc, s14, v93
	v_mul_u32_u24_e32 v64, 0x10001, v64
	s_nop 0
	v_cndmask_b32_e32 v92, 0, v92, vcc
	v_cmp_nlt_f32_e32 vcc, s15, v93
	v_pk_mul_f16 v61, v61, v64
	v_pk_mul_f16 v54, v54, v64
	v_cndmask_b32_e32 v110, v78, v92, vcc
	v_pk_mul_f16 v92, v60, v64
	v_cvt_f32_f16_e32 v80, v61
	v_cvt_f32_f16_sdwa v81, v61 dst_sel:DWORD dst_unused:UNUSED_PAD src0_sel:WORD_1
	ds_read_u16 v60, v74
	ds_read_u16 v87, v74 offset:32
	ds_read_u16 v84, v74 offset:6656
	;; [unrolled: 1-line block ×7, first 2 shown]
	ds_read_u16 v61, v75
	ds_read_u16 v89, v75 offset:32
	ds_read_u16 v94, v75 offset:64
	;; [unrolled: 1-line block ×4, first 2 shown]
	s_waitcnt lgkmcnt(4)
	v_perm_b32 v61, v61, v60, s17
	ds_read_u16 v60, v73 offset:208
	ds_read_u16 v83, v73
	ds_read_u16 v90, v73 offset:32
	ds_read_u16 v98, v73 offset:240
	;; [unrolled: 1-line block ×6, first 2 shown]
	s_waitcnt lgkmcnt(6)
	v_perm_b32 v60, v60, v83, s17
	v_cvt_f32_f16_e32 v82, v92
	v_cvt_f32_f16_sdwa v83, v92 dst_sel:DWORD dst_unused:UNUSED_PAD src0_sel:WORD_1
	v_cvt_pk_f16_f32 v103, v105, v110
	v_pk_mul_f16 v50, v50, v64
	v_mfma_f32_16x16x16_f16 v[80:83], v[60:61], v[100:101], v[80:83]
	v_cvt_f32_f16_sdwa v85, v54 dst_sel:DWORD dst_unused:UNUSED_PAD src0_sel:WORD_1
	v_cvt_f32_f16_e32 v86, v50
	v_pk_mul_f16 v49, v49, v64
	v_pk_mul_f16 v47, v47, v64
	s_nop 3
	v_cvt_f16_f32_e32 v60, v80
	v_cvt_f16_f32_e32 v61, v81
	;; [unrolled: 1-line block ×4, first 2 shown]
	v_cvt_f32_f16_e32 v80, v60
	ds_read_u16 v60, v75 offset:6656
	ds_read_u16 v92, v75 offset:6688
	;; [unrolled: 1-line block ×7, first 2 shown]
	v_cvt_f32_f16_e32 v81, v61
	s_waitcnt lgkmcnt(6)
	v_perm_b32 v61, v60, v84, s17
	ds_read_u16 v60, v73 offset:6656
	ds_read_u16 v122, v73 offset:6688
	;; [unrolled: 1-line block ×12, first 2 shown]
	s_waitcnt lgkmcnt(6)
	v_perm_b32 v60, v84, v60, s17
	v_cvt_f32_f16_e32 v82, v82
	v_cvt_f32_f16_e32 v83, v83
	;; [unrolled: 1-line block ×3, first 2 shown]
	v_pk_mul_f16 v45, v45, v64
	v_mfma_f32_16x16x16_f16 v[80:83], v[60:61], v[102:103], v[80:83]
	v_perm_b32 v61, v89, v87, s17
	v_perm_b32 v60, v98, v90, s17
	v_cvt_f32_f16_sdwa v87, v50 dst_sel:DWORD dst_unused:UNUSED_PAD src0_sel:WORD_1
	v_cvt_f32_f16_sdwa v89, v49 dst_sel:DWORD dst_unused:UNUSED_PAD src0_sel:WORD_1
	v_pk_mul_f16 v42, v42, v64
	v_mfma_f32_16x16x16_f16 v[84:87], v[60:61], v[100:101], v[84:87]
	v_pk_mul_f16 v40, v40, v64
	v_cmp_lt_i32_e32 vcc, s86, v62
	s_and_b64 vcc, exec, vcc
	s_nop 4
	v_cvt_f16_f32_e32 v50, v84
	v_cvt_f16_f32_e32 v54, v85
	;; [unrolled: 1-line block ×4, first 2 shown]
	v_cvt_f32_f16_e32 v84, v50
	v_cvt_f32_f16_e32 v85, v54
	ds_read_u16 v50, v73 offset:272
	ds_read_u16 v54, v73 offset:304
	;; [unrolled: 1-line block ×3, first 2 shown]
	v_cvt_f32_f16_e32 v87, v61
	v_perm_b32 v61, v92, v88, s17
	v_pk_mul_f16 v92, v48, v64
	v_cvt_f32_f16_e32 v88, v49
	v_perm_b32 v49, v94, v91, s17
	s_waitcnt lgkmcnt(2)
	v_perm_b32 v48, v50, v113, s17
	v_cvt_f32_f16_e32 v90, v92
	v_cvt_f32_f16_sdwa v91, v92 dst_sel:DWORD dst_unused:UNUSED_PAD src0_sel:WORD_1
	v_cvt_f32_f16_e32 v86, v60
	v_perm_b32 v60, v126, v122, s17
	v_mfma_f32_16x16x16_f16 v[88:91], v[48:49], v[100:101], v[88:91]
	ds_read_u16 v50, v74 offset:6720
	ds_read_u16 v92, v74 offset:6752
	;; [unrolled: 1-line block ×3, first 2 shown]
	v_mfma_f32_16x16x16_f16 v[84:87], v[60:61], v[102:103], v[84:87]
	s_nop 3
	v_cvt_f16_f32_e32 v48, v88
	v_cvt_f16_f32_e32 v49, v89
	v_cvt_f16_f32_e32 v60, v90
	v_cvt_f16_f32_e32 v61, v91
	v_cvt_f32_f16_e32 v88, v48
	v_cvt_f32_f16_e32 v89, v49
	s_waitcnt lgkmcnt(2)
	v_perm_b32 v49, v117, v50, s17
	v_perm_b32 v48, v127, v123, s17
	v_cvt_f32_f16_e32 v90, v60
	v_cvt_f32_f16_e32 v91, v61
	v_pk_mul_f16 v50, v46, v64
	v_perm_b32 v61, v96, v93, s17
	v_perm_b32 v60, v54, v114, s17
	v_mfma_f32_16x16x16_f16 v[88:91], v[48:49], v[102:103], v[88:91]
	v_cvt_f32_f16_e32 v46, v47
	v_cvt_f32_f16_sdwa v47, v47 dst_sel:DWORD dst_unused:UNUSED_PAD src0_sel:WORD_1
	v_cvt_f32_f16_e32 v48, v50
	v_cvt_f32_f16_sdwa v49, v50 dst_sel:DWORD dst_unused:UNUSED_PAD src0_sel:WORD_1
	ds_read_u16 v50, v75 offset:128
	v_pk_mul_f16 v54, v44, v64
	v_mfma_f32_16x16x16_f16 v[46:49], v[60:61], v[100:101], v[46:49]
	s_waitcnt lgkmcnt(2)
	v_perm_b32 v61, v118, v92, s17
	v_cvt_f32_f16_e32 v92, v45
	v_cvt_f32_f16_sdwa v93, v45 dst_sel:DWORD dst_unused:UNUSED_PAD src0_sel:WORD_1
	s_waitcnt lgkmcnt(0)
	v_perm_b32 v45, v50, v95, s17
	v_perm_b32 v44, v98, v115, s17
	v_cvt_f32_f16_e32 v94, v54
	v_cvt_f32_f16_sdwa v95, v54 dst_sel:DWORD dst_unused:UNUSED_PAD src0_sel:WORD_1
	v_cvt_f16_f32_e32 v46, v46
	v_cvt_f16_f32_e32 v47, v47
	;; [unrolled: 1-line block ×4, first 2 shown]
	v_perm_b32 v60, v128, v124, s17
	v_mfma_f32_16x16x16_f16 v[92:95], v[44:45], v[100:101], v[92:95]
	v_cvt_f32_f16_e32 v46, v46
	v_cvt_f32_f16_e32 v47, v47
	;; [unrolled: 1-line block ×4, first 2 shown]
	ds_read_u16 v50, v73 offset:6784
	s_nop 2
	v_cvt_f16_f32_e32 v44, v92
	v_cvt_f16_f32_e32 v45, v93
	v_mfma_f32_16x16x16_f16 v[46:49], v[60:61], v[102:103], v[46:49]
	v_cvt_f16_f32_e32 v60, v94
	v_cvt_f16_f32_e32 v61, v95
	v_cvt_f32_f16_e32 v92, v44
	v_cvt_f32_f16_e32 v93, v45
	v_perm_b32 v45, v119, v113, s17
	s_waitcnt lgkmcnt(0)
	v_perm_b32 v44, v129, v50, s17
	v_cvt_f32_f16_e32 v94, v60
	v_cvt_f32_f16_e32 v95, v61
	v_add_f32_e32 v54, v97, v99
	v_cvt_f32_f16_e32 v96, v42
	v_mfma_f32_16x16x16_f16 v[92:95], v[44:45], v[102:103], v[92:95]
	v_perm_b32 v45, v121, v111, s17
	v_perm_b32 v44, v125, v116, s17
	v_cvt_f32_f16_sdwa v97, v42 dst_sel:DWORD dst_unused:UNUSED_PAD src0_sel:WORD_1
	v_cvt_f32_f16_e32 v98, v40
	v_cvt_f32_f16_sdwa v99, v40 dst_sel:DWORD dst_unused:UNUSED_PAD src0_sel:WORD_1
	v_add_f32_e32 v50, v106, v54
	v_add_f32_e32 v40, v107, v50
	v_mfma_f32_16x16x16_f16 v[96:99], v[44:45], v[100:101], v[96:99]
	v_add_f32_e32 v40, v104, v40
	v_add_f32_e32 v40, v108, v40
	;; [unrolled: 1-line block ×4, first 2 shown]
	s_nop 3
	v_cvt_f16_f32_e32 v44, v97
	v_cvt_f16_f32_e32 v45, v98
	;; [unrolled: 1-line block ×4, first 2 shown]
	v_cvt_f32_f16_e32 v97, v44
	v_cvt_f32_f16_e32 v98, v45
	v_perm_b32 v45, v120, v112, s17
	v_perm_b32 v44, v130, v131, s17
	v_cvt_f32_f16_e32 v96, v42
	v_cvt_f32_f16_e32 v99, v50
	v_fmac_f32_e32 v64, v79, v109
	v_cvt_pk_f16_f32 v47, v46, v47
	v_mfma_f32_16x16x16_f16 v[96:99], v[44:45], v[102:103], v[96:99]
	v_cvt_pk_f16_f32 v46, v48, v49
	v_cvt_pk_f16_f32 v49, v88, v89
	v_cvt_pk_f16_f32 v48, v90, v91
	v_cvt_pk_f16_f32 v54, v84, v85
	v_cvt_pk_f16_f32 v50, v86, v87
	v_cvt_pk_f16_f32 v61, v80, v81
	v_cvt_pk_f16_f32 v60, v82, v83
	v_cvt_pk_f16_f32 v45, v92, v93
	v_cvt_pk_f16_f32 v44, v94, v95
	v_cvt_pk_f16_f32 v42, v96, v97
	v_cvt_pk_f16_f32 v40, v98, v99
	s_barrier
	s_cbranch_vccz .LBB14_248
; %bb.244:                              ;   in Loop: Header=BB14_243 Depth=1
	v_mov_b32_e32 v79, v64
	v_mov_b32_e32 v64, v29
	s_ashr_i32 s7, s6, 31
	s_and_saveexec_b64 s[8:9], s[0:1]
	s_cbranch_execnz .LBB14_242
	s_branch .LBB14_243
.LBB14_245:
                                        ; implicit-def: $sgpr56_sgpr57
	s_load_dwordx2 s[54:55], s[0:1], 0x74
	v_cvt_f32_u32_e32 v1, s35
	s_branch .LBB14_2
.LBB14_246:
                                        ; implicit-def: $sgpr60_sgpr61
	s_load_dwordx2 s[44:45], s[0:1], 0x5c
	s_branch .LBB14_5
.LBB14_247:
	v_mov_b32_e32 v29, 0xfeffffff
	v_mov_b32_e32 v64, 0
	;; [unrolled: 1-line block ×14, first 2 shown]
.LBB14_248:
	s_lshl_b32 s0, s86, 6
	s_ashr_i32 s1, s0, 31
	v_cmp_gt_u32_e32 vcc, 4, v55
	s_and_saveexec_b64 s[6:7], vcc
	s_cbranch_execz .LBB14_250
; %bb.249:
	v_or_b32_e32 v13, s10, v55
	v_mul_hi_u32 v15, s44, v13
	v_add_u32_e32 v15, v13, v15
	v_lshrrev_b32_e32 v15, s45, v15
	s_lshl_b64 s[8:9], s[0:1], 1
	v_mul_lo_u32 v15, v15, s36
	s_add_u32 s4, s4, s8
	v_sub_u32_e32 v13, v13, v15
	s_addc_u32 s5, s5, s9
	v_lshlrev_b32_e32 v15, 2, v36
	v_mad_i64_i32 v[18:19], s[8:9], v13, s46, 0
	v_and_b32_e32 v16, 0x7c, v15
	v_lshl_add_u64 v[18:19], v[18:19], 1, s[4:5]
	v_mov_b32_e32 v17, 0
	v_lshl_add_u64 v[18:19], v[18:19], 0, v[16:17]
	global_load_dword v13, v[18:19], off
	v_mul_u32_u24_e32 v15, 0x90, v55
	v_add3_u32 v15, 0, v15, v16
	s_waitcnt vmcnt(0)
	ds_write_b32 v15, v13 offset:13312
.LBB14_250:
	s_or_b64 exec, exec, s[6:7]
	s_mul_hi_i32 s5, s0, s38
	s_mul_i32 s4, s0, s38
	s_lshl_b64 s[4:5], s[4:5], 2
	v_add_u32_e32 v13, v41, v56
	s_add_u32 s4, s11, s4
	v_mul_lo_u32 v16, s38, v13
	s_addc_u32 s5, s12, s5
	v_ashrrev_i32_e32 v17, 31, v16
	v_lshlrev_b32_e32 v15, 4, v36
	v_lshl_add_u64 v[16:17], v[16:17], 2, s[4:5]
	v_and_b32_e32 v18, 48, v15
	v_mov_b32_e32 v19, 0
	v_lshl_add_u64 v[62:63], v[16:17], 0, v[18:19]
	v_and_b32_e32 v16, 0x70, v15
	v_ashrrev_i32_e32 v15, 31, v14
	v_lshl_add_u64 v[20:21], v[14:15], 2, s[4:5]
	v_lshl_add_u32 v14, s38, 5, v14
	v_ashrrev_i32_e32 v15, 31, v14
	v_mov_b32_e32 v17, v19
	v_lshl_add_u64 v[14:15], v[14:15], 2, s[4:5]
	v_lshl_add_u64 v[70:71], v[20:21], 0, v[16:17]
	;; [unrolled: 1-line block ×3, first 2 shown]
	global_load_dwordx4 v[20:23], v[62:63], off offset:128
	global_load_dwordx4 v[24:27], v[70:71], off
	global_load_dwordx4 v[66:69], v[14:15], off
	v_and_b32_e32 v15, 16, v41
	v_mul_u32_u24_e32 v14, 0xd0, v59
	v_add_u32_e32 v28, 0, v58
	v_mul_u32_u24_e32 v55, 0xd0, v13
	v_mul_u32_u24_e32 v58, 0xd0, v15
	v_add3_u32 v55, 0, v55, v18
	v_add3_u32 v62, 0, v14, v16
	;; [unrolled: 1-line block ×3, first 2 shown]
	v_add_u32_e32 v28, 0x1800, v14
	v_and_b32_e32 v63, 0xfc, v56
	v_lshrrev_b32_e32 v70, 3, v57
	s_movk_i32 s1, 0x90
	v_add_u32_e32 v74, v63, v15
	v_add_u16_e32 v15, v63, v15
	v_mbcnt_hi_u32_b32 v65, -1, v65
	v_lshrrev_b16_e32 v15, 1, v15
	s_movk_i32 s4, 0x3400
	v_lshlrev_b32_e32 v15, 2, v15
	v_xor_b32_e32 v63, 32, v65
	s_mov_b32 s5, 0x3fb8aa3b
	s_mul_hi_i32 s7, s0, s34
	s_mul_i32 s6, s0, s34
	s_lshl_b64 s[6:7], s[6:7], 2
	s_add_u32 s2, s2, s6
	s_addc_u32 s3, s3, s7
	s_mov_b32 s0, 0xc1a00000
	s_waitcnt vmcnt(2)
	ds_write_b128 v55, v[20:23] offset:128
	s_waitcnt vmcnt(1)
	ds_write_b128 v62, v[24:27]
	s_waitcnt vmcnt(0)
	ds_write_b128 v62, v[66:69] offset:6656
	s_waitcnt lgkmcnt(0)
	s_barrier
	ds_read2_b64 v[20:23], v14 offset1:4
	ds_read2_b64 v[24:27], v28 offset0:64 offset1:68
	s_waitcnt lgkmcnt(1)
	v_mfma_f32_16x16x16_f16 v[56:59], v[20:21], v[8:9], 0
	s_waitcnt lgkmcnt(0)
	v_mfma_f32_16x16x16_f16 v[66:69], v[24:25], v[8:9], 0
	v_mad_u32_u24 v24, v70, s1, 0
	ds_read2_b64 v[70:73], v14 offset0:8 offset1:12
	v_and_b32_e32 v25, 64, v65
	v_mfma_f32_16x16x16_f16 v[20:23], v[22:23], v[10:11], v[56:59]
	v_add3_u32 v15, v24, v15, s4
	s_mov_b32 s1, 0xc2ce8ed0
	s_mov_b32 s4, 0x42b17218
	ds_read2_b64 v[56:59], v28 offset0:72 offset1:76
	v_mfma_f32_16x16x16_f16 v[8:11], v[26:27], v[10:11], v[66:69]
	v_lshl_add_u32 v26, v74, 1, v24
	v_add_u32_e32 v74, 64, v25
	v_add_u32_e32 v75, 0x3400, v26
	s_waitcnt lgkmcnt(1)
	v_mfma_f32_16x16x16_f16 v[20:23], v[70:71], v[4:5], v[20:23]
	ds_read2_b64 v[24:27], v14 offset0:16 offset1:20
	ds_read2_b64 v[66:69], v28 offset0:80 offset1:84
	v_cmp_lt_i32_e32 vcc, v63, v74
	s_waitcnt lgkmcnt(0)
	v_mfma_f32_16x16x16_f16 v[8:11], v[56:57], v[4:5], v[8:11]
	s_barrier
	ds_read2_b32 v[14:15], v15 offset1:1
	v_mfma_f32_16x16x16_f16 v[70:73], v[72:73], v[6:7], v[20:23]
	v_mfma_f32_16x16x16_f16 v[4:7], v[58:59], v[6:7], v[8:11]
	s_nop 1
	ds_read2_b32 v[22:23], v75 offset0:16 offset1:17
	s_waitcnt lgkmcnt(1)
	v_cvt_f32_f16_e32 v21, v14
	v_cvt_f32_f16_sdwa v14, v14 dst_sel:DWORD dst_unused:UNUSED_PAD src0_sel:WORD_1
	v_cndmask_b32_e32 v8, v65, v63, vcc
	v_lshlrev_b32_e32 v20, 2, v8
	v_mfma_f32_16x16x16_f16 v[8:11], v[24:25], v[0:1], v[70:73]
	v_cvt_f32_f16_e32 v24, v15
	v_cvt_f32_f16_sdwa v15, v15 dst_sel:DWORD dst_unused:UNUSED_PAD src0_sel:WORD_1
	s_waitcnt lgkmcnt(0)
	v_cvt_f32_f16_e32 v25, v22
	v_mfma_f32_16x16x16_f16 v[4:7], v[66:67], v[0:1], v[4:7]
	v_cvt_f32_f16_sdwa v22, v22 dst_sel:DWORD dst_unused:UNUSED_PAD src0_sel:WORD_1
	v_mfma_f32_16x16x16_f16 v[8:11], v[26:27], v[2:3], v[8:11]
	v_cvt_f32_f16_e32 v26, v23
	v_cvt_f32_f16_sdwa v23, v23 dst_sel:DWORD dst_unused:UNUSED_PAD src0_sel:WORD_1
	v_mov_b32_e32 v27, 0x7f800000
	v_mfma_f32_16x16x16_f16 v[0:3], v[68:69], v[2:3], v[4:7]
	s_nop 3
	v_add_f32_e32 v4, v8, v21
	v_add_f32_e32 v5, v9, v14
	;; [unrolled: 1-line block ×12, first 2 shown]
	v_max3_f32 v1, v29, v1, v2
	v_add_f32_e32 v9, 0x40051340, v0
	v_add_f32_e32 v10, 0x40051340, v22
	v_max3_f32 v1, v1, v3, v8
	v_add_f32_e32 v11, 0x40051340, v26
	v_add_f32_e32 v14, 0x40051340, v23
	v_max3_f32 v1, v1, v9, v10
	v_max3_f32 v1, v1, v11, v14
	ds_bpermute_b32 v2, v20, v1
	v_xor_b32_e32 v3, 16, v65
	v_cmp_lt_i32_e32 vcc, v3, v74
	s_waitcnt lgkmcnt(0)
	v_max_f32_e32 v2, v2, v2
	v_cndmask_b32_e32 v3, v65, v3, vcc
	v_lshlrev_b32_e32 v25, 2, v3
	v_max_f32_e32 v1, v1, v2
	ds_bpermute_b32 v2, v25, v1
	s_waitcnt lgkmcnt(0)
	v_max_f32_e32 v2, v2, v2
	v_max_f32_e32 v24, v1, v2
	v_sub_f32_e32 v1, v4, v24
	v_mul_f32_e32 v4, 0x3fb8aa3b, v1
	v_sub_f32_e32 v3, v6, v24
	v_fma_f32 v6, v1, s5, -v4
	v_rndne_f32_e32 v8, v4
	v_fmac_f32_e32 v6, 0x32a5705f, v1
	v_sub_f32_e32 v4, v4, v8
	v_add_f32_e32 v4, v4, v6
	v_cvt_i32_f32_e32 v8, v8
	v_exp_f32_e32 v4, v4
	v_sub_f32_e32 v2, v5, v24
	v_mul_f32_e32 v5, 0x3fb8aa3b, v2
	v_fma_f32 v9, v2, s5, -v5
	v_rndne_f32_e32 v10, v5
	v_fmac_f32_e32 v9, 0x32a5705f, v2
	v_sub_f32_e32 v5, v5, v10
	v_mul_f32_e32 v6, 0x3fb8aa3b, v3
	v_ldexp_f32 v4, v4, v8
	v_cmp_ngt_f32_e32 vcc, s1, v1
	v_add_f32_e32 v5, v5, v9
	v_fma_f32 v9, v3, s5, -v6
	v_cndmask_b32_e32 v4, 0, v4, vcc
	v_cmp_nlt_f32_e32 vcc, s4, v1
	v_rndne_f32_e32 v1, v6
	v_cvt_i32_f32_e32 v10, v10
	v_exp_f32_e32 v5, v5
	v_cndmask_b32_e32 v14, v27, v4, vcc
	v_fmac_f32_e32 v9, 0x32a5705f, v3
	v_sub_f32_e32 v4, v6, v1
	v_add_f32_e32 v4, v4, v9
	v_exp_f32_e32 v4, v4
	v_cvt_i32_f32_e32 v1, v1
	v_ldexp_f32 v5, v5, v10
	v_cmp_ngt_f32_e32 vcc, s1, v2
	v_sub_f32_e32 v28, v7, v24
	v_ldexp_f32 v1, v4, v1
	v_cndmask_b32_e32 v5, 0, v5, vcc
	v_cmp_nlt_f32_e32 vcc, s4, v2
	v_mul_f32_e32 v2, 0x3fb8aa3b, v28
	v_fma_f32 v4, v28, s5, -v2
	v_cndmask_b32_e32 v15, v27, v5, vcc
	v_rndne_f32_e32 v5, v2
	v_fmac_f32_e32 v4, 0x32a5705f, v28
	v_sub_f32_e32 v2, v2, v5
	v_add_f32_e32 v2, v2, v4
	v_exp_f32_e32 v2, v2
	v_cvt_i32_f32_e32 v4, v5
	v_cmp_ngt_f32_e32 vcc, s1, v3
	v_sub_f32_e32 v57, v0, v24
	v_mul_f32_e32 v0, 0x3fb8aa3b, v57
	v_cndmask_b32_e32 v1, 0, v1, vcc
	v_cmp_nlt_f32_e32 vcc, s4, v3
	v_ldexp_f32 v56, v2, v4
	v_rndne_f32_e32 v2, v0
	v_cndmask_b32_e32 v21, v27, v1, vcc
	v_fma_f32 v1, v57, s5, -v0
	v_fmac_f32_e32 v1, 0x32a5705f, v57
	v_sub_f32_e32 v0, v0, v2
	v_add_f32_e32 v0, v0, v1
	v_exp_f32_e32 v58, v0
	v_mul_lo_u32 v0, s34, v13
	v_ashrrev_i32_e32 v1, 31, v0
	v_ashrrev_i32_e32 v13, 31, v12
	v_lshl_add_u32 v8, s34, 5, v12
	v_lshl_add_u64 v[0:1], v[0:1], 2, s[2:3]
	v_ashrrev_i32_e32 v9, 31, v8
	v_lshl_add_u64 v[10:11], v[0:1], 0, v[18:19]
	v_lshl_add_u64 v[0:1], v[12:13], 2, s[2:3]
	v_cvt_i32_f32_e32 v59, v2
	v_lshl_add_u64 v[12:13], v[0:1], 0, v[16:17]
	global_load_dwordx4 v[0:3], v[10:11], off offset:128
	global_load_dwordx4 v[4:7], v[12:13], off
	v_lshl_add_u64 v[8:9], v[8:9], 2, s[2:3]
	v_lshl_add_u64 v[8:9], v[8:9], 0, v[16:17]
	global_load_dwordx4 v[8:11], v[8:9], off
	v_sub_f32_e32 v13, v22, v24
	v_mul_f32_e32 v16, 0x3fb8aa3b, v13
	v_fma_f32 v17, v13, s5, -v16
	v_rndne_f32_e32 v18, v16
	v_fmac_f32_e32 v17, 0x32a5705f, v13
	v_sub_f32_e32 v16, v16, v18
	v_add_f32_e32 v16, v16, v17
	v_cmp_ngt_f32_e32 vcc, s1, v28
	v_exp_f32_e32 v16, v16
	v_cvt_i32_f32_e32 v17, v18
	v_cndmask_b32_e32 v12, 0, v56, vcc
	v_cmp_nlt_f32_e32 vcc, s4, v28
	s_waitcnt vmcnt(2)
	ds_write_b128 v55, v[0:3] offset:128
	s_waitcnt vmcnt(1)
	ds_write_b128 v62, v[4:7]
	s_waitcnt vmcnt(0)
	ds_write_b128 v62, v[8:11] offset:6656
	v_cndmask_b32_e32 v28, v27, v12, vcc
	v_ldexp_f32 v12, v58, v59
	v_cmp_ngt_f32_e32 vcc, s1, v57
	s_waitcnt lgkmcnt(0)
	s_barrier
	v_cndmask_b32_e32 v12, 0, v12, vcc
	v_cmp_nlt_f32_e32 vcc, s4, v57
	s_movk_i32 s2, 0xd0
	s_nop 0
	v_cndmask_b32_e32 v56, v27, v12, vcc
	v_ldexp_f32 v12, v16, v17
	v_sub_f32_e32 v16, v26, v24
	v_mul_f32_e32 v17, 0x3fb8aa3b, v16
	v_fma_f32 v18, v16, s5, -v17
	v_rndne_f32_e32 v19, v17
	v_fmac_f32_e32 v18, 0x32a5705f, v16
	v_sub_f32_e32 v17, v17, v19
	v_add_f32_e32 v17, v17, v18
	v_exp_f32_e32 v17, v17
	v_cvt_i32_f32_e32 v18, v19
	v_cmp_ngt_f32_e32 vcc, s1, v13
	s_nop 1
	v_cndmask_b32_e32 v12, 0, v12, vcc
	v_cmp_nlt_f32_e32 vcc, s4, v13
	v_sub_f32_e32 v13, v23, v24
	s_nop 0
	v_cndmask_b32_e32 v57, v27, v12, vcc
	v_ldexp_f32 v12, v17, v18
	v_mul_f32_e32 v17, 0x3fb8aa3b, v13
	v_fma_f32 v18, v13, s5, -v17
	v_rndne_f32_e32 v19, v17
	v_fmac_f32_e32 v18, 0x32a5705f, v13
	v_sub_f32_e32 v17, v17, v19
	v_add_f32_e32 v17, v17, v18
	v_cvt_i32_f32_e32 v18, v19
	v_sub_f32_e32 v19, v29, v24
	v_mul_f32_e32 v22, 0x3fb8aa3b, v19
	v_fma_f32 v23, v19, s5, -v22
	v_rndne_f32_e32 v26, v22
	v_fmac_f32_e32 v23, 0x32a5705f, v19
	v_sub_f32_e32 v22, v22, v26
	v_add_f32_e32 v22, v22, v23
	v_exp_f32_e32 v22, v22
	v_cvt_i32_f32_e32 v23, v26
	v_cmp_ngt_f32_e32 vcc, s1, v16
	v_exp_f32_e32 v17, v17
	s_nop 0
	v_cndmask_b32_e32 v12, 0, v12, vcc
	v_cmp_nlt_f32_e32 vcc, s4, v16
	v_ldexp_f32 v16, v22, v23
	v_cvt_pk_f16_f32 v23, v21, v28
	v_cndmask_b32_e32 v58, v27, v12, vcc
	v_cmp_ngt_f32_e32 vcc, s1, v19
	v_ldexp_f32 v12, v17, v18
	v_or_b32_e32 v17, 2, v53
	v_cndmask_b32_e32 v16, 0, v16, vcc
	v_cmp_nlt_f32_e32 vcc, s4, v19
	v_mul_u32_u24_e32 v17, 0xd0, v17
	v_or_b32_e32 v18, 3, v53
	v_cndmask_b32_e32 v16, v27, v16, vcc
	v_cmp_le_f32_e32 vcc, s0, v19
	s_movk_i32 s0, 0x1a0
	v_mad_u32_u24 v0, v52, s0, 0
	v_cndmask_b32_e32 v59, 0, v16, vcc
	v_cvt_f16_f32_e32 v16, v59
	v_cmp_ngt_f32_e32 vcc, s1, v13
	v_mul_u32_u24_e32 v18, 0xd0, v18
	s_mov_b32 s0, 0x5040100
	v_mul_u32_u24_e32 v29, 0x10001, v16
	v_and_b32_e32 v16, 0xfc, v53
	v_cndmask_b32_e32 v12, 0, v12, vcc
	v_cmp_nlt_f32_e32 vcc, s4, v13
	v_mul_u32_u24_e32 v16, 0xd0, v16
	v_add3_u32 v26, v0, v16, v51
	v_cndmask_b32_e32 v63, v27, v12, vcc
	v_pk_mul_f16 v12, v61, v29
	v_add3_u32 v16, v0, v17, v51
	v_pk_mul_f16 v13, v60, v29
	v_add3_u32 v27, v0, v18, v51
	v_cvt_f32_f16_e32 v0, v12
	v_cvt_f32_f16_sdwa v1, v12 dst_sel:DWORD dst_unused:UNUSED_PAD src0_sel:WORD_1
	ds_read_u16 v3, v16
	ds_read_u16 v7, v16 offset:32
	ds_read_u16 v6, v16 offset:6656
	;; [unrolled: 1-line block ×7, first 2 shown]
	ds_read_u16 v4, v27
	ds_read_u16 v8, v27 offset:32
	ds_read_u16 v12, v27 offset:64
	;; [unrolled: 1-line block ×4, first 2 shown]
	s_waitcnt lgkmcnt(4)
	v_perm_b32 v5, v4, v3, s0
	ds_read_u16 v3, v26 offset:208
	ds_read_u16 v4, v26
	ds_read_u16 v17, v26 offset:32
	ds_read_u16 v18, v26 offset:240
	;; [unrolled: 1-line block ×6, first 2 shown]
	s_waitcnt lgkmcnt(6)
	v_perm_b32 v4, v3, v4, s0
	v_cvt_f32_f16_e32 v2, v13
	v_cvt_f32_f16_sdwa v3, v13 dst_sel:DWORD dst_unused:UNUSED_PAD src0_sel:WORD_1
	v_cvt_pk_f16_f32 v22, v14, v15
	v_pk_mul_f16 v9, v54, v29
	v_pk_mul_f16 v81, v50, v29
	v_mfma_f32_16x16x16_f16 v[0:3], v[4:5], v[22:23], v[0:3]
	ds_read_u16 v4, v27 offset:6656
	ds_read_u16 v13, v27 offset:6688
	;; [unrolled: 1-line block ×7, first 2 shown]
	s_waitcnt lgkmcnt(6)
	v_perm_b32 v5, v4, v6, s0
	ds_read_u16 v4, v26 offset:6656
	ds_read_u16 v71, v26 offset:6688
	;; [unrolled: 1-line block ×12, first 2 shown]
	v_cvt_f16_f32_e32 v0, v0
	v_cvt_f16_f32_e32 v1, v1
	;; [unrolled: 1-line block ×4, first 2 shown]
	s_waitcnt lgkmcnt(6)
	v_perm_b32 v4, v6, v4, s0
	v_cvt_f32_f16_e32 v0, v0
	v_cvt_f32_f16_e32 v1, v1
	;; [unrolled: 1-line block ×4, first 2 shown]
	v_cvt_pk_f16_f32 v51, v58, v63
	v_cvt_pk_f16_f32 v50, v56, v57
	v_cvt_f32_f16_e32 v6, v81
	v_pk_mul_f16 v46, v46, v29
	v_mfma_f32_16x16x16_f16 v[0:3], v[4:5], v[50:51], v[0:3]
	v_cvt_f32_f16_e32 v4, v9
	v_cvt_f32_f16_sdwa v5, v9 dst_sel:DWORD dst_unused:UNUSED_PAD src0_sel:WORD_1
	v_perm_b32 v9, v8, v7, s0
	v_perm_b32 v8, v18, v17, s0
	v_cvt_f32_f16_sdwa v7, v81 dst_sel:DWORD dst_unused:UNUSED_PAD src0_sel:WORD_1
	v_pk_mul_f16 v18, v48, v29
	v_pk_mul_f16 v44, v44, v29
	v_mfma_f32_16x16x16_f16 v[4:7], v[8:9], v[22:23], v[4:7]
	v_perm_b32 v9, v13, v10, s0
	s_waitcnt lgkmcnt(5)
	v_perm_b32 v8, v75, v71, s0
	ds_read_u16 v17, v26 offset:272
	ds_read_u16 v71, v26 offset:304
	;; [unrolled: 1-line block ×3, first 2 shown]
	s_nop 1
	v_cvt_f16_f32_e32 v4, v4
	v_cvt_f16_f32_e32 v5, v5
	;; [unrolled: 1-line block ×4, first 2 shown]
	v_cvt_f32_f16_e32 v4, v4
	v_cvt_f32_f16_e32 v5, v5
	;; [unrolled: 1-line block ×4, first 2 shown]
	v_pk_mul_f16 v10, v49, v29
	v_perm_b32 v13, v12, v11, s0
	s_waitcnt lgkmcnt(2)
	v_perm_b32 v12, v17, v61, s0
	v_mfma_f32_16x16x16_f16 v[4:7], v[8:9], v[50:51], v[4:7]
	v_cvt_f32_f16_e32 v8, v10
	v_cvt_f32_f16_sdwa v9, v10 dst_sel:DWORD dst_unused:UNUSED_PAD src0_sel:WORD_1
	v_cvt_f32_f16_e32 v10, v18
	v_cvt_f32_f16_sdwa v11, v18 dst_sel:DWORD dst_unused:UNUSED_PAD src0_sel:WORD_1
	ds_read_u16 v17, v16 offset:6720
	ds_read_u16 v48, v16 offset:6752
	;; [unrolled: 1-line block ×3, first 2 shown]
	v_mfma_f32_16x16x16_f16 v[8:11], v[12:13], v[22:23], v[8:11]
	s_waitcnt lgkmcnt(2)
	v_perm_b32 v13, v54, v17, s0
	v_perm_b32 v12, v76, v72, s0
	v_pk_mul_f16 v17, v47, v29
	s_nop 3
	v_cvt_f16_f32_e32 v8, v8
	v_cvt_f16_f32_e32 v9, v9
	v_cvt_f16_f32_e32 v10, v10
	v_cvt_f16_f32_e32 v11, v11
	v_cvt_f32_f16_e32 v8, v8
	v_cvt_f32_f16_e32 v9, v9
	;; [unrolled: 1-line block ×5, first 2 shown]
	v_cvt_f32_f16_sdwa v17, v17 dst_sel:DWORD dst_unused:UNUSED_PAD src0_sel:WORD_1
	v_mfma_f32_16x16x16_f16 v[8:11], v[12:13], v[50:51], v[8:11]
	v_perm_b32 v13, v55, v19, s0
	v_perm_b32 v12, v71, v62, s0
	v_cvt_f32_f16_e32 v18, v46
	v_cvt_f32_f16_sdwa v19, v46 dst_sel:DWORD dst_unused:UNUSED_PAD src0_sel:WORD_1
	ds_read_u16 v27, v27 offset:128
	ds_read_u16 v46, v26 offset:6784
	v_mfma_f32_16x16x16_f16 v[16:19], v[12:13], v[22:23], v[16:19]
	v_pk_mul_f16 v26, v45, v29
	v_add_f32_e32 v47, v14, v15
	s_waitcnt lgkmcnt(1)
	v_perm_b32 v27, v27, v52, s0
	s_nop 3
	v_cvt_f16_f32_e32 v12, v16
	v_cvt_f16_f32_e32 v13, v17
	;; [unrolled: 1-line block ×4, first 2 shown]
	v_cvt_f32_f16_e32 v16, v12
	v_cvt_f32_f16_e32 v17, v13
	v_perm_b32 v13, v67, v48, s0
	v_perm_b32 v12, v77, v73, s0
	v_cvt_f32_f16_e32 v18, v18
	v_cvt_f32_f16_e32 v19, v19
	v_add_f32_e32 v21, v21, v47
	v_add_f32_e32 v21, v28, v21
	v_mfma_f32_16x16x16_f16 v[12:15], v[12:13], v[50:51], v[16:19]
	v_pk_mul_f16 v28, v42, v29
	v_pk_mul_f16 v29, v40, v29
	s_nop 0
	v_cvt_f32_f16_e32 v16, v26
	v_cvt_f32_f16_sdwa v17, v26 dst_sel:DWORD dst_unused:UNUSED_PAD src0_sel:WORD_1
	v_perm_b32 v26, v75, v65, s0
	v_cvt_f32_f16_e32 v18, v44
	v_cvt_f32_f16_sdwa v19, v44 dst_sel:DWORD dst_unused:UNUSED_PAD src0_sel:WORD_1
	v_perm_b32 v45, v70, v53, s0
	v_perm_b32 v44, v74, v66, s0
	v_mfma_f32_16x16x16_f16 v[16:19], v[26:27], v[22:23], v[16:19]
	v_perm_b32 v27, v68, v49, s0
	s_waitcnt lgkmcnt(0)
	v_perm_b32 v26, v78, v46, s0
	v_add_f32_e32 v21, v56, v21
	v_add_f32_e32 v21, v57, v21
	s_nop 2
	v_cvt_f16_f32_e32 v16, v16
	v_cvt_f16_f32_e32 v17, v17
	;; [unrolled: 1-line block ×4, first 2 shown]
	v_cvt_f32_f16_e32 v16, v16
	v_cvt_f32_f16_e32 v17, v17
	;; [unrolled: 1-line block ×4, first 2 shown]
	v_add_f32_e32 v21, v58, v21
	v_add_f32_e32 v40, v63, v21
	v_mfma_f32_16x16x16_f16 v[16:19], v[26:27], v[50:51], v[16:19]
	v_cvt_f32_f16_e32 v26, v28
	v_cvt_f32_f16_sdwa v27, v28 dst_sel:DWORD dst_unused:UNUSED_PAD src0_sel:WORD_1
	v_cvt_f32_f16_e32 v28, v29
	v_cvt_f32_f16_sdwa v29, v29 dst_sel:DWORD dst_unused:UNUSED_PAD src0_sel:WORD_1
	v_fmac_f32_e32 v40, v64, v59
	ds_bpermute_b32 v42, v20, v40
	v_mfma_f32_16x16x16_f16 v[26:29], v[44:45], v[22:23], v[26:29]
	s_waitcnt lgkmcnt(0)
	s_barrier
	s_nop 5
	v_cvt_f16_f32_e32 v22, v27
	v_cvt_f16_f32_e32 v23, v28
	;; [unrolled: 1-line block ×4, first 2 shown]
	v_cvt_f32_f16_e32 v27, v22
	v_cvt_f32_f16_e32 v28, v23
	v_perm_b32 v23, v69, v60, s0
	v_perm_b32 v22, v79, v80, s0
	v_cvt_f32_f16_e32 v26, v21
	v_cvt_f32_f16_e32 v29, v29
	v_cmp_gt_u32_e64 s[0:1], 16, v36
	s_nop 0
	v_mfma_f32_16x16x16_f16 v[20:23], v[22:23], v[50:51], v[26:29]
	s_nop 2
	v_add_f32_e32 v26, v40, v42
	ds_bpermute_b32 v27, v25, v26
	s_and_saveexec_b64 s[4:5], s[0:1]
	s_cbranch_execz .LBB14_252
; %bb.251:
	s_waitcnt lgkmcnt(0)
	v_add_f32_e32 v26, v26, v27
	v_or_b32_e32 v27, v41, v36
	v_mad_u32_u24 v27, v27, s2, 0
	ds_write2_b32 v27, v24, v26 offset0:48 offset1:49
.LBB14_252:
	s_or_b64 exec, exec, s[4:5]
	v_and_b32_e32 v24, 1, v37
	v_cmp_eq_u32_e32 vcc, 0, v24
	v_cmp_eq_u32_e64 s[4:5], 1, v24
	s_waitcnt lgkmcnt(0)
	s_barrier
	s_and_saveexec_b64 s[2:3], s[4:5]
	s_xor_b64 s[4:5], exec, s[2:3]
	s_cbranch_execz .LBB14_254
; %bb.253:
	s_barrier
                                        ; implicit-def: $vgpr43
                                        ; implicit-def: $vgpr36
                                        ; implicit-def: $vgpr25
.LBB14_254:
	s_andn2_saveexec_b64 s[6:7], s[4:5]
	s_cbranch_execz .LBB14_260
; %bb.255:
	v_or_b32_e32 v28, v41, v34
	s_movk_i32 s2, 0xd0
	v_mad_u32_u24 v24, v28, s2, 0
	ds_read_b64 v[44:45], v24 offset:192
	s_mov_b32 s2, 0x3fb8aa3b
	s_mov_b32 s3, 0x42b17218
	s_waitcnt lgkmcnt(0)
	s_barrier
	ds_bpermute_b32 v24, v25, v44
	v_max_f32_e32 v26, v44, v44
	s_waitcnt lgkmcnt(0)
	v_max_f32_e32 v24, v24, v24
	v_max_f32_e32 v24, v26, v24
	v_sub_f32_e32 v26, v44, v24
	v_mul_f32_e32 v27, 0x3fb8aa3b, v26
	v_fma_f32 v29, v26, s2, -v27
	v_rndne_f32_e32 v40, v27
	v_fmamk_f32 v29, v26, 0x32a5705f, v29
	v_sub_f32_e32 v27, v27, v40
	v_add_f32_e32 v27, v27, v29
	v_cvt_i32_f32_e32 v40, v40
	v_exp_f32_e32 v27, v27
	s_mov_b32 s2, 0xc2ce8ed0
	v_cmp_ngt_f32_e64 s[4:5], s2, v26
	v_mov_b32_e32 v29, 0x7f800000
	v_ldexp_f32 v27, v27, v40
	v_cndmask_b32_e64 v27, 0, v27, s[4:5]
	v_cmp_nlt_f32_e64 s[4:5], s3, v26
	s_nop 1
	v_cndmask_b32_e64 v26, v29, v27, s[4:5]
	v_mul_f32_e32 v27, v45, v26
	ds_bpermute_b32 v27, v25, v27
	v_cmp_gt_u32_e64 s[4:5], 32, v36
	s_waitcnt lgkmcnt(0)
	v_fmac_f32_e32 v27, v45, v26
	s_and_saveexec_b64 s[8:9], s[4:5]
; %bb.256:
	v_mul_u32_u24_e32 v25, 0xd0, v28
	v_add_u32_e32 v25, 0, v25
	ds_write_b64 v25, v[26:27] offset:192
; %bb.257:
	s_or_b64 exec, exec, s[8:9]
	s_and_saveexec_b64 s[4:5], s[0:1]
	s_cbranch_execz .LBB14_259
; %bb.258:
	s_add_i32 s0, s35, s33
	s_lshl_b32 s0, s0, 5
	s_mov_b32 s1, 0
	s_lshl_b64 s[0:1], s[0:1], 3
	s_add_u32 s0, s30, s0
	v_or_b32_e32 v25, v43, v36
	s_addc_u32 s1, s31, s1
	v_lshlrev_b32_e32 v26, 3, v25
	v_mov_b32_e32 v25, v27
	global_store_dwordx2 v26, v[24:25], s[0:1]
.LBB14_259:
	s_or_b64 exec, exec, s[4:5]
.LBB14_260:
	s_or_b64 exec, exec, s[6:7]
	v_cvt_pk_f16_f32 v0, v0, v1
	v_cvt_pk_f16_f32 v1, v6, v7
	;; [unrolled: 1-line block ×3, first 2 shown]
	v_or_b32_e32 v12, v41, v32
	v_mul_u32_u24_e32 v12, 0xd0, v12
	v_cvt_pk_f16_f32 v2, v2, v3
	s_movk_i32 s4, 0xd0
	s_mov_b32 s3, 0
	v_add3_u32 v12, 0, v12, v38
	v_cvt_pk_f16_f32 v3, v4, v5
	v_cvt_pk_f16_f32 v4, v10, v11
	v_cvt_pk_f16_f32 v5, v8, v9
	v_cvt_pk_f16_f32 v6, v14, v15
	v_cvt_pk_f16_f32 v8, v18, v19
	v_cvt_pk_f16_f32 v9, v16, v17
	v_cvt_pk_f16_f32 v10, v22, v23
	v_cvt_pk_f16_f32 v11, v20, v21
	ds_write2_b32 v12, v0, v2 offset1:1
	ds_write2_b32 v12, v3, v1 offset0:8 offset1:9
	ds_write2_b32 v12, v5, v4 offset0:16 offset1:17
	;; [unrolled: 1-line block ×5, first 2 shown]
	s_waitcnt lgkmcnt(0)
	s_barrier
	s_and_saveexec_b64 s[0:1], vcc
	s_cbranch_execz .LBB14_262
; %bb.261:
	s_mul_i32 s2, s33, 0x600
	s_lshl_b64 s[6:7], s[2:3], 3
	s_add_u32 s5, s30, s6
	s_addc_u32 s6, s31, s7
	s_lshl_b32 s2, s35, 6
	s_lshl_b64 s[2:3], s[2:3], 3
	v_add_u32_e32 v8, v39, v37
	s_add_u32 s2, s5, s2
	v_lshlrev_b32_e32 v9, 1, v8
	v_and_b32_e32 v10, 15, v8
	s_movk_i32 s5, 0xfe0
	v_and_or_b32 v2, v9, s5, v10
	v_mad_u32_u24 v0, v2, s4, v30
	ds_read2st64_b32 v[0:1], v0 offset1:13
	v_mad_u32_u24 v2, v2, s4, 0
	v_add_u32_e32 v2, 0xc0, v2
	ds_read2st64_b32 v[2:3], v2 offset1:13
	s_movk_i32 s5, 0x1fe0
	s_waitcnt lgkmcnt(1)
	v_cvt_f32_f16_e32 v4, v0
	v_cvt_f32_f16_sdwa v5, v0 dst_sel:DWORD dst_unused:UNUSED_PAD src0_sel:WORD_1
	v_cvt_f32_f16_e32 v0, v1
	v_cvt_f32_f16_sdwa v1, v1 dst_sel:DWORD dst_unused:UNUSED_PAD src0_sel:WORD_1
	v_mul_u32_u24_e32 v6, 48, v8
	s_waitcnt lgkmcnt(0)
	v_pk_fma_f32 v[4:5], v[2:3], v[4:5], 0 op_sel_hi:[0,1,0]
	v_mov_b32_e32 v2, v3
	v_pk_fma_f32 v[0:1], v[2:3], v[0:1], v[4:5] op_sel_hi:[0,1,1]
	v_add_u32_e32 v2, 4, v8
	v_lshlrev_b32_e32 v3, 1, v2
	v_and_b32_e32 v2, 15, v2
	v_and_or_b32 v4, v3, s5, v2
	v_mad_u32_u24 v2, v4, s4, v30
	ds_read2st64_b32 v[2:3], v2 offset1:13
	v_mad_u32_u24 v4, v4, s4, 0
	v_add_u32_e32 v4, 0xc0, v4
	ds_read2st64_b32 v[4:5], v4 offset1:13
	v_add_lshl_u32 v11, v6, v34, 3
	s_waitcnt lgkmcnt(1)
	v_cvt_f32_f16_e32 v6, v2
	v_cvt_f32_f16_sdwa v7, v2 dst_sel:DWORD dst_unused:UNUSED_PAD src0_sel:WORD_1
	v_cvt_f32_f16_e32 v2, v3
	v_cvt_f32_f16_sdwa v3, v3 dst_sel:DWORD dst_unused:UNUSED_PAD src0_sel:WORD_1
	s_addc_u32 s3, s6, s3
	global_store_dwordx2 v11, v[0:1], s[2:3]
	s_waitcnt lgkmcnt(0)
	v_pk_fma_f32 v[0:1], v[4:5], v[6:7], 0 op_sel_hi:[0,1,0]
	v_mov_b32_e32 v4, v5
	v_pk_fma_f32 v[0:1], v[4:5], v[2:3], v[0:1] op_sel_hi:[0,1,1]
	v_add_u32_e32 v2, 8, v8
	v_lshlrev_b32_e32 v3, 1, v2
	v_and_b32_e32 v2, 15, v2
	v_and_or_b32 v4, v3, s5, v2
	v_mad_u32_u24 v2, v4, s4, v30
	ds_read2st64_b32 v[2:3], v2 offset1:13
	global_store_dwordx2 v11, v[0:1], s[2:3] offset:1536
	v_mad_u32_u24 v0, v4, s4, 0
	v_add_u32_e32 v0, 0xc0, v0
	ds_read2st64_b32 v[0:1], v0 offset1:13
	s_waitcnt lgkmcnt(1)
	v_cvt_f32_f16_e32 v4, v2
	v_cvt_f32_f16_sdwa v5, v2 dst_sel:DWORD dst_unused:UNUSED_PAD src0_sel:WORD_1
	v_cvt_f32_f16_e32 v2, v3
	v_cvt_f32_f16_sdwa v3, v3 dst_sel:DWORD dst_unused:UNUSED_PAD src0_sel:WORD_1
	v_add_u32_e32 v6, 0xc00, v11
	s_waitcnt lgkmcnt(0)
	v_pk_fma_f32 v[4:5], v[0:1], v[4:5], 0 op_sel_hi:[0,1,0]
	v_mov_b32_e32 v0, v1
	v_pk_fma_f32 v[0:1], v[0:1], v[2:3], v[4:5] op_sel_hi:[0,1,1]
	v_add_u32_e32 v2, 12, v8
	v_lshlrev_b32_e32 v3, 1, v2
	v_and_b32_e32 v2, 15, v2
	v_and_or_b32 v4, v3, s5, v2
	v_mad_u32_u24 v2, v4, s4, v30
	ds_read2st64_b32 v[2:3], v2 offset1:13
	global_store_dwordx2 v6, v[0:1], s[2:3]
	v_mad_u32_u24 v0, v4, s4, 0
	v_add_u32_e32 v0, 0xc0, v0
	ds_read2st64_b32 v[0:1], v0 offset1:13
	s_waitcnt lgkmcnt(1)
	v_cvt_f32_f16_e32 v4, v2
	v_cvt_f32_f16_sdwa v5, v2 dst_sel:DWORD dst_unused:UNUSED_PAD src0_sel:WORD_1
	v_cvt_f32_f16_e32 v2, v3
	v_cvt_f32_f16_sdwa v3, v3 dst_sel:DWORD dst_unused:UNUSED_PAD src0_sel:WORD_1
	v_add_u32_e32 v6, 0x1200, v11
	s_waitcnt lgkmcnt(0)
	v_pk_fma_f32 v[4:5], v[0:1], v[4:5], 0 op_sel_hi:[0,1,0]
	v_mov_b32_e32 v0, v1
	v_pk_fma_f32 v[0:1], v[0:1], v[2:3], v[4:5] op_sel_hi:[0,1,1]
	v_add_u32_e32 v2, 32, v9
	v_and_or_b32 v4, v2, s5, v10
	v_mad_u32_u24 v2, v4, s4, v30
	ds_read2st64_b32 v[2:3], v2 offset1:13
	global_store_dwordx2 v6, v[0:1], s[2:3]
	v_mad_u32_u24 v0, v4, s4, 0
	v_add_u32_e32 v0, 0xc0, v0
	ds_read2st64_b32 v[0:1], v0 offset1:13
	s_waitcnt lgkmcnt(1)
	v_cvt_f32_f16_e32 v4, v2
	v_cvt_f32_f16_sdwa v5, v2 dst_sel:DWORD dst_unused:UNUSED_PAD src0_sel:WORD_1
	v_cvt_f32_f16_e32 v2, v3
	v_cvt_f32_f16_sdwa v3, v3 dst_sel:DWORD dst_unused:UNUSED_PAD src0_sel:WORD_1
	v_add_u32_e32 v6, 0x1800, v11
	s_waitcnt lgkmcnt(0)
	v_pk_fma_f32 v[4:5], v[0:1], v[4:5], 0 op_sel_hi:[0,1,0]
	v_mov_b32_e32 v0, v1
	v_pk_fma_f32 v[0:1], v[0:1], v[2:3], v[4:5] op_sel_hi:[0,1,1]
	v_add_u32_e32 v2, 20, v8
	v_lshlrev_b32_e32 v3, 1, v2
	v_and_b32_e32 v2, 15, v2
	v_and_or_b32 v4, v3, s5, v2
	v_mad_u32_u24 v2, v4, s4, v30
	ds_read2st64_b32 v[2:3], v2 offset1:13
	global_store_dwordx2 v6, v[0:1], s[2:3]
	v_mad_u32_u24 v0, v4, s4, 0
	v_add_u32_e32 v0, 0xc0, v0
	ds_read2st64_b32 v[0:1], v0 offset1:13
	s_waitcnt lgkmcnt(1)
	v_cvt_f32_f16_e32 v4, v2
	v_cvt_f32_f16_sdwa v5, v2 dst_sel:DWORD dst_unused:UNUSED_PAD src0_sel:WORD_1
	v_cvt_f32_f16_e32 v2, v3
	v_cvt_f32_f16_sdwa v3, v3 dst_sel:DWORD dst_unused:UNUSED_PAD src0_sel:WORD_1
	v_add_u32_e32 v6, 0x1e00, v11
	s_waitcnt lgkmcnt(0)
	v_pk_fma_f32 v[4:5], v[0:1], v[4:5], 0 op_sel_hi:[0,1,0]
	v_mov_b32_e32 v0, v1
	v_pk_fma_f32 v[0:1], v[0:1], v[2:3], v[4:5] op_sel_hi:[0,1,1]
	v_add_u32_e32 v2, 24, v8
	v_lshlrev_b32_e32 v3, 1, v2
	v_and_b32_e32 v2, 15, v2
	;; [unrolled: 20-line block ×3, first 2 shown]
	v_and_or_b32 v4, v3, s5, v2
	v_mad_u32_u24 v2, v4, s4, v30
	ds_read2st64_b32 v[2:3], v2 offset1:13
	global_store_dwordx2 v6, v[0:1], s[2:3]
	v_mad_u32_u24 v0, v4, s4, 0
	v_add_u32_e32 v0, 0xc0, v0
	ds_read2st64_b32 v[0:1], v0 offset1:13
	s_waitcnt lgkmcnt(1)
	v_cvt_f32_f16_e32 v4, v2
	v_cvt_f32_f16_sdwa v5, v2 dst_sel:DWORD dst_unused:UNUSED_PAD src0_sel:WORD_1
	v_cvt_f32_f16_e32 v2, v3
	v_cvt_f32_f16_sdwa v3, v3 dst_sel:DWORD dst_unused:UNUSED_PAD src0_sel:WORD_1
	v_add_u32_e32 v6, 0x2a00, v11
	s_waitcnt lgkmcnt(0)
	v_pk_fma_f32 v[4:5], v[0:1], v[4:5], 0 op_sel_hi:[0,1,0]
	v_mov_b32_e32 v0, v1
	v_pk_fma_f32 v[0:1], v[0:1], v[2:3], v[4:5] op_sel_hi:[0,1,1]
	global_store_dwordx2 v6, v[0:1], s[2:3]
	v_add_u32_e32 v6, v35, v33
	v_lshlrev_b32_e32 v7, 1, v6
	v_and_b32_e32 v8, 15, v6
	v_and_or_b32 v2, v7, s5, v8
	v_mad_u32_u24 v0, v2, s4, v31
	v_add_u32_e32 v0, 0x80, v0
	ds_read2st64_b32 v[0:1], v0 offset1:13
	v_mad_u32_u24 v2, v2, s4, 0
	v_add_u32_e32 v2, 0xc0, v2
	ds_read2st64_b32 v[2:3], v2 offset1:13
	s_movk_i32 s5, 0x3fe0
	s_waitcnt lgkmcnt(1)
	v_cvt_f32_f16_e32 v4, v0
	v_cvt_f32_f16_sdwa v5, v0 dst_sel:DWORD dst_unused:UNUSED_PAD src0_sel:WORD_1
	v_cvt_f32_f16_e32 v0, v1
	v_cvt_f32_f16_sdwa v1, v1 dst_sel:DWORD dst_unused:UNUSED_PAD src0_sel:WORD_1
	v_mul_u32_u24_e32 v9, 48, v6
	s_waitcnt lgkmcnt(0)
	v_pk_fma_f32 v[4:5], v[2:3], v[4:5], 0 op_sel_hi:[0,1,0]
	v_mov_b32_e32 v2, v3
	v_pk_fma_f32 v[0:1], v[2:3], v[0:1], v[4:5] op_sel_hi:[0,1,1]
	v_add_u32_e32 v2, 8, v6
	v_lshlrev_b32_e32 v3, 1, v2
	v_and_b32_e32 v2, 15, v2
	v_and_or_b32 v4, v3, s5, v2
	v_mad_u32_u24 v2, v4, s4, v31
	v_add_u32_e32 v2, 0x80, v2
	v_or_b32_e32 v9, v9, v32
	ds_read2st64_b32 v[2:3], v2 offset1:13
	v_lshlrev_b32_e32 v9, 3, v9
	global_store_dwordx2 v9, v[0:1], s[2:3] offset:256
	v_mad_u32_u24 v0, v4, s4, 0
	v_add_u32_e32 v0, 0xc0, v0
	ds_read2st64_b32 v[0:1], v0 offset1:13
	s_waitcnt lgkmcnt(1)
	v_cvt_f32_f16_e32 v4, v2
	v_cvt_f32_f16_sdwa v5, v2 dst_sel:DWORD dst_unused:UNUSED_PAD src0_sel:WORD_1
	v_cvt_f32_f16_e32 v2, v3
	v_cvt_f32_f16_sdwa v3, v3 dst_sel:DWORD dst_unused:UNUSED_PAD src0_sel:WORD_1
	v_add_u32_e32 v10, 0xc00, v9
	s_waitcnt lgkmcnt(0)
	v_pk_fma_f32 v[4:5], v[0:1], v[4:5], 0 op_sel_hi:[0,1,0]
	v_mov_b32_e32 v0, v1
	v_pk_fma_f32 v[0:1], v[0:1], v[2:3], v[4:5] op_sel_hi:[0,1,1]
	v_add_u32_e32 v2, 32, v7
	v_and_or_b32 v4, v2, s5, v8
	v_mad_u32_u24 v2, v4, s4, v31
	v_add_u32_e32 v2, 0x80, v2
	ds_read2st64_b32 v[2:3], v2 offset1:13
	global_store_dwordx2 v10, v[0:1], s[2:3] offset:256
	v_mad_u32_u24 v0, v4, s4, 0
	v_add_u32_e32 v0, 0xc0, v0
	ds_read2st64_b32 v[0:1], v0 offset1:13
	s_waitcnt lgkmcnt(1)
	v_cvt_f32_f16_e32 v4, v2
	v_cvt_f32_f16_sdwa v5, v2 dst_sel:DWORD dst_unused:UNUSED_PAD src0_sel:WORD_1
	v_cvt_f32_f16_e32 v2, v3
	v_cvt_f32_f16_sdwa v3, v3 dst_sel:DWORD dst_unused:UNUSED_PAD src0_sel:WORD_1
	v_add_u32_e32 v7, 0x1800, v9
	s_waitcnt lgkmcnt(0)
	v_pk_fma_f32 v[4:5], v[0:1], v[4:5], 0 op_sel_hi:[0,1,0]
	v_mov_b32_e32 v0, v1
	v_pk_fma_f32 v[0:1], v[0:1], v[2:3], v[4:5] op_sel_hi:[0,1,1]
	v_add_u32_e32 v2, 24, v6
	v_lshlrev_b32_e32 v3, 1, v2
	v_and_b32_e32 v2, 15, v2
	v_and_or_b32 v4, v3, s5, v2
	v_mad_u32_u24 v2, v4, s4, v31
	v_add_u32_e32 v2, 0x80, v2
	ds_read2st64_b32 v[2:3], v2 offset1:13
	global_store_dwordx2 v7, v[0:1], s[2:3] offset:256
	v_mad_u32_u24 v0, v4, s4, 0
	v_add_u32_e32 v0, 0xc0, v0
	ds_read2st64_b32 v[0:1], v0 offset1:13
	s_waitcnt lgkmcnt(1)
	v_cvt_f32_f16_e32 v4, v2
	v_cvt_f32_f16_sdwa v5, v2 dst_sel:DWORD dst_unused:UNUSED_PAD src0_sel:WORD_1
	v_cvt_f32_f16_e32 v2, v3
	v_cvt_f32_f16_sdwa v3, v3 dst_sel:DWORD dst_unused:UNUSED_PAD src0_sel:WORD_1
	v_add_u32_e32 v6, 0x2400, v9
	s_waitcnt lgkmcnt(0)
	v_pk_fma_f32 v[4:5], v[0:1], v[4:5], 0 op_sel_hi:[0,1,0]
	v_mov_b32_e32 v0, v1
	v_pk_fma_f32 v[0:1], v[0:1], v[2:3], v[4:5] op_sel_hi:[0,1,1]
	global_store_dwordx2 v6, v[0:1], s[2:3] offset:256
.LBB14_262:
	s_or_b64 exec, exec, s[0:1]
	s_barrier
	s_endpgm
	.section	.rodata,"a",@progbits
	.p2align	6, 0x0
	.amdhsa_kernel _ZL18flash_attn_ext_f16ILi96ELi96ELi4ELi8ELb0ELb0EEvPKcS1_S1_S1_S1_PKiPfP15HIP_vector_typeIfLj2EEffffjfiS5_IjLj3EEiiiiiiiiiiiliiliiiiil
		.amdhsa_group_segment_fixed_size 0
		.amdhsa_private_segment_fixed_size 0
		.amdhsa_kernarg_size 464
		.amdhsa_user_sgpr_count 2
		.amdhsa_user_sgpr_dispatch_ptr 0
		.amdhsa_user_sgpr_queue_ptr 0
		.amdhsa_user_sgpr_kernarg_segment_ptr 1
		.amdhsa_user_sgpr_dispatch_id 0
		.amdhsa_user_sgpr_kernarg_preload_length 0
		.amdhsa_user_sgpr_kernarg_preload_offset 0
		.amdhsa_user_sgpr_private_segment_size 0
		.amdhsa_uses_dynamic_stack 0
		.amdhsa_enable_private_segment 0
		.amdhsa_system_sgpr_workgroup_id_x 1
		.amdhsa_system_sgpr_workgroup_id_y 0
		.amdhsa_system_sgpr_workgroup_id_z 0
		.amdhsa_system_sgpr_workgroup_info 0
		.amdhsa_system_vgpr_workitem_id 1
		.amdhsa_next_free_vgpr 176
		.amdhsa_next_free_sgpr 100
		.amdhsa_accum_offset 176
		.amdhsa_reserve_vcc 1
		.amdhsa_float_round_mode_32 0
		.amdhsa_float_round_mode_16_64 0
		.amdhsa_float_denorm_mode_32 3
		.amdhsa_float_denorm_mode_16_64 3
		.amdhsa_dx10_clamp 1
		.amdhsa_ieee_mode 1
		.amdhsa_fp16_overflow 0
		.amdhsa_tg_split 0
		.amdhsa_exception_fp_ieee_invalid_op 0
		.amdhsa_exception_fp_denorm_src 0
		.amdhsa_exception_fp_ieee_div_zero 0
		.amdhsa_exception_fp_ieee_overflow 0
		.amdhsa_exception_fp_ieee_underflow 0
		.amdhsa_exception_fp_ieee_inexact 0
		.amdhsa_exception_int_div_zero 0
	.end_amdhsa_kernel
	.section	.text._ZL18flash_attn_ext_f16ILi96ELi96ELi4ELi8ELb0ELb0EEvPKcS1_S1_S1_S1_PKiPfP15HIP_vector_typeIfLj2EEffffjfiS5_IjLj3EEiiiiiiiiiiiliiliiiiil,"axG",@progbits,_ZL18flash_attn_ext_f16ILi96ELi96ELi4ELi8ELb0ELb0EEvPKcS1_S1_S1_S1_PKiPfP15HIP_vector_typeIfLj2EEffffjfiS5_IjLj3EEiiiiiiiiiiiliiliiiiil,comdat
.Lfunc_end14:
	.size	_ZL18flash_attn_ext_f16ILi96ELi96ELi4ELi8ELb0ELb0EEvPKcS1_S1_S1_S1_PKiPfP15HIP_vector_typeIfLj2EEffffjfiS5_IjLj3EEiiiiiiiiiiiliiliiiiil, .Lfunc_end14-_ZL18flash_attn_ext_f16ILi96ELi96ELi4ELi8ELb0ELb0EEvPKcS1_S1_S1_S1_PKiPfP15HIP_vector_typeIfLj2EEffffjfiS5_IjLj3EEiiiiiiiiiiiliiliiiiil
                                        ; -- End function
	.set _ZL18flash_attn_ext_f16ILi96ELi96ELi4ELi8ELb0ELb0EEvPKcS1_S1_S1_S1_PKiPfP15HIP_vector_typeIfLj2EEffffjfiS5_IjLj3EEiiiiiiiiiiiliiliiiiil.num_vgpr, 176
	.set _ZL18flash_attn_ext_f16ILi96ELi96ELi4ELi8ELb0ELb0EEvPKcS1_S1_S1_S1_PKiPfP15HIP_vector_typeIfLj2EEffffjfiS5_IjLj3EEiiiiiiiiiiiliiliiiiil.num_agpr, 0
	.set _ZL18flash_attn_ext_f16ILi96ELi96ELi4ELi8ELb0ELb0EEvPKcS1_S1_S1_S1_PKiPfP15HIP_vector_typeIfLj2EEffffjfiS5_IjLj3EEiiiiiiiiiiiliiliiiiil.numbered_sgpr, 100
	.set _ZL18flash_attn_ext_f16ILi96ELi96ELi4ELi8ELb0ELb0EEvPKcS1_S1_S1_S1_PKiPfP15HIP_vector_typeIfLj2EEffffjfiS5_IjLj3EEiiiiiiiiiiiliiliiiiil.num_named_barrier, 0
	.set _ZL18flash_attn_ext_f16ILi96ELi96ELi4ELi8ELb0ELb0EEvPKcS1_S1_S1_S1_PKiPfP15HIP_vector_typeIfLj2EEffffjfiS5_IjLj3EEiiiiiiiiiiiliiliiiiil.private_seg_size, 0
	.set _ZL18flash_attn_ext_f16ILi96ELi96ELi4ELi8ELb0ELb0EEvPKcS1_S1_S1_S1_PKiPfP15HIP_vector_typeIfLj2EEffffjfiS5_IjLj3EEiiiiiiiiiiiliiliiiiil.uses_vcc, 1
	.set _ZL18flash_attn_ext_f16ILi96ELi96ELi4ELi8ELb0ELb0EEvPKcS1_S1_S1_S1_PKiPfP15HIP_vector_typeIfLj2EEffffjfiS5_IjLj3EEiiiiiiiiiiiliiliiiiil.uses_flat_scratch, 0
	.set _ZL18flash_attn_ext_f16ILi96ELi96ELi4ELi8ELb0ELb0EEvPKcS1_S1_S1_S1_PKiPfP15HIP_vector_typeIfLj2EEffffjfiS5_IjLj3EEiiiiiiiiiiiliiliiiiil.has_dyn_sized_stack, 0
	.set _ZL18flash_attn_ext_f16ILi96ELi96ELi4ELi8ELb0ELb0EEvPKcS1_S1_S1_S1_PKiPfP15HIP_vector_typeIfLj2EEffffjfiS5_IjLj3EEiiiiiiiiiiiliiliiiiil.has_recursion, 0
	.set _ZL18flash_attn_ext_f16ILi96ELi96ELi4ELi8ELb0ELb0EEvPKcS1_S1_S1_S1_PKiPfP15HIP_vector_typeIfLj2EEffffjfiS5_IjLj3EEiiiiiiiiiiiliiliiiiil.has_indirect_call, 0
	.section	.AMDGPU.csdata,"",@progbits
; Kernel info:
; codeLenInByte = 37484
; TotalNumSgprs: 106
; NumVgprs: 176
; NumAgprs: 0
; TotalNumVgprs: 176
; ScratchSize: 0
; MemoryBound: 0
; FloatMode: 240
; IeeeMode: 1
; LDSByteSize: 0 bytes/workgroup (compile time only)
; SGPRBlocks: 13
; VGPRBlocks: 21
; NumSGPRsForWavesPerEU: 106
; NumVGPRsForWavesPerEU: 176
; AccumOffset: 176
; Occupancy: 2
; WaveLimiterHint : 1
; COMPUTE_PGM_RSRC2:SCRATCH_EN: 0
; COMPUTE_PGM_RSRC2:USER_SGPR: 2
; COMPUTE_PGM_RSRC2:TRAP_HANDLER: 0
; COMPUTE_PGM_RSRC2:TGID_X_EN: 1
; COMPUTE_PGM_RSRC2:TGID_Y_EN: 0
; COMPUTE_PGM_RSRC2:TGID_Z_EN: 0
; COMPUTE_PGM_RSRC2:TIDIG_COMP_CNT: 1
; COMPUTE_PGM_RSRC3_GFX90A:ACCUM_OFFSET: 43
; COMPUTE_PGM_RSRC3_GFX90A:TG_SPLIT: 0
	.section	.text._ZL18flash_attn_ext_f16ILi96ELi96ELi4ELi8ELb1ELb0EEvPKcS1_S1_S1_S1_PKiPfP15HIP_vector_typeIfLj2EEffffjfiS5_IjLj3EEiiiiiiiiiiiliiliiiiil,"axG",@progbits,_ZL18flash_attn_ext_f16ILi96ELi96ELi4ELi8ELb1ELb0EEvPKcS1_S1_S1_S1_PKiPfP15HIP_vector_typeIfLj2EEffffjfiS5_IjLj3EEiiiiiiiiiiiliiliiiiil,comdat
	.globl	_ZL18flash_attn_ext_f16ILi96ELi96ELi4ELi8ELb1ELb0EEvPKcS1_S1_S1_S1_PKiPfP15HIP_vector_typeIfLj2EEffffjfiS5_IjLj3EEiiiiiiiiiiiliiliiiiil ; -- Begin function _ZL18flash_attn_ext_f16ILi96ELi96ELi4ELi8ELb1ELb0EEvPKcS1_S1_S1_S1_PKiPfP15HIP_vector_typeIfLj2EEffffjfiS5_IjLj3EEiiiiiiiiiiiliiliiiiil
	.p2align	8
	.type	_ZL18flash_attn_ext_f16ILi96ELi96ELi4ELi8ELb1ELb0EEvPKcS1_S1_S1_S1_PKiPfP15HIP_vector_typeIfLj2EEffffjfiS5_IjLj3EEiiiiiiiiiiiliiliiiiil,@function
_ZL18flash_attn_ext_f16ILi96ELi96ELi4ELi8ELb1ELb0EEvPKcS1_S1_S1_S1_PKiPfP15HIP_vector_typeIfLj2EEffffjfiS5_IjLj3EEiiiiiiiiiiiliiliiiiil: ; @_ZL18flash_attn_ext_f16ILi96ELi96ELi4ELi8ELb1ELb0EEvPKcS1_S1_S1_S1_PKiPfP15HIP_vector_typeIfLj2EEffffjfiS5_IjLj3EEiiiiiiiiiiiliiliiiiil
; %bb.0:
	s_add_u32 s8, s0, 0xd0
	s_addc_u32 s9, s1, 0
	s_getpc_b64 s[0:1]
	s_add_u32 s0, s0, _ZL14no_device_codePKciS0_iS0_@rel32@lo+4
	s_addc_u32 s1, s1, _ZL14no_device_codePKciS0_iS0_@rel32@hi+12
	v_mov_b32_e32 v0, 0x6cc
	s_mov_b32 s32, 0
	s_swappc_b64 s[30:31], s[0:1]
	.section	.rodata,"a",@progbits
	.p2align	6, 0x0
	.amdhsa_kernel _ZL18flash_attn_ext_f16ILi96ELi96ELi4ELi8ELb1ELb0EEvPKcS1_S1_S1_S1_PKiPfP15HIP_vector_typeIfLj2EEffffjfiS5_IjLj3EEiiiiiiiiiiiliiliiiiil
		.amdhsa_group_segment_fixed_size 0
		.amdhsa_private_segment_fixed_size 16
		.amdhsa_kernarg_size 464
		.amdhsa_user_sgpr_count 2
		.amdhsa_user_sgpr_dispatch_ptr 0
		.amdhsa_user_sgpr_queue_ptr 0
		.amdhsa_user_sgpr_kernarg_segment_ptr 1
		.amdhsa_user_sgpr_dispatch_id 0
		.amdhsa_user_sgpr_kernarg_preload_length 0
		.amdhsa_user_sgpr_kernarg_preload_offset 0
		.amdhsa_user_sgpr_private_segment_size 0
		.amdhsa_uses_dynamic_stack 0
		.amdhsa_enable_private_segment 1
		.amdhsa_system_sgpr_workgroup_id_x 1
		.amdhsa_system_sgpr_workgroup_id_y 0
		.amdhsa_system_sgpr_workgroup_id_z 0
		.amdhsa_system_sgpr_workgroup_info 0
		.amdhsa_system_vgpr_workitem_id 0
		.amdhsa_next_free_vgpr 52
		.amdhsa_next_free_sgpr 34
		.amdhsa_accum_offset 52
		.amdhsa_reserve_vcc 1
		.amdhsa_float_round_mode_32 0
		.amdhsa_float_round_mode_16_64 0
		.amdhsa_float_denorm_mode_32 3
		.amdhsa_float_denorm_mode_16_64 3
		.amdhsa_dx10_clamp 1
		.amdhsa_ieee_mode 1
		.amdhsa_fp16_overflow 0
		.amdhsa_tg_split 0
		.amdhsa_exception_fp_ieee_invalid_op 0
		.amdhsa_exception_fp_denorm_src 0
		.amdhsa_exception_fp_ieee_div_zero 0
		.amdhsa_exception_fp_ieee_overflow 0
		.amdhsa_exception_fp_ieee_underflow 0
		.amdhsa_exception_fp_ieee_inexact 0
		.amdhsa_exception_int_div_zero 0
	.end_amdhsa_kernel
	.section	.text._ZL18flash_attn_ext_f16ILi96ELi96ELi4ELi8ELb1ELb0EEvPKcS1_S1_S1_S1_PKiPfP15HIP_vector_typeIfLj2EEffffjfiS5_IjLj3EEiiiiiiiiiiiliiliiiiil,"axG",@progbits,_ZL18flash_attn_ext_f16ILi96ELi96ELi4ELi8ELb1ELb0EEvPKcS1_S1_S1_S1_PKiPfP15HIP_vector_typeIfLj2EEffffjfiS5_IjLj3EEiiiiiiiiiiiliiliiiiil,comdat
.Lfunc_end15:
	.size	_ZL18flash_attn_ext_f16ILi96ELi96ELi4ELi8ELb1ELb0EEvPKcS1_S1_S1_S1_PKiPfP15HIP_vector_typeIfLj2EEffffjfiS5_IjLj3EEiiiiiiiiiiiliiliiiiil, .Lfunc_end15-_ZL18flash_attn_ext_f16ILi96ELi96ELi4ELi8ELb1ELb0EEvPKcS1_S1_S1_S1_PKiPfP15HIP_vector_typeIfLj2EEffffjfiS5_IjLj3EEiiiiiiiiiiiliiliiiiil
                                        ; -- End function
	.set _ZL18flash_attn_ext_f16ILi96ELi96ELi4ELi8ELb1ELb0EEvPKcS1_S1_S1_S1_PKiPfP15HIP_vector_typeIfLj2EEffffjfiS5_IjLj3EEiiiiiiiiiiiliiliiiiil.num_vgpr, max(1, .L_ZL14no_device_codePKciS0_iS0_.num_vgpr)
	.set _ZL18flash_attn_ext_f16ILi96ELi96ELi4ELi8ELb1ELb0EEvPKcS1_S1_S1_S1_PKiPfP15HIP_vector_typeIfLj2EEffffjfiS5_IjLj3EEiiiiiiiiiiiliiliiiiil.num_agpr, max(0, .L_ZL14no_device_codePKciS0_iS0_.num_agpr)
	.set _ZL18flash_attn_ext_f16ILi96ELi96ELi4ELi8ELb1ELb0EEvPKcS1_S1_S1_S1_PKiPfP15HIP_vector_typeIfLj2EEffffjfiS5_IjLj3EEiiiiiiiiiiiliiliiiiil.numbered_sgpr, max(33, .L_ZL14no_device_codePKciS0_iS0_.numbered_sgpr)
	.set _ZL18flash_attn_ext_f16ILi96ELi96ELi4ELi8ELb1ELb0EEvPKcS1_S1_S1_S1_PKiPfP15HIP_vector_typeIfLj2EEffffjfiS5_IjLj3EEiiiiiiiiiiiliiliiiiil.num_named_barrier, max(0, .L_ZL14no_device_codePKciS0_iS0_.num_named_barrier)
	.set _ZL18flash_attn_ext_f16ILi96ELi96ELi4ELi8ELb1ELb0EEvPKcS1_S1_S1_S1_PKiPfP15HIP_vector_typeIfLj2EEffffjfiS5_IjLj3EEiiiiiiiiiiiliiliiiiil.private_seg_size, 0+max(.L_ZL14no_device_codePKciS0_iS0_.private_seg_size)
	.set _ZL18flash_attn_ext_f16ILi96ELi96ELi4ELi8ELb1ELb0EEvPKcS1_S1_S1_S1_PKiPfP15HIP_vector_typeIfLj2EEffffjfiS5_IjLj3EEiiiiiiiiiiiliiliiiiil.uses_vcc, or(1, .L_ZL14no_device_codePKciS0_iS0_.uses_vcc)
	.set _ZL18flash_attn_ext_f16ILi96ELi96ELi4ELi8ELb1ELb0EEvPKcS1_S1_S1_S1_PKiPfP15HIP_vector_typeIfLj2EEffffjfiS5_IjLj3EEiiiiiiiiiiiliiliiiiil.uses_flat_scratch, or(0, .L_ZL14no_device_codePKciS0_iS0_.uses_flat_scratch)
	.set _ZL18flash_attn_ext_f16ILi96ELi96ELi4ELi8ELb1ELb0EEvPKcS1_S1_S1_S1_PKiPfP15HIP_vector_typeIfLj2EEffffjfiS5_IjLj3EEiiiiiiiiiiiliiliiiiil.has_dyn_sized_stack, or(0, .L_ZL14no_device_codePKciS0_iS0_.has_dyn_sized_stack)
	.set _ZL18flash_attn_ext_f16ILi96ELi96ELi4ELi8ELb1ELb0EEvPKcS1_S1_S1_S1_PKiPfP15HIP_vector_typeIfLj2EEffffjfiS5_IjLj3EEiiiiiiiiiiiliiliiiiil.has_recursion, or(0, .L_ZL14no_device_codePKciS0_iS0_.has_recursion)
	.set _ZL18flash_attn_ext_f16ILi96ELi96ELi4ELi8ELb1ELb0EEvPKcS1_S1_S1_S1_PKiPfP15HIP_vector_typeIfLj2EEffffjfiS5_IjLj3EEiiiiiiiiiiiliiliiiiil.has_indirect_call, or(0, .L_ZL14no_device_codePKciS0_iS0_.has_indirect_call)
	.section	.AMDGPU.csdata,"",@progbits
; Kernel info:
; codeLenInByte = 48
; TotalNumSgprs: 40
; NumVgprs: 52
; NumAgprs: 0
; TotalNumVgprs: 52
; ScratchSize: 16
; MemoryBound: 0
; FloatMode: 240
; IeeeMode: 1
; LDSByteSize: 0 bytes/workgroup (compile time only)
; SGPRBlocks: 4
; VGPRBlocks: 6
; NumSGPRsForWavesPerEU: 40
; NumVGPRsForWavesPerEU: 52
; AccumOffset: 52
; Occupancy: 8
; WaveLimiterHint : 1
; COMPUTE_PGM_RSRC2:SCRATCH_EN: 1
; COMPUTE_PGM_RSRC2:USER_SGPR: 2
; COMPUTE_PGM_RSRC2:TRAP_HANDLER: 0
; COMPUTE_PGM_RSRC2:TGID_X_EN: 1
; COMPUTE_PGM_RSRC2:TGID_Y_EN: 0
; COMPUTE_PGM_RSRC2:TGID_Z_EN: 0
; COMPUTE_PGM_RSRC2:TIDIG_COMP_CNT: 0
; COMPUTE_PGM_RSRC3_GFX90A:ACCUM_OFFSET: 12
; COMPUTE_PGM_RSRC3_GFX90A:TG_SPLIT: 0
	.section	.text._ZL33flash_attn_stream_k_fixup_uniformILi96ELi4ELi8EEvPfPK15HIP_vector_typeIfLj2EEiiiiiiS1_IjLj3EES5_S5_,"axG",@progbits,_ZL33flash_attn_stream_k_fixup_uniformILi96ELi4ELi8EEvPfPK15HIP_vector_typeIfLj2EEiiiiiiS1_IjLj3EES5_S5_,comdat
	.globl	_ZL33flash_attn_stream_k_fixup_uniformILi96ELi4ELi8EEvPfPK15HIP_vector_typeIfLj2EEiiiiiiS1_IjLj3EES5_S5_ ; -- Begin function _ZL33flash_attn_stream_k_fixup_uniformILi96ELi4ELi8EEvPfPK15HIP_vector_typeIfLj2EEiiiiiiS1_IjLj3EES5_S5_
	.p2align	8
	.type	_ZL33flash_attn_stream_k_fixup_uniformILi96ELi4ELi8EEvPfPK15HIP_vector_typeIfLj2EEiiiiiiS1_IjLj3EES5_S5_,@function
_ZL33flash_attn_stream_k_fixup_uniformILi96ELi4ELi8EEvPfPK15HIP_vector_typeIfLj2EEiiiiiiS1_IjLj3EES5_S5_: ; @_ZL33flash_attn_stream_k_fixup_uniformILi96ELi4ELi8EEvPfPK15HIP_vector_typeIfLj2EEiiiiiiS1_IjLj3EES5_S5_
; %bb.0:
	s_load_dwordx8 s[8:15], s[0:1], 0x1c
	s_load_dwordx2 s[6:7], s[0:1], 0x10
	s_load_dwordx4 s[16:19], s[0:1], 0x3c
	s_waitcnt lgkmcnt(0)
	s_mul_hi_u32 s5, s11, s2
	s_add_i32 s5, s2, s5
	s_lshr_b32 s5, s5, s12
	s_mul_i32 s11, s5, s13
	s_sub_i32 s12, s2, s11
	s_mul_hi_u32 s11, s12, s14
	s_add_i32 s11, s12, s11
	s_lshr_b32 s11, s11, s15
	s_mul_i32 s13, s11, s16
	s_sub_i32 s12, s12, s13
	;; [unrolled: 5-line block ×3, first 2 shown]
	s_lshl_b32 s12, s16, 2
	s_lshl_b32 s17, s13, 3
	s_add_i32 s12, s12, s3
	s_cmp_lt_i32 s12, s6
	s_cselect_b64 s[12:13], -1, 0
	s_add_i32 s17, s17, s4
	s_cmp_lt_i32 s17, s9
	s_cselect_b64 s[14:15], -1, 0
	s_and_b64 s[12:13], s[12:13], s[14:15]
	s_andn2_b64 vcc, exec, s[12:13]
	s_cbranch_vccnz .LBB16_6
; %bb.1:
	s_load_dwordx4 s[12:15], s[0:1], 0x0
	s_mul_i32 s0, s5, s6
	s_mul_i32 s11, s11, s9
	s_add_i32 s0, s0, s3
	s_mul_i32 s0, s0, s7
	s_add_i32 s5, s17, s11
	;; [unrolled: 2-line block ×3, first 2 shown]
	s_mulk_i32 s1, 0x180
	s_mulk_i32 s0, 0x60
	s_add_i32 s0, s0, s1
	v_add_u32_e32 v4, s0, v0
	s_waitcnt lgkmcnt(0)
	v_mov_b32_e32 v2, s12
	v_mov_b32_e32 v3, s13
	v_ashrrev_i32_e32 v5, 31, v4
	v_lshl_add_u64 v[2:3], v[4:5], 2, v[2:3]
	global_load_dword v5, v[2:3], off
	s_mul_i32 s5, s10, s2
	s_lshl_b32 s11, s3, 3
	s_add_i32 s9, s5, s10
	s_add_i32 s0, s11, s4
	s_lshl_b32 s1, s9, 5
	s_add_i32 s0, s0, s1
	s_sub_i32 s0, s0, 32
	s_ashr_i32 s1, s0, 31
	s_lshl_b64 s[0:1], s[0:1], 3
	s_add_u32 s0, s14, s0
	s_addc_u32 s1, s15, s1
	s_load_dword s12, s[0:1], 0x4
	s_add_i32 s6, s9, -2
	s_cmp_lt_i32 s6, s5
	s_cbranch_scc1 .LBB16_4
; %bb.2:
	s_lshl_b32 s6, s8, 7
	s_ashr_i32 s7, s6, 31
	s_lshl_b64 s[6:7], s[6:7], 2
	s_add_u32 s6, s14, s6
	s_addc_u32 s7, s15, s7
	s_add_i32 s2, s2, 1
	s_load_dword s0, s[0:1], 0x0
	s_mul_i32 s1, s10, s2
	s_lshl_b32 s2, s1, 5
	s_add_i32 s2, s4, s2
	s_mulk_i32 s3, 0x300
	s_mulk_i32 s4, 0x60
	s_lshl_b32 s8, s8, 5
	s_mulk_i32 s1, 0xc00
	s_add_i32 s3, s4, s3
	s_add_i32 s2, s2, s8
	;; [unrolled: 1-line block ×4, first 2 shown]
	v_add_u32_e32 v0, s3, v0
	s_add_i32 s9, s9, -1
	s_sub_i32 s2, s2, 64
	v_add_u32_e32 v0, 0xffffe800, v0
	s_waitcnt lgkmcnt(0)
	v_mov_b32_e32 v7, s0
	v_mov_b32_e32 v4, s12
	s_mov_b32 s4, 0x3fb8aa3b
	s_mov_b32 s8, 0xc2ce8ed0
	;; [unrolled: 1-line block ×3, first 2 shown]
	v_mov_b32_e32 v6, 0x7f800000
	s_mov_b32 s11, 0xc1a00000
.LBB16_3:                               ; =>This Inner Loop Header: Depth=1
	v_ashrrev_i32_e32 v1, 31, v0
	v_lshl_add_u64 v[8:9], v[0:1], 2, s[6:7]
	global_load_dword v9, v[8:9], off
	s_ashr_i32 s3, s2, 31
	s_lshl_b64 s[0:1], s[2:3], 3
	s_add_u32 s0, s14, s0
	s_addc_u32 s1, s15, s1
	s_load_dwordx2 s[0:1], s[0:1], 0x0
	v_max_f32_e32 v1, v7, v7
	s_add_i32 s9, s9, -1
	s_sub_i32 s2, s2, 32
	v_add_u32_e32 v0, 0xfffff400, v0
	s_waitcnt lgkmcnt(0)
	v_max_f32_e64 v10, s0, s0
	v_max_f32_e32 v1, v1, v10
	v_sub_f32_e32 v11, s0, v1
	v_sub_f32_e32 v10, v7, v1
	v_mul_f32_e32 v12, 0x3fb8aa3b, v11
	v_mov_b32_e32 v7, v1
	v_mul_f32_e32 v1, 0x3fb8aa3b, v10
	v_fma_f32 v15, v11, s4, -v12
	v_rndne_f32_e32 v16, v12
	v_fma_f32 v13, v10, s4, -v1
	v_rndne_f32_e32 v14, v1
	v_fmac_f32_e32 v15, 0x32a5705f, v11
	v_sub_f32_e32 v12, v12, v16
	v_fmac_f32_e32 v13, 0x32a5705f, v10
	v_sub_f32_e32 v1, v1, v14
	v_add_f32_e32 v12, v12, v15
	v_cvt_i32_f32_e32 v16, v16
	v_add_f32_e32 v1, v1, v13
	v_exp_f32_e32 v12, v12
	v_cvt_i32_f32_e32 v14, v14
	v_exp_f32_e32 v1, v1
	v_cmp_ngt_f32_e32 vcc, s8, v11
	v_ldexp_f32 v12, v12, v16
	v_mov_b32_e32 v8, s1
	v_ldexp_f32 v1, v1, v14
	v_cmp_ngt_f32_e64 s[0:1], s8, v10
	v_cndmask_b32_e32 v12, 0, v12, vcc
	v_cmp_nlt_f32_e32 vcc, s10, v11
	v_cndmask_b32_e64 v1, 0, v1, s[0:1]
	v_cmp_nlt_f32_e64 s[0:1], s10, v10
	v_cndmask_b32_e32 v12, v6, v12, vcc
	v_cmp_le_f32_e32 vcc, s11, v11
	v_cndmask_b32_e64 v1, v6, v1, s[0:1]
	v_cmp_le_f32_e64 s[0:1], s11, v10
	v_cndmask_b32_e32 v12, 0, v12, vcc
	s_cmp_le_i32 s9, s5
	v_cndmask_b32_e64 v10, 0, v1, s[0:1]
	s_waitcnt vmcnt(0)
	v_pk_mul_f32 v[8:9], v[8:9], v[12:13] op_sel_hi:[1,0]
	s_nop 0
	v_pk_fma_f32 v[4:5], v[4:5], v[10:11], v[8:9] op_sel_hi:[1,0,1]
	s_cbranch_scc0 .LBB16_3
	s_branch .LBB16_5
.LBB16_4:
	s_waitcnt lgkmcnt(0)
	v_mov_b32_e32 v4, s12
.LBB16_5:
	s_waitcnt vmcnt(0)
	v_div_scale_f32 v0, s[0:1], v4, v4, v5
	v_rcp_f32_e32 v1, v0
	v_div_scale_f32 v6, vcc, v5, v4, v5
	v_fma_f32 v7, -v0, v1, 1.0
	v_fmac_f32_e32 v1, v7, v1
	v_mul_f32_e32 v7, v6, v1
	v_fma_f32 v8, -v0, v7, v6
	v_fmac_f32_e32 v7, v8, v1
	v_fma_f32 v0, -v0, v7, v6
	v_div_fmas_f32 v0, v0, v1, v7
	v_div_fixup_f32 v0, v0, v4, v5
	global_store_dword v[2:3], v0, off
.LBB16_6:
	s_endpgm
	.section	.rodata,"a",@progbits
	.p2align	6, 0x0
	.amdhsa_kernel _ZL33flash_attn_stream_k_fixup_uniformILi96ELi4ELi8EEvPfPK15HIP_vector_typeIfLj2EEiiiiiiS1_IjLj3EES5_S5_
		.amdhsa_group_segment_fixed_size 0
		.amdhsa_private_segment_fixed_size 0
		.amdhsa_kernarg_size 76
		.amdhsa_user_sgpr_count 2
		.amdhsa_user_sgpr_dispatch_ptr 0
		.amdhsa_user_sgpr_queue_ptr 0
		.amdhsa_user_sgpr_kernarg_segment_ptr 1
		.amdhsa_user_sgpr_dispatch_id 0
		.amdhsa_user_sgpr_kernarg_preload_length 0
		.amdhsa_user_sgpr_kernarg_preload_offset 0
		.amdhsa_user_sgpr_private_segment_size 0
		.amdhsa_uses_dynamic_stack 0
		.amdhsa_enable_private_segment 0
		.amdhsa_system_sgpr_workgroup_id_x 1
		.amdhsa_system_sgpr_workgroup_id_y 1
		.amdhsa_system_sgpr_workgroup_id_z 1
		.amdhsa_system_sgpr_workgroup_info 0
		.amdhsa_system_vgpr_workitem_id 0
		.amdhsa_next_free_vgpr 17
		.amdhsa_next_free_sgpr 20
		.amdhsa_accum_offset 20
		.amdhsa_reserve_vcc 1
		.amdhsa_float_round_mode_32 0
		.amdhsa_float_round_mode_16_64 0
		.amdhsa_float_denorm_mode_32 3
		.amdhsa_float_denorm_mode_16_64 3
		.amdhsa_dx10_clamp 1
		.amdhsa_ieee_mode 1
		.amdhsa_fp16_overflow 0
		.amdhsa_tg_split 0
		.amdhsa_exception_fp_ieee_invalid_op 0
		.amdhsa_exception_fp_denorm_src 0
		.amdhsa_exception_fp_ieee_div_zero 0
		.amdhsa_exception_fp_ieee_overflow 0
		.amdhsa_exception_fp_ieee_underflow 0
		.amdhsa_exception_fp_ieee_inexact 0
		.amdhsa_exception_int_div_zero 0
	.end_amdhsa_kernel
	.section	.text._ZL33flash_attn_stream_k_fixup_uniformILi96ELi4ELi8EEvPfPK15HIP_vector_typeIfLj2EEiiiiiiS1_IjLj3EES5_S5_,"axG",@progbits,_ZL33flash_attn_stream_k_fixup_uniformILi96ELi4ELi8EEvPfPK15HIP_vector_typeIfLj2EEiiiiiiS1_IjLj3EES5_S5_,comdat
.Lfunc_end16:
	.size	_ZL33flash_attn_stream_k_fixup_uniformILi96ELi4ELi8EEvPfPK15HIP_vector_typeIfLj2EEiiiiiiS1_IjLj3EES5_S5_, .Lfunc_end16-_ZL33flash_attn_stream_k_fixup_uniformILi96ELi4ELi8EEvPfPK15HIP_vector_typeIfLj2EEiiiiiiS1_IjLj3EES5_S5_
                                        ; -- End function
	.set _ZL33flash_attn_stream_k_fixup_uniformILi96ELi4ELi8EEvPfPK15HIP_vector_typeIfLj2EEiiiiiiS1_IjLj3EES5_S5_.num_vgpr, 17
	.set _ZL33flash_attn_stream_k_fixup_uniformILi96ELi4ELi8EEvPfPK15HIP_vector_typeIfLj2EEiiiiiiS1_IjLj3EES5_S5_.num_agpr, 0
	.set _ZL33flash_attn_stream_k_fixup_uniformILi96ELi4ELi8EEvPfPK15HIP_vector_typeIfLj2EEiiiiiiS1_IjLj3EES5_S5_.numbered_sgpr, 20
	.set _ZL33flash_attn_stream_k_fixup_uniformILi96ELi4ELi8EEvPfPK15HIP_vector_typeIfLj2EEiiiiiiS1_IjLj3EES5_S5_.num_named_barrier, 0
	.set _ZL33flash_attn_stream_k_fixup_uniformILi96ELi4ELi8EEvPfPK15HIP_vector_typeIfLj2EEiiiiiiS1_IjLj3EES5_S5_.private_seg_size, 0
	.set _ZL33flash_attn_stream_k_fixup_uniformILi96ELi4ELi8EEvPfPK15HIP_vector_typeIfLj2EEiiiiiiS1_IjLj3EES5_S5_.uses_vcc, 1
	.set _ZL33flash_attn_stream_k_fixup_uniformILi96ELi4ELi8EEvPfPK15HIP_vector_typeIfLj2EEiiiiiiS1_IjLj3EES5_S5_.uses_flat_scratch, 0
	.set _ZL33flash_attn_stream_k_fixup_uniformILi96ELi4ELi8EEvPfPK15HIP_vector_typeIfLj2EEiiiiiiS1_IjLj3EES5_S5_.has_dyn_sized_stack, 0
	.set _ZL33flash_attn_stream_k_fixup_uniformILi96ELi4ELi8EEvPfPK15HIP_vector_typeIfLj2EEiiiiiiS1_IjLj3EES5_S5_.has_recursion, 0
	.set _ZL33flash_attn_stream_k_fixup_uniformILi96ELi4ELi8EEvPfPK15HIP_vector_typeIfLj2EEiiiiiiS1_IjLj3EES5_S5_.has_indirect_call, 0
	.section	.AMDGPU.csdata,"",@progbits
; Kernel info:
; codeLenInByte = 832
; TotalNumSgprs: 26
; NumVgprs: 17
; NumAgprs: 0
; TotalNumVgprs: 17
; ScratchSize: 0
; MemoryBound: 0
; FloatMode: 240
; IeeeMode: 1
; LDSByteSize: 0 bytes/workgroup (compile time only)
; SGPRBlocks: 3
; VGPRBlocks: 2
; NumSGPRsForWavesPerEU: 26
; NumVGPRsForWavesPerEU: 17
; AccumOffset: 20
; Occupancy: 8
; WaveLimiterHint : 0
; COMPUTE_PGM_RSRC2:SCRATCH_EN: 0
; COMPUTE_PGM_RSRC2:USER_SGPR: 2
; COMPUTE_PGM_RSRC2:TRAP_HANDLER: 0
; COMPUTE_PGM_RSRC2:TGID_X_EN: 1
; COMPUTE_PGM_RSRC2:TGID_Y_EN: 1
; COMPUTE_PGM_RSRC2:TGID_Z_EN: 1
; COMPUTE_PGM_RSRC2:TIDIG_COMP_CNT: 0
; COMPUTE_PGM_RSRC3_GFX90A:ACCUM_OFFSET: 4
; COMPUTE_PGM_RSRC3_GFX90A:TG_SPLIT: 0
	.section	.text._ZL33flash_attn_stream_k_fixup_generalILi96ELi4ELi8EEvPfPK15HIP_vector_typeIfLj2EEiiiiS1_IjLj3EES5_S5_S5_,"axG",@progbits,_ZL33flash_attn_stream_k_fixup_generalILi96ELi4ELi8EEvPfPK15HIP_vector_typeIfLj2EEiiiiS1_IjLj3EES5_S5_S5_,comdat
	.globl	_ZL33flash_attn_stream_k_fixup_generalILi96ELi4ELi8EEvPfPK15HIP_vector_typeIfLj2EEiiiiS1_IjLj3EES5_S5_S5_ ; -- Begin function _ZL33flash_attn_stream_k_fixup_generalILi96ELi4ELi8EEvPfPK15HIP_vector_typeIfLj2EEiiiiS1_IjLj3EES5_S5_S5_
	.p2align	8
	.type	_ZL33flash_attn_stream_k_fixup_generalILi96ELi4ELi8EEvPfPK15HIP_vector_typeIfLj2EEiiiiS1_IjLj3EES5_S5_S5_,@function
_ZL33flash_attn_stream_k_fixup_generalILi96ELi4ELi8EEvPfPK15HIP_vector_typeIfLj2EEiiiiS1_IjLj3EES5_S5_S5_: ; @_ZL33flash_attn_stream_k_fixup_generalILi96ELi4ELi8EEvPfPK15HIP_vector_typeIfLj2EEiiiiS1_IjLj3EES5_S5_S5_
; %bb.0:
	s_load_dwordx4 s[8:11], s[0:1], 0x10
	s_load_dword s22, s[0:1], 0x50
	s_mov_b32 s12, 0
	s_waitcnt lgkmcnt(0)
	s_mul_hi_i32 s13, s11, s2
	s_cmp_lg_u64 s[12:13], 0
	s_mul_i32 s5, s11, s2
	s_cbranch_scc0 .LBB17_20
; %bb.1:
	s_add_u32 s6, s22, 0
	s_addc_u32 s7, 0, 0
	s_xor_b64 s[6:7], s[6:7], 0
	v_cvt_f32_u32_e32 v1, s6
	v_cvt_f32_u32_e32 v2, s7
	s_sub_u32 s12, 0, s6
	s_subb_u32 s18, 0, s7
	v_fmamk_f32 v1, v2, 0x4f800000, v1
	v_rcp_f32_e32 v1, v1
	s_nop 0
	v_mul_f32_e32 v1, 0x5f7ffffc, v1
	v_mul_f32_e32 v2, 0x2f800000, v1
	v_trunc_f32_e32 v2, v2
	v_fmamk_f32 v1, v2, 0xcf800000, v1
	v_cvt_u32_f32_e32 v2, v2
	v_cvt_u32_f32_e32 v1, v1
	v_readfirstlane_b32 s19, v2
	v_readfirstlane_b32 s14, v1
	s_mul_i32 s15, s12, s19
	s_mul_hi_u32 s21, s12, s14
	s_mul_i32 s20, s18, s14
	s_add_i32 s15, s21, s15
	s_add_i32 s15, s15, s20
	s_mul_i32 s23, s12, s14
	s_mul_i32 s21, s14, s15
	s_mul_hi_u32 s24, s14, s23
	s_mul_hi_u32 s20, s14, s15
	s_add_u32 s21, s24, s21
	s_addc_u32 s20, 0, s20
	s_mul_hi_u32 s25, s19, s23
	s_mul_i32 s23, s19, s23
	s_add_u32 s21, s21, s23
	s_mul_hi_u32 s24, s19, s15
	s_addc_u32 s20, s20, s25
	s_addc_u32 s21, s24, 0
	s_mul_i32 s15, s19, s15
	s_add_u32 s15, s20, s15
	s_addc_u32 s20, 0, s21
	s_add_u32 s21, s14, s15
	s_cselect_b64 s[14:15], -1, 0
	s_cmp_lg_u64 s[14:15], 0
	s_addc_u32 s19, s19, s20
	s_mul_i32 s14, s12, s19
	s_mul_hi_u32 s15, s12, s21
	s_add_i32 s14, s15, s14
	s_mul_i32 s18, s18, s21
	s_add_i32 s14, s14, s18
	s_mul_i32 s12, s12, s21
	s_mul_hi_u32 s18, s19, s12
	s_mul_i32 s20, s19, s12
	s_mul_i32 s24, s21, s14
	s_mul_hi_u32 s12, s21, s12
	s_mul_hi_u32 s23, s21, s14
	s_add_u32 s12, s12, s24
	s_addc_u32 s23, 0, s23
	s_add_u32 s12, s12, s20
	s_mul_hi_u32 s15, s19, s14
	s_addc_u32 s12, s23, s18
	s_addc_u32 s15, s15, 0
	s_mul_i32 s14, s19, s14
	s_add_u32 s12, s12, s14
	s_addc_u32 s18, 0, s15
	s_add_u32 s20, s21, s12
	s_cselect_b64 s[14:15], -1, 0
	s_cmp_lg_u64 s[14:15], 0
	s_addc_u32 s18, s19, s18
	s_ashr_i32 s14, s13, 31
	s_add_u32 s12, s5, s14
	s_mov_b32 s15, s14
	s_addc_u32 s13, s13, s14
	s_xor_b64 s[12:13], s[12:13], s[14:15]
	s_mul_i32 s21, s12, s18
	s_mul_hi_u32 s23, s12, s20
	s_mul_hi_u32 s19, s12, s18
	s_add_u32 s21, s23, s21
	s_addc_u32 s19, 0, s19
	s_mul_hi_u32 s24, s13, s20
	s_mul_i32 s20, s13, s20
	s_add_u32 s20, s21, s20
	s_mul_hi_u32 s23, s13, s18
	s_addc_u32 s19, s19, s24
	s_addc_u32 s20, s23, 0
	s_mul_i32 s18, s13, s18
	s_add_u32 s23, s19, s18
	s_addc_u32 s24, 0, s20
	s_mul_i32 s18, s6, s24
	s_mul_hi_u32 s19, s6, s23
	s_add_i32 s18, s19, s18
	s_mul_i32 s19, s7, s23
	s_add_i32 s25, s18, s19
	s_sub_i32 s20, s13, s25
	s_mul_i32 s18, s6, s23
	s_sub_u32 s12, s12, s18
	s_cselect_b64 s[18:19], -1, 0
	s_cmp_lg_u64 s[18:19], 0
	s_subb_u32 s26, s20, s7
	s_sub_u32 s27, s12, s6
	s_cselect_b64 s[20:21], -1, 0
	s_cmp_lg_u64 s[20:21], 0
	s_subb_u32 s20, s26, 0
	s_cmp_ge_u32 s20, s7
	s_cselect_b32 s21, -1, 0
	s_cmp_ge_u32 s27, s6
	s_cselect_b32 s26, -1, 0
	s_cmp_eq_u32 s20, s7
	s_cselect_b32 s20, s26, s21
	s_add_u32 s21, s23, 1
	s_addc_u32 s26, s24, 0
	s_add_u32 s27, s23, 2
	s_addc_u32 s28, s24, 0
	s_cmp_lg_u32 s20, 0
	s_cselect_b32 s20, s27, s21
	s_cselect_b32 s21, s28, s26
	s_cmp_lg_u64 s[18:19], 0
	s_subb_u32 s13, s13, s25
	s_cmp_ge_u32 s13, s7
	s_cselect_b32 s18, -1, 0
	s_cmp_ge_u32 s12, s6
	s_cselect_b32 s6, -1, 0
	s_cmp_eq_u32 s13, s7
	s_cselect_b32 s6, s6, s18
	s_cmp_lg_u32 s6, 0
	s_cselect_b32 s7, s21, s24
	s_cselect_b32 s6, s20, s23
	s_xor_b64 s[12:13], s[14:15], 0
	s_xor_b64 s[6:7], s[6:7], s[12:13]
	s_sub_u32 s6, s6, s12
	s_load_dwordx4 s[12:15], s[0:1], 0x44
	s_cbranch_execnz .LBB17_3
.LBB17_2:
	v_cvt_f32_u32_e32 v1, s22
	s_sub_i32 s6, 0, s22
	v_rcp_iflag_f32_e32 v1, v1
	s_nop 0
	v_mul_f32_e32 v1, 0x4f7ffffe, v1
	v_cvt_u32_f32_e32 v1, v1
	s_nop 0
	v_readfirstlane_b32 s7, v1
	s_mul_i32 s6, s6, s7
	s_mul_hi_u32 s6, s7, s6
	s_add_i32 s7, s7, s6
	s_mul_hi_u32 s6, s5, s7
	s_waitcnt lgkmcnt(0)
	s_mul_i32 s15, s6, s22
	s_sub_i32 s5, s5, s15
	s_add_i32 s7, s6, 1
	s_sub_i32 s15, s5, s22
	s_cmp_ge_u32 s5, s22
	s_cselect_b32 s6, s7, s6
	s_cselect_b32 s5, s15, s5
	s_add_i32 s7, s6, 1
	s_cmp_ge_u32 s5, s22
	s_cselect_b32 s6, s7, s6
.LBB17_3:
	s_add_i32 s5, s2, 1
	s_mul_hi_i32 s21, s11, s5
	s_mov_b32 s20, 0
	s_cmp_lg_u64 s[20:21], 0
	s_mul_i32 s5, s11, s5
	s_cbranch_scc0 .LBB17_21
; %bb.4:
	s_add_u32 s16, s22, 0
	s_addc_u32 s17, 0, 0
	s_xor_b64 s[18:19], s[16:17], 0
	v_cvt_f32_u32_e32 v1, s18
	v_cvt_f32_u32_e32 v2, s19
	s_sub_u32 s7, 0, s18
	s_waitcnt lgkmcnt(0)
	s_subb_u32 s15, 0, s19
	v_fmamk_f32 v1, v2, 0x4f800000, v1
	v_rcp_f32_e32 v1, v1
	s_nop 0
	v_mul_f32_e32 v1, 0x5f7ffffc, v1
	v_mul_f32_e32 v2, 0x2f800000, v1
	v_trunc_f32_e32 v2, v2
	v_fmamk_f32 v1, v2, 0xcf800000, v1
	v_cvt_u32_f32_e32 v2, v2
	v_cvt_u32_f32_e32 v1, v1
	v_readfirstlane_b32 s20, v2
	v_readfirstlane_b32 s23, v1
	s_mul_i32 s24, s7, s20
	s_mul_hi_u32 s26, s7, s23
	s_mul_i32 s25, s15, s23
	s_add_i32 s24, s26, s24
	s_add_i32 s24, s24, s25
	s_mul_i32 s27, s7, s23
	s_mul_i32 s26, s23, s24
	s_mul_hi_u32 s28, s23, s27
	s_mul_hi_u32 s25, s23, s24
	s_add_u32 s26, s28, s26
	s_addc_u32 s25, 0, s25
	s_mul_hi_u32 s29, s20, s27
	s_mul_i32 s27, s20, s27
	s_add_u32 s26, s26, s27
	s_mul_hi_u32 s28, s20, s24
	s_addc_u32 s25, s25, s29
	s_addc_u32 s26, s28, 0
	s_mul_i32 s24, s20, s24
	s_add_u32 s24, s25, s24
	s_addc_u32 s26, 0, s26
	s_add_u32 s23, s23, s24
	s_cselect_b64 s[24:25], -1, 0
	s_cmp_lg_u64 s[24:25], 0
	s_addc_u32 s20, s20, s26
	s_mul_i32 s24, s7, s20
	s_mul_hi_u32 s25, s7, s23
	s_add_i32 s24, s25, s24
	s_mul_i32 s15, s15, s23
	s_add_i32 s24, s24, s15
	s_mul_i32 s7, s7, s23
	s_mul_hi_u32 s25, s20, s7
	s_mul_i32 s26, s20, s7
	s_mul_i32 s28, s23, s24
	s_mul_hi_u32 s7, s23, s7
	s_mul_hi_u32 s27, s23, s24
	s_add_u32 s7, s7, s28
	s_addc_u32 s27, 0, s27
	s_add_u32 s7, s7, s26
	s_mul_hi_u32 s15, s20, s24
	s_addc_u32 s7, s27, s25
	s_addc_u32 s15, s15, 0
	s_mul_i32 s24, s20, s24
	s_add_u32 s7, s7, s24
	s_addc_u32 s15, 0, s15
	s_add_u32 s7, s23, s7
	s_cselect_b64 s[24:25], -1, 0
	s_cmp_lg_u64 s[24:25], 0
	s_addc_u32 s15, s20, s15
	s_ashr_i32 s24, s21, 31
	s_add_u32 s20, s5, s24
	s_mov_b32 s25, s24
	s_addc_u32 s21, s21, s24
	s_xor_b64 s[20:21], s[20:21], s[24:25]
	s_mul_i32 s26, s20, s15
	s_mul_hi_u32 s27, s20, s7
	s_mul_hi_u32 s23, s20, s15
	s_add_u32 s26, s27, s26
	s_addc_u32 s23, 0, s23
	s_mul_hi_u32 s28, s21, s7
	s_mul_i32 s7, s21, s7
	s_add_u32 s7, s26, s7
	s_mul_hi_u32 s27, s21, s15
	s_addc_u32 s7, s23, s28
	s_addc_u32 s23, s27, 0
	s_mul_i32 s15, s21, s15
	s_add_u32 s7, s7, s15
	s_addc_u32 s15, 0, s23
	s_mul_i32 s23, s18, s15
	s_mul_hi_u32 s26, s18, s7
	s_add_i32 s23, s26, s23
	s_mul_i32 s26, s19, s7
	s_add_i32 s23, s23, s26
	s_sub_i32 s28, s21, s23
	s_mul_i32 s26, s18, s7
	s_sub_u32 s20, s20, s26
	s_cselect_b64 s[26:27], -1, 0
	s_cmp_lg_u64 s[26:27], 0
	s_subb_u32 s30, s28, s19
	s_sub_u32 s31, s20, s18
	s_cselect_b64 s[28:29], -1, 0
	s_cmp_lg_u64 s[28:29], 0
	s_subb_u32 s28, s30, 0
	s_cmp_ge_u32 s28, s19
	s_cselect_b32 s29, -1, 0
	s_cmp_ge_u32 s31, s18
	s_cselect_b32 s30, -1, 0
	s_cmp_eq_u32 s28, s19
	s_cselect_b32 s28, s30, s29
	s_add_u32 s29, s7, 1
	s_addc_u32 s30, s15, 0
	s_add_u32 s31, s7, 2
	s_addc_u32 s33, s15, 0
	s_cmp_lg_u32 s28, 0
	s_cselect_b32 s28, s31, s29
	s_cselect_b32 s29, s33, s30
	s_cmp_lg_u64 s[26:27], 0
	s_subb_u32 s21, s21, s23
	s_cmp_ge_u32 s21, s19
	s_cselect_b32 s23, -1, 0
	s_cmp_ge_u32 s20, s18
	s_cselect_b32 s18, -1, 0
	s_cmp_eq_u32 s21, s19
	s_cselect_b32 s18, s18, s23
	s_cmp_lg_u32 s18, 0
	s_cselect_b32 s19, s29, s15
	s_cselect_b32 s18, s28, s7
	s_xor_b64 s[20:21], s[24:25], 0
	s_xor_b64 s[18:19], s[18:19], s[20:21]
	s_sub_u32 s18, s18, s20
	s_cbranch_execnz .LBB17_6
.LBB17_5:
	v_cvt_f32_u32_e32 v1, s22
	s_sub_i32 s7, 0, s22
	v_rcp_iflag_f32_e32 v1, v1
	s_nop 0
	v_mul_f32_e32 v1, 0x4f7ffffe, v1
	v_cvt_u32_f32_e32 v1, v1
	s_waitcnt lgkmcnt(0)
	v_readfirstlane_b32 s15, v1
	s_mul_i32 s7, s7, s15
	s_mul_hi_u32 s7, s15, s7
	s_add_i32 s15, s15, s7
	s_mul_hi_u32 s7, s5, s15
	s_mul_i32 s16, s7, s22
	s_sub_i32 s5, s5, s16
	s_add_i32 s15, s7, 1
	s_sub_i32 s16, s5, s22
	s_cmp_ge_u32 s5, s22
	s_cselect_b32 s7, s15, s7
	s_cselect_b32 s5, s16, s5
	s_add_i32 s15, s7, 1
	s_cmp_ge_u32 s5, s22
	s_cselect_b32 s18, s15, s7
.LBB17_6:
	s_cmp_eq_u32 s6, s18
	s_waitcnt lgkmcnt(0)
	s_mul_hi_u32 s5, s6, s12
	s_cselect_b64 s[16:17], -1, 0
	s_add_i32 s5, s5, s6
	s_lshr_b32 s7, s5, s13
	s_mul_i32 s5, s7, s14
	s_cmp_eq_u32 s5, s6
	s_mul_hi_u32 s5, s18, s12
	s_cselect_b64 s[20:21], -1, 0
	s_add_i32 s5, s5, s18
	s_lshr_b32 s5, s5, s13
	s_cmp_eq_u32 s7, s5
	s_mul_i32 s5, s5, s14
	s_cselect_b64 s[24:25], -1, 0
	s_cmp_lg_u32 s5, s18
	s_cselect_b64 s[18:19], -1, 0
	s_and_b64 s[18:19], s[24:25], s[18:19]
	s_or_b64 s[16:17], s[16:17], s[20:21]
	s_or_b64 s[16:17], s[16:17], s[18:19]
	s_and_b64 vcc, exec, s[16:17]
	s_cbranch_vccnz .LBB17_23
; %bb.7:
	s_load_dwordx8 s[24:31], s[0:1], 0x20
	s_load_dword s5, s[0:1], 0x40
	s_waitcnt lgkmcnt(0)
	s_mul_hi_u32 s15, s6, s24
	s_add_i32 s15, s15, s6
	s_lshr_b32 s20, s15, s25
	s_mul_i32 s15, s20, s26
	s_sub_i32 s15, s6, s15
	s_mul_hi_u32 s16, s15, s27
	s_add_i32 s16, s15, s16
	s_lshr_b32 s21, s16, s28
	s_mul_i32 s16, s21, s29
	s_sub_i32 s15, s15, s16
	;; [unrolled: 5-line block ×3, first 2 shown]
	s_mul_hi_u32 s15, s5, s12
	s_add_i32 s5, s5, s15
	s_lshr_b32 s23, s5, s13
	s_lshl_b32 s5, s23, 2
	s_lshl_b32 s24, s16, 3
	s_add_i32 s5, s5, s3
	s_cmp_lt_i32 s5, s8
	s_cselect_b64 s[16:17], -1, 0
	s_add_i32 s24, s24, s4
	s_cmp_lt_i32 s24, s10
	s_cselect_b64 s[18:19], -1, 0
	s_and_b64 s[16:17], s[16:17], s[18:19]
	s_andn2_b64 vcc, exec, s[16:17]
	s_cbranch_vccnz .LBB17_23
; %bb.8:
	s_load_dwordx4 s[16:19], s[0:1], 0x0
	s_mov_b32 s0, 0
	s_lshl_b32 s15, s3, 3
	s_lshl_b32 s26, s22, 7
	s_mov_b32 s27, s0
	s_add_i32 s15, s15, s4
	s_lshl_b64 s[4:5], s[26:27], 2
	s_waitcnt lgkmcnt(0)
	s_add_u32 s4, s18, s4
	s_mul_i32 s1, s20, s8
	s_addc_u32 s5, s19, s5
	s_mul_i32 s21, s21, s10
	s_add_i32 s1, s1, s3
	s_mul_i32 s1, s1, s9
	s_add_i32 s3, s24, s21
	;; [unrolled: 2-line block ×3, first 2 shown]
	s_mulk_i32 s8, 0x180
	s_mulk_i32 s1, 0x60
	s_add_i32 s8, s8, s1
	v_add_u32_e32 v4, s8, v0
	v_mov_b32_e32 v2, s16
	v_mov_b32_e32 v3, s17
	v_ashrrev_i32_e32 v5, 31, v4
	v_lshl_add_u64 v[2:3], v[4:5], 2, v[2:3]
	global_load_dword v1, v[2:3], off
	v_cvt_f32_u32_e32 v4, s22
	s_lshl_b32 s1, s2, 5
	s_add_i32 s8, s15, s1
	s_ashr_i32 s9, s8, 31
	s_lshl_b64 s[8:9], s[8:9], 3
	v_rcp_iflag_f32_e32 v4, v4
	s_add_u32 s8, s18, s8
	s_addc_u32 s9, s19, s9
	s_load_dwordx2 s[8:9], s[8:9], 0x0
	v_mul_f32_e32 v4, 0x4f7ffffe, v4
	v_cvt_u32_f32_e32 v7, v4
	s_mul_i32 s1, s15, 0x60
	s_add_i32 s21, s2, -1
	v_add_u32_e32 v6, s1, v0
	s_waitcnt lgkmcnt(0)
	v_mov_b32_e32 v0, s9
	v_mov_b32_e32 v9, s8
	s_mov_b32 s10, 0x3fb8aa3b
	s_mov_b32 s20, 0xc2ce8ed0
	;; [unrolled: 1-line block ×4, first 2 shown]
	v_mov_b32_e32 v8, 0x7f800000
	s_mul_hi_i32 s1, s21, s11
	s_cmp_lg_u64 s[0:1], 0
	s_mul_i32 s16, s21, s11
	s_cbranch_scc0 .LBB17_19
.LBB17_9:
	s_add_u32 s2, s22, 0
	s_addc_u32 s3, 0, 0
	s_xor_b64 s[2:3], s[2:3], 0
	v_cvt_f32_u32_e32 v4, s2
	v_cvt_f32_u32_e32 v5, s3
	s_sub_u32 s17, 0, s2
	s_subb_u32 s25, 0, s3
	v_fmac_f32_e32 v4, 0x4f800000, v5
	v_rcp_f32_e32 v4, v4
	s_nop 0
	v_mul_f32_e32 v4, 0x5f7ffffc, v4
	v_mul_f32_e32 v5, 0x2f800000, v4
	v_trunc_f32_e32 v5, v5
	v_fmac_f32_e32 v4, 0xcf800000, v5
	v_cvt_u32_f32_e32 v5, v5
	v_cvt_u32_f32_e32 v4, v4
	v_readfirstlane_b32 s26, v5
	v_readfirstlane_b32 s8, v4
	s_mul_i32 s9, s17, s26
	s_mul_hi_u32 s28, s17, s8
	s_mul_i32 s27, s25, s8
	s_add_i32 s9, s28, s9
	s_mul_i32 s29, s17, s8
	s_add_i32 s9, s9, s27
	s_mul_i32 s28, s8, s9
	s_mul_hi_u32 s30, s8, s29
	s_mul_hi_u32 s27, s8, s9
	s_add_u32 s28, s30, s28
	s_addc_u32 s27, 0, s27
	s_mul_hi_u32 s31, s26, s29
	s_mul_i32 s29, s26, s29
	s_add_u32 s28, s28, s29
	s_mul_hi_u32 s30, s26, s9
	s_addc_u32 s27, s27, s31
	s_addc_u32 s28, s30, 0
	s_mul_i32 s9, s26, s9
	s_add_u32 s9, s27, s9
	s_addc_u32 s27, 0, s28
	s_add_u32 s28, s8, s9
	s_cselect_b64 s[8:9], -1, 0
	s_cmp_lg_u64 s[8:9], 0
	s_addc_u32 s26, s26, s27
	s_mul_i32 s8, s17, s26
	s_mul_hi_u32 s9, s17, s28
	s_add_i32 s8, s9, s8
	s_mul_i32 s25, s25, s28
	s_add_i32 s8, s8, s25
	s_mul_i32 s17, s17, s28
	s_mul_hi_u32 s25, s26, s17
	s_mul_i32 s27, s26, s17
	s_mul_i32 s30, s28, s8
	s_mul_hi_u32 s17, s28, s17
	s_mul_hi_u32 s29, s28, s8
	s_add_u32 s17, s17, s30
	s_addc_u32 s29, 0, s29
	s_add_u32 s17, s17, s27
	s_mul_hi_u32 s9, s26, s8
	s_addc_u32 s17, s29, s25
	s_addc_u32 s9, s9, 0
	s_mul_i32 s8, s26, s8
	s_add_u32 s8, s17, s8
	s_addc_u32 s17, 0, s9
	s_add_u32 s25, s28, s8
	s_cselect_b64 s[8:9], -1, 0
	s_cmp_lg_u64 s[8:9], 0
	s_addc_u32 s17, s26, s17
	s_ashr_i32 s8, s1, 31
	s_add_u32 s26, s16, s8
	s_mov_b32 s9, s8
	s_addc_u32 s27, s1, s8
	s_xor_b64 s[26:27], s[26:27], s[8:9]
	s_mul_i32 s28, s26, s17
	s_mul_hi_u32 s29, s26, s25
	s_mul_hi_u32 s1, s26, s17
	s_add_u32 s28, s29, s28
	s_addc_u32 s1, 0, s1
	s_mul_hi_u32 s30, s27, s25
	s_mul_i32 s25, s27, s25
	s_add_u32 s25, s28, s25
	s_mul_hi_u32 s29, s27, s17
	s_addc_u32 s1, s1, s30
	s_addc_u32 s25, s29, 0
	s_mul_i32 s17, s27, s17
	s_add_u32 s1, s1, s17
	s_addc_u32 s17, 0, s25
	s_mul_i32 s25, s2, s17
	s_mul_hi_u32 s28, s2, s1
	s_add_i32 s25, s28, s25
	s_mul_i32 s28, s3, s1
	s_add_i32 s25, s25, s28
	s_sub_i32 s30, s27, s25
	s_mul_i32 s28, s2, s1
	s_sub_u32 s26, s26, s28
	s_cselect_b64 s[28:29], -1, 0
	s_cmp_lg_u64 s[28:29], 0
	s_subb_u32 s33, s30, s3
	s_sub_u32 s34, s26, s2
	s_cselect_b64 s[30:31], -1, 0
	s_cmp_lg_u64 s[30:31], 0
	s_subb_u32 s30, s33, 0
	s_cmp_ge_u32 s30, s3
	s_cselect_b32 s31, -1, 0
	s_cmp_ge_u32 s34, s2
	s_cselect_b32 s33, -1, 0
	s_cmp_eq_u32 s30, s3
	s_cselect_b32 s30, s33, s31
	s_add_u32 s31, s1, 1
	s_addc_u32 s33, s17, 0
	s_add_u32 s34, s1, 2
	s_addc_u32 s35, s17, 0
	s_cmp_lg_u32 s30, 0
	s_cselect_b32 s30, s34, s31
	s_cselect_b32 s31, s35, s33
	s_cmp_lg_u64 s[28:29], 0
	s_subb_u32 s25, s27, s25
	s_cmp_ge_u32 s25, s3
	s_cselect_b32 s27, -1, 0
	s_cmp_ge_u32 s26, s2
	s_cselect_b32 s2, -1, 0
	s_cmp_eq_u32 s25, s3
	s_cselect_b32 s2, s2, s27
	s_cmp_lg_u32 s2, 0
	s_cselect_b32 s3, s31, s17
	s_cselect_b32 s2, s30, s1
	s_xor_b64 s[8:9], s[8:9], 0
	s_xor_b64 s[2:3], s[2:3], s[8:9]
	s_sub_u32 s8, s2, s8
	s_cbranch_execnz .LBB17_11
.LBB17_10:
	s_sub_i32 s1, 0, s22
	v_readfirstlane_b32 s2, v7
	s_mul_i32 s1, s1, s2
	s_mul_hi_u32 s1, s2, s1
	s_add_i32 s2, s2, s1
	s_mul_hi_u32 s1, s16, s2
	s_mul_i32 s3, s1, s22
	s_sub_i32 s3, s16, s3
	s_add_i32 s2, s1, 1
	s_sub_i32 s8, s3, s22
	s_cmp_ge_u32 s3, s22
	s_cselect_b32 s1, s2, s1
	s_cselect_b32 s3, s8, s3
	s_add_i32 s2, s1, 1
	s_cmp_ge_u32 s3, s22
	s_cselect_b32 s8, s2, s1
.LBB17_11:
	s_cmp_lg_u32 s6, s8
	s_cbranch_scc0 .LBB17_15
; %bb.12:
	s_add_i32 s1, s21, s22
	s_lshl_b32 s1, s1, 5
	s_add_i32 s2, s1, s15
	s_mov_b32 s3, s0
	s_lshl_b64 s[2:3], s[2:3], 3
	s_add_u32 s16, s18, s2
	s_mul_hi_u32 s1, s8, s12
	s_addc_u32 s17, s19, s3
	s_add_i32 s1, s1, s8
	s_lshr_b32 s1, s1, s13
	s_mul_i32 s2, s1, s14
	s_cmp_eq_u32 s2, s8
	s_cselect_b64 s[2:3], -1, 0
	s_cmp_lt_u32 s1, s7
	s_cselect_b64 s[26:27], -1, 0
	s_or_b64 s[26:27], s[26:27], s[2:3]
	s_mov_b64 s[2:3], -1
	s_and_b64 vcc, exec, s[26:27]
	s_mov_b32 s1, s21
	s_mov_b32 s25, s6
	s_cbranch_vccnz .LBB17_14
; %bb.13:
	s_add_i32 s1, s21, -1
	s_mov_b64 s[2:3], 0
	s_mov_b32 s25, s8
.LBB17_14:
	s_mul_i32 s8, s21, 0xc00
	v_add_u32_e32 v4, s8, v6
	v_ashrrev_i32_e32 v5, 31, v4
	v_lshl_add_u64 v[4:5], v[4:5], 2, s[4:5]
	global_load_dword v5, v[4:5], off
	s_load_dwordx2 s[8:9], s[16:17], 0x0
	v_max_f32_e32 v4, v9, v9
	s_waitcnt lgkmcnt(0)
	v_max_f32_e64 v10, s8, s8
	v_max_f32_e32 v10, v4, v10
	v_sub_f32_e32 v11, v9, v10
	v_sub_f32_e32 v13, s8, v10
	v_mul_f32_e32 v4, 0x3fb8aa3b, v11
	v_mul_f32_e32 v12, 0x3fb8aa3b, v13
	v_fma_f32 v14, v11, s10, -v4
	v_rndne_f32_e32 v15, v4
	v_fma_f32 v16, v13, s10, -v12
	v_rndne_f32_e32 v17, v12
	v_fmac_f32_e32 v14, 0x32a5705f, v11
	v_sub_f32_e32 v4, v4, v15
	v_fmac_f32_e32 v16, 0x32a5705f, v13
	v_sub_f32_e32 v12, v12, v17
	v_add_f32_e32 v4, v4, v14
	v_cvt_i32_f32_e32 v15, v15
	v_add_f32_e32 v12, v12, v16
	v_exp_f32_e32 v14, v4
	v_cvt_i32_f32_e32 v17, v17
	v_exp_f32_e32 v12, v12
	v_cmp_ngt_f32_e32 vcc, s20, v11
	v_ldexp_f32 v14, v14, v15
	v_mov_b32_e32 v4, s9
	v_ldexp_f32 v12, v12, v17
	v_cndmask_b32_e32 v14, 0, v14, vcc
	v_cmp_ngt_f32_e32 vcc, s20, v13
	s_nop 1
	v_cndmask_b32_e32 v12, 0, v12, vcc
	v_cmp_nlt_f32_e32 vcc, s23, v11
	s_nop 1
	v_cndmask_b32_e32 v14, v8, v14, vcc
	v_cmp_nlt_f32_e32 vcc, s23, v13
	s_nop 1
	v_cndmask_b32_e32 v15, v8, v12, vcc
	v_cmp_le_f32_e32 vcc, s24, v11
	s_nop 1
	v_cndmask_b32_e32 v12, 0, v14, vcc
	v_cmp_le_f32_e32 vcc, s24, v13
	s_nop 1
	v_cndmask_b32_e32 v14, 0, v15, vcc
	s_waitcnt vmcnt(0)
	v_pk_mul_f32 v[4:5], v[4:5], v[14:15] op_sel_hi:[1,0]
	s_nop 0
	v_pk_fma_f32 v[4:5], v[0:1], v[12:13], v[4:5] op_sel_hi:[1,0,1]
	s_cbranch_execz .LBB17_16
	s_branch .LBB17_17
.LBB17_15:
                                        ; implicit-def: $vgpr4_vgpr5
                                        ; implicit-def: $sgpr2_sgpr3
                                        ; implicit-def: $vgpr10
                                        ; implicit-def: $sgpr1
                                        ; implicit-def: $sgpr25
.LBB17_16:
	s_add_i32 s1, s21, -1
	s_mov_b64 s[2:3], 0
	s_mov_b32 s25, s6
	v_mov_b32_e32 v10, v9
	s_waitcnt vmcnt(0)
	v_mov_b64_e32 v[4:5], v[0:1]
.LBB17_17:
	s_andn2_b64 vcc, exec, s[2:3]
	s_cbranch_vccz .LBB17_22
; %bb.18:
	s_mov_b32 s6, s25
	s_mov_b32 s21, s1
	v_mov_b32_e32 v9, v10
	s_waitcnt vmcnt(0)
	v_mov_b64_e32 v[0:1], v[4:5]
	s_mul_hi_i32 s1, s21, s11
	s_cmp_lg_u64 s[0:1], 0
	s_mul_i32 s16, s21, s11
	s_cbranch_scc1 .LBB17_9
.LBB17_19:
                                        ; implicit-def: $sgpr8_sgpr9
	s_branch .LBB17_10
.LBB17_20:
                                        ; implicit-def: $sgpr6_sgpr7
	s_load_dwordx4 s[12:15], s[0:1], 0x44
	s_branch .LBB17_2
.LBB17_21:
                                        ; implicit-def: $sgpr18_sgpr19
	s_branch .LBB17_5
.LBB17_22:
	v_div_scale_f32 v0, s[0:1], v4, v4, v5
	s_waitcnt vmcnt(0)
	v_rcp_f32_e32 v1, v0
	v_div_scale_f32 v6, vcc, v5, v4, v5
	v_fma_f32 v7, -v0, v1, 1.0
	v_fmac_f32_e32 v1, v7, v1
	v_mul_f32_e32 v7, v6, v1
	v_fma_f32 v8, -v0, v7, v6
	v_fmac_f32_e32 v7, v8, v1
	v_fma_f32 v0, -v0, v7, v6
	v_div_fmas_f32 v0, v0, v1, v7
	v_div_fixup_f32 v0, v0, v4, v5
	global_store_dword v[2:3], v0, off
.LBB17_23:
	s_endpgm
	.section	.rodata,"a",@progbits
	.p2align	6, 0x0
	.amdhsa_kernel _ZL33flash_attn_stream_k_fixup_generalILi96ELi4ELi8EEvPfPK15HIP_vector_typeIfLj2EEiiiiS1_IjLj3EES5_S5_S5_
		.amdhsa_group_segment_fixed_size 0
		.amdhsa_private_segment_fixed_size 0
		.amdhsa_kernarg_size 336
		.amdhsa_user_sgpr_count 2
		.amdhsa_user_sgpr_dispatch_ptr 0
		.amdhsa_user_sgpr_queue_ptr 0
		.amdhsa_user_sgpr_kernarg_segment_ptr 1
		.amdhsa_user_sgpr_dispatch_id 0
		.amdhsa_user_sgpr_kernarg_preload_length 0
		.amdhsa_user_sgpr_kernarg_preload_offset 0
		.amdhsa_user_sgpr_private_segment_size 0
		.amdhsa_uses_dynamic_stack 0
		.amdhsa_enable_private_segment 0
		.amdhsa_system_sgpr_workgroup_id_x 1
		.amdhsa_system_sgpr_workgroup_id_y 1
		.amdhsa_system_sgpr_workgroup_id_z 1
		.amdhsa_system_sgpr_workgroup_info 0
		.amdhsa_system_vgpr_workitem_id 0
		.amdhsa_next_free_vgpr 18
		.amdhsa_next_free_sgpr 36
		.amdhsa_accum_offset 20
		.amdhsa_reserve_vcc 1
		.amdhsa_float_round_mode_32 0
		.amdhsa_float_round_mode_16_64 0
		.amdhsa_float_denorm_mode_32 3
		.amdhsa_float_denorm_mode_16_64 3
		.amdhsa_dx10_clamp 1
		.amdhsa_ieee_mode 1
		.amdhsa_fp16_overflow 0
		.amdhsa_tg_split 0
		.amdhsa_exception_fp_ieee_invalid_op 0
		.amdhsa_exception_fp_denorm_src 0
		.amdhsa_exception_fp_ieee_div_zero 0
		.amdhsa_exception_fp_ieee_overflow 0
		.amdhsa_exception_fp_ieee_underflow 0
		.amdhsa_exception_fp_ieee_inexact 0
		.amdhsa_exception_int_div_zero 0
	.end_amdhsa_kernel
	.section	.text._ZL33flash_attn_stream_k_fixup_generalILi96ELi4ELi8EEvPfPK15HIP_vector_typeIfLj2EEiiiiS1_IjLj3EES5_S5_S5_,"axG",@progbits,_ZL33flash_attn_stream_k_fixup_generalILi96ELi4ELi8EEvPfPK15HIP_vector_typeIfLj2EEiiiiS1_IjLj3EES5_S5_S5_,comdat
.Lfunc_end17:
	.size	_ZL33flash_attn_stream_k_fixup_generalILi96ELi4ELi8EEvPfPK15HIP_vector_typeIfLj2EEiiiiS1_IjLj3EES5_S5_S5_, .Lfunc_end17-_ZL33flash_attn_stream_k_fixup_generalILi96ELi4ELi8EEvPfPK15HIP_vector_typeIfLj2EEiiiiS1_IjLj3EES5_S5_S5_
                                        ; -- End function
	.set _ZL33flash_attn_stream_k_fixup_generalILi96ELi4ELi8EEvPfPK15HIP_vector_typeIfLj2EEiiiiS1_IjLj3EES5_S5_S5_.num_vgpr, 18
	.set _ZL33flash_attn_stream_k_fixup_generalILi96ELi4ELi8EEvPfPK15HIP_vector_typeIfLj2EEiiiiS1_IjLj3EES5_S5_S5_.num_agpr, 0
	.set _ZL33flash_attn_stream_k_fixup_generalILi96ELi4ELi8EEvPfPK15HIP_vector_typeIfLj2EEiiiiS1_IjLj3EES5_S5_S5_.numbered_sgpr, 36
	.set _ZL33flash_attn_stream_k_fixup_generalILi96ELi4ELi8EEvPfPK15HIP_vector_typeIfLj2EEiiiiS1_IjLj3EES5_S5_S5_.num_named_barrier, 0
	.set _ZL33flash_attn_stream_k_fixup_generalILi96ELi4ELi8EEvPfPK15HIP_vector_typeIfLj2EEiiiiS1_IjLj3EES5_S5_S5_.private_seg_size, 0
	.set _ZL33flash_attn_stream_k_fixup_generalILi96ELi4ELi8EEvPfPK15HIP_vector_typeIfLj2EEiiiiS1_IjLj3EES5_S5_S5_.uses_vcc, 1
	.set _ZL33flash_attn_stream_k_fixup_generalILi96ELi4ELi8EEvPfPK15HIP_vector_typeIfLj2EEiiiiS1_IjLj3EES5_S5_S5_.uses_flat_scratch, 0
	.set _ZL33flash_attn_stream_k_fixup_generalILi96ELi4ELi8EEvPfPK15HIP_vector_typeIfLj2EEiiiiS1_IjLj3EES5_S5_S5_.has_dyn_sized_stack, 0
	.set _ZL33flash_attn_stream_k_fixup_generalILi96ELi4ELi8EEvPfPK15HIP_vector_typeIfLj2EEiiiiS1_IjLj3EES5_S5_S5_.has_recursion, 0
	.set _ZL33flash_attn_stream_k_fixup_generalILi96ELi4ELi8EEvPfPK15HIP_vector_typeIfLj2EEiiiiS1_IjLj3EES5_S5_S5_.has_indirect_call, 0
	.section	.AMDGPU.csdata,"",@progbits
; Kernel info:
; codeLenInByte = 2944
; TotalNumSgprs: 42
; NumVgprs: 18
; NumAgprs: 0
; TotalNumVgprs: 18
; ScratchSize: 0
; MemoryBound: 0
; FloatMode: 240
; IeeeMode: 1
; LDSByteSize: 0 bytes/workgroup (compile time only)
; SGPRBlocks: 5
; VGPRBlocks: 2
; NumSGPRsForWavesPerEU: 42
; NumVGPRsForWavesPerEU: 18
; AccumOffset: 20
; Occupancy: 8
; WaveLimiterHint : 0
; COMPUTE_PGM_RSRC2:SCRATCH_EN: 0
; COMPUTE_PGM_RSRC2:USER_SGPR: 2
; COMPUTE_PGM_RSRC2:TRAP_HANDLER: 0
; COMPUTE_PGM_RSRC2:TGID_X_EN: 1
; COMPUTE_PGM_RSRC2:TGID_Y_EN: 1
; COMPUTE_PGM_RSRC2:TGID_Z_EN: 1
; COMPUTE_PGM_RSRC2:TIDIG_COMP_CNT: 0
; COMPUTE_PGM_RSRC3_GFX90A:ACCUM_OFFSET: 4
; COMPUTE_PGM_RSRC3_GFX90A:TG_SPLIT: 0
	.section	.text._ZL26flash_attn_combine_resultsILi96EEvPKfPK15HIP_vector_typeIfLj2EEPfi,"axG",@progbits,_ZL26flash_attn_combine_resultsILi96EEvPKfPK15HIP_vector_typeIfLj2EEPfi,comdat
	.globl	_ZL26flash_attn_combine_resultsILi96EEvPKfPK15HIP_vector_typeIfLj2EEPfi ; -- Begin function _ZL26flash_attn_combine_resultsILi96EEvPKfPK15HIP_vector_typeIfLj2EEPfi
	.p2align	8
	.type	_ZL26flash_attn_combine_resultsILi96EEvPKfPK15HIP_vector_typeIfLj2EEPfi,@function
_ZL26flash_attn_combine_resultsILi96EEvPKfPK15HIP_vector_typeIfLj2EEPfi: ; @_ZL26flash_attn_combine_resultsILi96EEvPKfPK15HIP_vector_typeIfLj2EEPfi
; %bb.0:
	s_load_dwordx2 s[6:7], s[0:1], 0x20
	s_load_dword s25, s[0:1], 0x18
	s_load_dwordx4 s[16:19], s[0:1], 0x0
	s_load_dwordx2 s[14:15], s[0:1], 0x10
	s_waitcnt lgkmcnt(0)
	s_mul_i32 s0, s6, s4
	s_add_i32 s0, s0, s2
	s_mul_i32 s24, s0, s7
	s_add_i32 s24, s24, s3
	s_lshl_b32 s12, s25, 1
	s_mul_i32 s2, s24, s25
	v_cmp_gt_i32_e32 vcc, s12, v0
	s_and_saveexec_b64 s[0:1], vcc
	s_cbranch_execz .LBB18_13
; %bb.1:
	v_xad_u32 v1, v0, -1, s12
	s_movk_i32 s4, 0x5f
	s_ashr_i32 s3, s2, 31
	v_cmp_lt_u32_e32 vcc, s4, v1
	s_mov_b64 s[6:7], -1
	v_mov_b32_e32 v2, v0
	s_and_saveexec_b64 s[4:5], vcc
	s_cbranch_execz .LBB18_10
; %bb.2:
	s_mov_b32 s6, 0xaaaaaaab
	v_mul_hi_u32 v1, v1, s6
	v_lshrrev_b32_e32 v6, 6, v1
	s_lshl_b64 s[6:7], s[2:3], 3
	v_add_u32_e32 v2, -1, v6
	s_add_u32 s6, s18, s6
	v_add_u32_e32 v1, 0x60, v0
	v_lshrrev_b32_e32 v3, 1, v2
	s_addc_u32 s7, s19, s7
	v_add_u32_e32 v7, 1, v3
	v_cmp_lt_u32_e32 vcc, 13, v2
	v_mov_b32_e32 v4, 0
	v_mov_b64_e32 v[2:3], v[0:1]
	s_and_saveexec_b64 s[8:9], vcc
	s_cbranch_execz .LBB18_6
; %bb.3:
	v_and_b32_e32 v8, -8, v7
	s_mov_b32 s13, 0
	v_lshl_add_u32 v9, v0, 2, 0
	s_mov_b64 s[10:11], 0
	v_mov_b32_e32 v5, 0
	v_mov_b64_e32 v[2:3], v[0:1]
.LBB18_4:                               ; =>This Inner Loop Header: Depth=1
	v_mov_b32_e32 v4, v2
	v_lshl_add_u64 v[24:25], v[4:5], 2, s[6:7]
	v_mov_b32_e32 v4, v3
	v_add_u32_e32 v10, 0xc0, v3
	v_mov_b32_e32 v11, v5
	v_lshl_add_u64 v[26:27], v[4:5], 2, s[6:7]
	v_add_u32_e32 v4, 0xc0, v2
	v_lshl_add_u64 v[10:11], v[10:11], 2, s[6:7]
	global_load_dword v1, v[24:25], off
	v_lshl_add_u64 v[24:25], v[4:5], 2, s[6:7]
	v_add_u32_e32 v4, 0x180, v2
	global_load_dword v28, v[26:27], off
	global_load_dword v29, v[24:25], off
	;; [unrolled: 1-line block ×3, first 2 shown]
	v_lshl_add_u64 v[10:11], v[4:5], 2, s[6:7]
	v_add_u32_e32 v4, 0x240, v2
	v_add_u32_e32 v12, 0x180, v3
	v_mov_b32_e32 v13, v5
	v_add_u32_e32 v14, 0x240, v3
	v_mov_b32_e32 v15, v5
	v_lshl_add_u64 v[24:25], v[4:5], 2, s[6:7]
	v_add_u32_e32 v4, 0x300, v2
	v_lshl_add_u64 v[12:13], v[12:13], 2, s[6:7]
	v_lshl_add_u64 v[14:15], v[14:15], 2, s[6:7]
	global_load_dword v26, v[10:11], off
	global_load_dword v27, v[12:13], off
	;; [unrolled: 1-line block ×4, first 2 shown]
	v_lshl_add_u64 v[10:11], v[4:5], 2, s[6:7]
	v_add_u32_e32 v4, 0x3c0, v2
	v_add_u32_e32 v16, 0x300, v3
	v_mov_b32_e32 v17, v5
	v_add_u32_e32 v18, 0x3c0, v3
	v_mov_b32_e32 v19, v5
	v_lshl_add_u64 v[12:13], v[4:5], 2, s[6:7]
	v_add_u32_e32 v4, 0x480, v2
	v_add_u32_e32 v20, 0x480, v3
	v_mov_b32_e32 v21, v5
	v_add_u32_e32 v22, 0x540, v3
	v_mov_b32_e32 v23, v5
	v_lshl_add_u64 v[16:17], v[16:17], 2, s[6:7]
	v_lshl_add_u64 v[18:19], v[18:19], 2, s[6:7]
	global_load_dword v14, v[10:11], off
	global_load_dword v15, v[16:17], off
	;; [unrolled: 1-line block ×4, first 2 shown]
	v_lshl_add_u64 v[10:11], v[4:5], 2, s[6:7]
	v_add_u32_e32 v4, 0x540, v2
	v_lshl_add_u64 v[20:21], v[20:21], 2, s[6:7]
	v_lshl_add_u64 v[22:23], v[22:23], 2, s[6:7]
	;; [unrolled: 1-line block ×3, first 2 shown]
	global_load_dword v16, v[10:11], off
	global_load_dword v17, v[20:21], off
	;; [unrolled: 1-line block ×4, first 2 shown]
	v_add_u32_e32 v8, -8, v8
	s_add_i32 s13, s13, 16
	v_cmp_eq_u32_e32 vcc, 0, v8
	v_add_u32_e32 v10, 0x200, v9
	v_add_u32_e32 v11, 0x400, v9
	v_add_u32_e32 v12, 0x800, v9
	v_add_u32_e32 v13, 0xc00, v9
	v_add_u32_e32 v20, 0xe00, v9
	v_add_u32_e32 v21, 0x1000, v9
	v_add_u32_e32 v22, 0x1400, v9
	v_add_u32_e32 v3, 0x600, v3
	v_mov_b32_e32 v4, s13
	s_or_b64 s[10:11], vcc, s[10:11]
	v_add_u32_e32 v2, 0x600, v2
	s_waitcnt vmcnt(14)
	ds_write2_b32 v9, v1, v28 offset1:96
	v_add_u32_e32 v9, 0x1800, v9
	s_waitcnt vmcnt(12)
	ds_write2_b32 v10, v29, v30 offset0:64 offset1:160
	s_waitcnt vmcnt(10)
	ds_write2_b32 v11, v26, v27 offset0:128 offset1:224
	;; [unrolled: 2-line block ×3, first 2 shown]
	s_waitcnt vmcnt(6)
	ds_write2_b32 v13, v14, v15 offset1:96
	s_waitcnt vmcnt(4)
	ds_write2_b32 v20, v24, v25 offset0:64 offset1:160
	s_waitcnt vmcnt(2)
	ds_write2_b32 v21, v16, v17 offset0:128 offset1:224
	;; [unrolled: 2-line block ×3, first 2 shown]
	s_andn2_b64 exec, exec, s[10:11]
	s_cbranch_execnz .LBB18_4
; %bb.5:
	s_or_b64 exec, exec, s[10:11]
.LBB18_6:
	s_or_b64 exec, exec, s[8:9]
	v_and_b32_e32 v1, 7, v7
	v_cmp_ne_u32_e32 vcc, 0, v1
	s_and_saveexec_b64 s[8:9], vcc
	s_cbranch_execz .LBB18_9
; %bb.7:
	s_movk_i32 s10, 0x180
	v_mul_lo_u32 v4, v4, s10
	v_lshlrev_b32_e32 v5, 2, v0
	v_add3_u32 v7, v4, v5, 0
	s_mov_b64 s[10:11], 0
	v_mov_b32_e32 v5, 0
.LBB18_8:                               ; =>This Inner Loop Header: Depth=1
	v_mov_b32_e32 v4, v2
	v_lshl_add_u64 v[8:9], v[4:5], 2, s[6:7]
	v_mov_b32_e32 v4, v3
	v_lshl_add_u64 v[10:11], v[4:5], 2, s[6:7]
	global_load_dword v4, v[8:9], off
	global_load_dword v12, v[10:11], off
	v_add_u32_e32 v1, -1, v1
	v_cmp_eq_u32_e32 vcc, 0, v1
	v_add_u32_e32 v2, 0xc0, v2
	v_add_u32_e32 v3, 0xc0, v3
	s_or_b64 s[10:11], vcc, s[10:11]
	s_waitcnt vmcnt(0)
	ds_write2_b32 v7, v4, v12 offset1:96
	v_add_u32_e32 v7, 0x300, v7
	s_andn2_b64 exec, exec, s[10:11]
	s_cbranch_execnz .LBB18_8
.LBB18_9:
	s_or_b64 exec, exec, s[8:9]
	v_add_u32_e32 v1, 1, v6
	v_and_b32_e32 v4, 0x7fffffe, v1
	s_movk_i32 s6, 0x60
	v_mad_u64_u32 v[2:3], s[6:7], v4, s6, v[0:1]
	v_cmp_ne_u32_e32 vcc, v1, v4
	s_orn2_b64 s[6:7], vcc, exec
.LBB18_10:
	s_or_b64 exec, exec, s[4:5]
	s_and_b64 exec, exec, s[6:7]
	s_cbranch_execz .LBB18_13
; %bb.11:
	s_lshl_b64 s[4:5], s[2:3], 3
	s_add_u32 s4, s18, s4
	v_mov_b32_e32 v3, 0
	s_addc_u32 s5, s19, s5
	v_lshl_add_u64 v[4:5], v[2:3], 2, s[4:5]
	v_lshl_add_u32 v1, v2, 2, 0
	s_mov_b64 s[4:5], 0
	s_mov_b64 s[6:7], 0x180
.LBB18_12:                              ; =>This Inner Loop Header: Depth=1
	global_load_dword v3, v[4:5], off
	v_add_u32_e32 v2, 0x60, v2
	v_cmp_le_i32_e32 vcc, s12, v2
	v_lshl_add_u64 v[4:5], v[4:5], 0, s[6:7]
	s_or_b64 s[4:5], vcc, s[4:5]
	s_waitcnt vmcnt(0)
	ds_write_b32 v1, v3
	v_add_u32_e32 v1, 0x180, v1
	s_andn2_b64 exec, exec, s[4:5]
	s_cbranch_execnz .LBB18_12
.LBB18_13:
	s_or_b64 exec, exec, s[0:1]
	v_mov_b32_e32 v1, 0
	s_waitcnt lgkmcnt(0)
	s_barrier
	ds_read_b32 v1, v1
	s_cmp_lt_i32 s25, 2
	s_cbranch_scc1 .LBB18_21
; %bb.14:
	s_cmp_eq_u32 s25, 2
	s_cbranch_scc1 .LBB18_18
; %bb.15:
	s_add_i32 s3, s25, -1
	s_and_b32 s4, s3, -2
	s_add_i32 s6, 0, 8
	s_mov_b32 s5, 2
	s_waitcnt lgkmcnt(0)
	v_mov_b32_e32 v4, v1
.LBB18_16:                              ; =>This Inner Loop Header: Depth=1
	v_mov_b32_e32 v2, v1
	v_mov_b32_e32 v1, s6
	;; [unrolled: 1-line block ×3, first 2 shown]
	ds_read2_b32 v[4:5], v1 offset1:2
	s_cmp_lg_u32 s4, s5
	s_cselect_b64 s[8:9], -1, 0
	v_max_f32_e32 v1, v3, v3
	v_max_f32_e32 v6, v2, v2
	s_waitcnt lgkmcnt(0)
	v_cmp_u_f32_e32 vcc, v5, v5
	v_max_f32_e32 v7, v5, v5
	v_max_f32_e32 v8, v4, v4
	v_cndmask_b32_e64 v5, 0, 1, vcc
	v_cmp_u_f32_e32 vcc, v4, v4
	v_readfirstlane_b32 s0, v5
	s_lshl_b32 s0, s0, 1
	v_cndmask_b32_e64 v9, 0, 1, vcc
	v_max_f32_e32 v4, v1, v7
	v_readfirstlane_b32 s1, v9
	s_or_b32 s0, s1, s0
	s_and_b32 s7, s0, 3
	s_cmp_lg_u32 s7, 0
	s_cselect_b64 s[0:1], -1, 0
	s_cmp_eq_u32 s7, 0
	s_cselect_b64 s[10:11], -1, 0
	s_and_b64 s[8:9], s[10:11], s[8:9]
	v_max_f32_e32 v1, v6, v8
	s_add_i32 s5, s5, 2
	s_add_i32 s6, s6, 16
	s_and_b64 vcc, exec, s[8:9]
	s_cbranch_vccnz .LBB18_16
; %bb.17:
	s_add_i32 s5, s5, -4
	s_and_b64 s[6:7], s[0:1], exec
	s_cselect_b32 s5, s5, s3
	s_or_b32 s5, s5, 1
	v_cndmask_b32_e64 v1, v1, v2, s[0:1]
	v_cndmask_b32_e64 v2, v4, v3, s[0:1]
	s_cmp_lg_u32 s3, s4
	v_max_f32_e32 v2, v2, v2
	v_max_f32_e32 v1, v1, v1
	s_cselect_b64 s[6:7], -1, 0
	v_max_f32_e32 v1, v1, v2
	s_or_b64 s[0:1], s[6:7], s[0:1]
	s_and_b64 vcc, exec, s[0:1]
	s_cbranch_vccnz .LBB18_19
	s_branch .LBB18_21
.LBB18_18:
	s_mov_b32 s5, 1
	s_cbranch_execz .LBB18_21
.LBB18_19:
	s_lshl_b32 s1, s5, 3
	s_sub_i32 s0, s25, s5
	s_add_i32 s1, s1, 0
.LBB18_20:                              ; =>This Inner Loop Header: Depth=1
	v_mov_b32_e32 v2, s1
	ds_read_b32 v2, v2
	s_waitcnt lgkmcnt(1)
	v_max_f32_e32 v1, v1, v1
	s_add_i32 s0, s0, -1
	s_add_i32 s1, s1, 8
	s_cmp_eq_u32 s0, 0
	s_waitcnt lgkmcnt(0)
	v_max_f32_e32 v2, v2, v2
	v_max_f32_e32 v1, v1, v2
	s_cbranch_scc0 .LBB18_20
.LBB18_21:
	s_cmp_lt_i32 s25, 1
	s_cbranch_scc1 .LBB18_26
; %bb.22:
	s_mul_i32 s18, s2, 0x60
	s_ashr_i32 s19, s18, 31
	s_cmp_lt_u32 s25, 8
	s_cbranch_scc1 .LBB18_27
; %bb.23:
	s_lshl_b64 s[0:1], s[18:19], 2
	s_add_u32 s20, s16, s0
	s_addc_u32 s21, s17, s1
	v_lshlrev_b32_e32 v4, 2, v0
	v_mov_b32_e32 v5, 0
	v_lshl_add_u64 v[2:3], s[20:21], 0, v[4:5]
	s_mov_b64 s[0:1], 0x180
	s_and_b32 s26, s25, 0x7ffffff8
	v_lshl_add_u64 v[6:7], v[2:3], 0, s[0:1]
	v_add_u32_e32 v8, 0x2a0, v0
	s_mov_b32 s27, 0
	s_mov_b32 s28, 0x3fb8aa3b
	;; [unrolled: 1-line block ×4, first 2 shown]
	v_mov_b32_e32 v12, 0x7f800000
	s_mov_b64 s[22:23], 0xc00
	s_mov_b32 s31, 0
	v_mov_b32_e32 v2, v5
	v_mov_b32_e32 v3, v5
.LBB18_24:                              ; =>This Inner Loop Header: Depth=1
	v_add_u32_e32 v4, 0xfffffd60, v8
	v_mov_b32_e32 v10, s27
	v_lshl_add_u64 v[30:31], v[4:5], 2, s[20:21]
	v_add_u32_e32 v4, 0xfffffe20, v8
	global_load_dword v11, v[6:7], off
	ds_read2_b64 v[14:17], v10 offset1:1
	ds_read2_b64 v[18:21], v10 offset0:2 offset1:3
	ds_read2_b64 v[22:25], v10 offset0:4 offset1:5
	;; [unrolled: 1-line block ×3, first 2 shown]
	v_lshl_add_u64 v[34:35], v[4:5], 2, s[20:21]
	v_add_u32_e32 v4, 0xfffffe80, v8
	global_load_dword v37, v[30:31], off
	global_load_dword v39, v[34:35], off
	v_lshl_add_u64 v[30:31], v[4:5], 2, s[20:21]
	v_add_u32_e32 v4, 0xfffffee0, v8
	v_lshl_add_u64 v[34:35], v[4:5], 2, s[20:21]
	v_add_u32_e32 v4, 0xffffff40, v8
	global_load_dword v41, v[30:31], off
	global_load_dword v43, v[34:35], off
	v_lshl_add_u64 v[30:31], v[4:5], 2, s[20:21]
	v_add_u32_e32 v4, 0xffffffa0, v8
	s_waitcnt lgkmcnt(3)
	v_mov_b32_e32 v36, v15
	global_load_dword v15, v[30:31], off
	v_mov_b32_e32 v9, v5
	v_sub_f32_e32 v13, v16, v1
	v_mov_b32_e32 v10, v17
	v_lshl_add_u64 v[16:17], v[4:5], 2, s[20:21]
	v_lshl_add_u64 v[32:33], v[8:9], 2, s[20:21]
	s_waitcnt lgkmcnt(2)
	v_mov_b32_e32 v38, v19
	v_mov_b32_e32 v40, v21
	global_load_dword v19, v[16:17], off
	global_load_dword v21, v[32:33], off
	v_sub_f32_e32 v9, v14, v1
	v_sub_f32_e32 v34, v18, v1
	;; [unrolled: 1-line block ×3, first 2 shown]
	s_waitcnt lgkmcnt(1)
	v_sub_f32_e32 v22, v22, v1
	v_mov_b32_e32 v42, v23
	v_sub_f32_e32 v23, v24, v1
	v_mov_b32_e32 v14, v25
	s_waitcnt lgkmcnt(0)
	v_sub_f32_e32 v24, v26, v1
	v_sub_f32_e32 v4, v28, v1
	v_mul_f32_e32 v25, 0x3fb8aa3b, v9
	v_mov_b32_e32 v18, v27
	v_mov_b32_e32 v20, v29
	v_mul_f32_e32 v26, 0x3fb8aa3b, v13
	v_mul_f32_e32 v27, 0x3fb8aa3b, v34
	v_mul_f32_e32 v28, 0x3fb8aa3b, v35
	v_mul_f32_e32 v29, 0x3fb8aa3b, v22
	v_mul_f32_e32 v30, 0x3fb8aa3b, v23
	v_mul_f32_e32 v31, 0x3fb8aa3b, v24
	v_mul_f32_e32 v44, 0x3fb8aa3b, v4
	v_fma_f32 v16, v9, s28, -v25
	v_rndne_f32_e32 v17, v25
	v_fma_f32 v32, v13, s28, -v26
	v_rndne_f32_e32 v33, v26
	;; [unrolled: 2-line block ×8, first 2 shown]
	v_fmac_f32_e32 v16, 0x32a5705f, v9
	v_sub_f32_e32 v25, v25, v17
	v_fmac_f32_e32 v32, 0x32a5705f, v13
	v_sub_f32_e32 v26, v26, v33
	;; [unrolled: 2-line block ×8, first 2 shown]
	v_add_f32_e32 v16, v25, v16
	v_cvt_i32_f32_e32 v17, v17
	v_add_f32_e32 v25, v26, v32
	v_add_f32_e32 v26, v27, v45
	;; [unrolled: 1-line block ×7, first 2 shown]
	v_exp_f32_e32 v16, v16
	v_cvt_i32_f32_e32 v33, v33
	v_cvt_i32_f32_e32 v46, v46
	;; [unrolled: 1-line block ×7, first 2 shown]
	v_exp_f32_e32 v25, v25
	v_exp_f32_e32 v26, v26
	;; [unrolled: 1-line block ×7, first 2 shown]
	v_ldexp_f32 v16, v16, v17
	v_cmp_ngt_f32_e64 s[12:13], s29, v9
	v_ldexp_f32 v17, v25, v33
	v_cmp_ngt_f32_e32 vcc, s29, v13
	v_ldexp_f32 v25, v26, v46
	v_cmp_ngt_f32_e64 s[0:1], s29, v34
	v_ldexp_f32 v26, v27, v48
	v_cmp_ngt_f32_e64 s[2:3], s29, v35
	;; [unrolled: 2-line block ×6, first 2 shown]
	v_cndmask_b32_e64 v16, 0, v16, s[12:13]
	v_cmp_nlt_f32_e64 s[12:13], s30, v9
	v_cndmask_b32_e32 v17, 0, v17, vcc
	v_cmp_nlt_f32_e32 vcc, s30, v13
	v_cndmask_b32_e64 v13, 0, v25, s[0:1]
	v_cndmask_b32_e64 v25, 0, v26, s[2:3]
	;; [unrolled: 1-line block ×4, first 2 shown]
	v_cmp_nlt_f32_e64 s[6:7], s30, v23
	v_cndmask_b32_e64 v23, 0, v29, s[8:9]
	v_cndmask_b32_e64 v29, 0, v30, s[10:11]
	v_cmp_nlt_f32_e64 s[10:11], s30, v4
	v_cndmask_b32_e64 v4, v12, v16, s[12:13]
	v_cmp_nlt_f32_e64 s[0:1], s30, v34
	v_cndmask_b32_e32 v16, v12, v17, vcc
	s_waitcnt vmcnt(6)
	v_pk_fma_f32 v[2:3], v[4:5], v[36:37], v[2:3] op_sel_hi:[0,1,1]
	v_cmp_nlt_f32_e64 s[2:3], s30, v35
	v_cmp_nlt_f32_e64 s[4:5], s30, v22
	v_cndmask_b32_e64 v22, v12, v13, s[0:1]
	v_pk_fma_f32 v[2:3], v[16:17], v[10:11], v[2:3] op_sel_hi:[0,1,1]
	v_cmp_nlt_f32_e64 s[8:9], s30, v24
	v_cndmask_b32_e64 v24, v12, v25, s[2:3]
	s_waitcnt vmcnt(5)
	v_pk_fma_f32 v[2:3], v[22:23], v[38:39], v[2:3] op_sel_hi:[0,1,1]
	v_cndmask_b32_e64 v26, v12, v26, s[4:5]
	s_waitcnt vmcnt(4)
	v_pk_fma_f32 v[2:3], v[24:25], v[40:41], v[2:3] op_sel_hi:[0,1,1]
	;; [unrolled: 3-line block ×4, first 2 shown]
	s_add_i32 s31, s31, 8
	s_add_i32 s27, s27, 64
	v_cndmask_b32_e64 v32, v12, v29, s[10:11]
	s_waitcnt vmcnt(1)
	v_pk_fma_f32 v[2:3], v[30:31], v[18:19], v[2:3] op_sel_hi:[0,1,1]
	v_lshl_add_u64 v[6:7], v[6:7], 0, s[22:23]
	s_cmp_eq_u32 s26, s31
	v_add_u32_e32 v8, 0x300, v8
	s_waitcnt vmcnt(0)
	v_pk_fma_f32 v[2:3], v[32:33], v[20:21], v[2:3] op_sel_hi:[0,1,1]
	s_cbranch_scc0 .LBB18_24
; %bb.25:
	s_and_b32 s2, s25, 7
	s_cmp_eq_u32 s2, 0
	s_cbranch_scc0 .LBB18_28
	s_branch .LBB18_30
.LBB18_26:
	s_waitcnt lgkmcnt(0)
	v_mov_b32_e32 v1, 0x7fc00000
	s_branch .LBB18_31
.LBB18_27:
	v_mov_b32_e32 v2, 0
	s_mov_b32 s26, 0
	v_mov_b32_e32 v3, v2
	s_and_b32 s2, s25, 7
	s_cmp_eq_u32 s2, 0
	s_cbranch_scc1 .LBB18_30
.LBB18_28:
	s_lshl_b64 s[0:1], s[18:19], 2
	s_mul_i32 s3, s26, 0x60
	s_add_u32 s0, s16, s0
	v_add_u32_e32 v4, s3, v0
	v_mov_b32_e32 v5, 0
	s_addc_u32 s1, s17, s1
	v_lshl_add_u64 v[4:5], v[4:5], 2, s[0:1]
	s_lshl_b32 s0, s26, 3
	s_add_i32 s3, s0, 0
	s_mov_b32 s4, 0x3fb8aa3b
	s_mov_b32 s5, 0xc2ce8ed0
	;; [unrolled: 1-line block ×3, first 2 shown]
	v_mov_b32_e32 v6, 0x7f800000
	s_mov_b64 s[0:1], 0x180
.LBB18_29:                              ; =>This Inner Loop Header: Depth=1
	global_load_dword v9, v[4:5], off
	v_mov_b32_e32 v7, s3
	ds_read_b64 v[10:11], v7
	s_add_i32 s3, s3, 8
	s_add_i32 s2, s2, -1
	v_lshl_add_u64 v[4:5], v[4:5], 0, s[0:1]
	s_cmp_lg_u32 s2, 0
	s_waitcnt lgkmcnt(0)
	v_sub_f32_e32 v7, v10, v1
	v_mul_f32_e32 v8, 0x3fb8aa3b, v7
	v_fma_f32 v10, v7, s4, -v8
	v_rndne_f32_e32 v12, v8
	v_fmac_f32_e32 v10, 0x32a5705f, v7
	v_sub_f32_e32 v8, v8, v12
	v_add_f32_e32 v8, v8, v10
	v_cvt_i32_f32_e32 v12, v12
	v_exp_f32_e32 v10, v8
	v_cmp_ngt_f32_e32 vcc, s5, v7
	v_mov_b32_e32 v8, v11
	v_ldexp_f32 v10, v10, v12
	v_cndmask_b32_e32 v10, 0, v10, vcc
	v_cmp_nlt_f32_e32 vcc, s6, v7
	s_nop 1
	v_cndmask_b32_e32 v10, v6, v10, vcc
	s_waitcnt vmcnt(0)
	v_pk_fma_f32 v[2:3], v[10:11], v[8:9], v[2:3] op_sel_hi:[0,1,1]
	s_cbranch_scc1 .LBB18_29
.LBB18_30:
	s_waitcnt lgkmcnt(0)
	v_div_scale_f32 v1, s[0:1], v2, v2, v3
	v_rcp_f32_e32 v4, v1
	v_div_scale_f32 v5, vcc, v3, v2, v3
	v_fma_f32 v6, -v1, v4, 1.0
	v_fmac_f32_e32 v4, v6, v4
	v_mul_f32_e32 v6, v5, v4
	v_fma_f32 v7, -v1, v6, v5
	v_fmac_f32_e32 v6, v7, v4
	v_fma_f32 v1, -v1, v6, v5
	v_div_fmas_f32 v1, v1, v4, v6
	v_div_fixup_f32 v1, v1, v2, v3
.LBB18_31:
	s_mul_i32 s0, s24, 0x60
	s_ashr_i32 s1, s0, 31
	s_lshl_b64 s[0:1], s[0:1], 2
	s_add_u32 s0, s14, s0
	s_addc_u32 s1, s15, s1
	v_lshlrev_b32_e32 v0, 2, v0
	global_store_dword v0, v1, s[0:1]
	s_endpgm
	.section	.rodata,"a",@progbits
	.p2align	6, 0x0
	.amdhsa_kernel _ZL26flash_attn_combine_resultsILi96EEvPKfPK15HIP_vector_typeIfLj2EEPfi
		.amdhsa_group_segment_fixed_size 0
		.amdhsa_private_segment_fixed_size 0
		.amdhsa_kernarg_size 288
		.amdhsa_user_sgpr_count 2
		.amdhsa_user_sgpr_dispatch_ptr 0
		.amdhsa_user_sgpr_queue_ptr 0
		.amdhsa_user_sgpr_kernarg_segment_ptr 1
		.amdhsa_user_sgpr_dispatch_id 0
		.amdhsa_user_sgpr_kernarg_preload_length 0
		.amdhsa_user_sgpr_kernarg_preload_offset 0
		.amdhsa_user_sgpr_private_segment_size 0
		.amdhsa_uses_dynamic_stack 0
		.amdhsa_enable_private_segment 0
		.amdhsa_system_sgpr_workgroup_id_x 1
		.amdhsa_system_sgpr_workgroup_id_y 1
		.amdhsa_system_sgpr_workgroup_id_z 1
		.amdhsa_system_sgpr_workgroup_info 0
		.amdhsa_system_vgpr_workitem_id 0
		.amdhsa_next_free_vgpr 57
		.amdhsa_next_free_sgpr 32
		.amdhsa_accum_offset 60
		.amdhsa_reserve_vcc 1
		.amdhsa_float_round_mode_32 0
		.amdhsa_float_round_mode_16_64 0
		.amdhsa_float_denorm_mode_32 3
		.amdhsa_float_denorm_mode_16_64 3
		.amdhsa_dx10_clamp 1
		.amdhsa_ieee_mode 1
		.amdhsa_fp16_overflow 0
		.amdhsa_tg_split 0
		.amdhsa_exception_fp_ieee_invalid_op 0
		.amdhsa_exception_fp_denorm_src 0
		.amdhsa_exception_fp_ieee_div_zero 0
		.amdhsa_exception_fp_ieee_overflow 0
		.amdhsa_exception_fp_ieee_underflow 0
		.amdhsa_exception_fp_ieee_inexact 0
		.amdhsa_exception_int_div_zero 0
	.end_amdhsa_kernel
	.section	.text._ZL26flash_attn_combine_resultsILi96EEvPKfPK15HIP_vector_typeIfLj2EEPfi,"axG",@progbits,_ZL26flash_attn_combine_resultsILi96EEvPKfPK15HIP_vector_typeIfLj2EEPfi,comdat
.Lfunc_end18:
	.size	_ZL26flash_attn_combine_resultsILi96EEvPKfPK15HIP_vector_typeIfLj2EEPfi, .Lfunc_end18-_ZL26flash_attn_combine_resultsILi96EEvPKfPK15HIP_vector_typeIfLj2EEPfi
                                        ; -- End function
	.set _ZL26flash_attn_combine_resultsILi96EEvPKfPK15HIP_vector_typeIfLj2EEPfi.num_vgpr, 57
	.set _ZL26flash_attn_combine_resultsILi96EEvPKfPK15HIP_vector_typeIfLj2EEPfi.num_agpr, 0
	.set _ZL26flash_attn_combine_resultsILi96EEvPKfPK15HIP_vector_typeIfLj2EEPfi.numbered_sgpr, 32
	.set _ZL26flash_attn_combine_resultsILi96EEvPKfPK15HIP_vector_typeIfLj2EEPfi.num_named_barrier, 0
	.set _ZL26flash_attn_combine_resultsILi96EEvPKfPK15HIP_vector_typeIfLj2EEPfi.private_seg_size, 0
	.set _ZL26flash_attn_combine_resultsILi96EEvPKfPK15HIP_vector_typeIfLj2EEPfi.uses_vcc, 1
	.set _ZL26flash_attn_combine_resultsILi96EEvPKfPK15HIP_vector_typeIfLj2EEPfi.uses_flat_scratch, 0
	.set _ZL26flash_attn_combine_resultsILi96EEvPKfPK15HIP_vector_typeIfLj2EEPfi.has_dyn_sized_stack, 0
	.set _ZL26flash_attn_combine_resultsILi96EEvPKfPK15HIP_vector_typeIfLj2EEPfi.has_recursion, 0
	.set _ZL26flash_attn_combine_resultsILi96EEvPKfPK15HIP_vector_typeIfLj2EEPfi.has_indirect_call, 0
	.section	.AMDGPU.csdata,"",@progbits
; Kernel info:
; codeLenInByte = 3064
; TotalNumSgprs: 38
; NumVgprs: 57
; NumAgprs: 0
; TotalNumVgprs: 57
; ScratchSize: 0
; MemoryBound: 0
; FloatMode: 240
; IeeeMode: 1
; LDSByteSize: 0 bytes/workgroup (compile time only)
; SGPRBlocks: 4
; VGPRBlocks: 7
; NumSGPRsForWavesPerEU: 38
; NumVGPRsForWavesPerEU: 57
; AccumOffset: 60
; Occupancy: 8
; WaveLimiterHint : 0
; COMPUTE_PGM_RSRC2:SCRATCH_EN: 0
; COMPUTE_PGM_RSRC2:USER_SGPR: 2
; COMPUTE_PGM_RSRC2:TRAP_HANDLER: 0
; COMPUTE_PGM_RSRC2:TGID_X_EN: 1
; COMPUTE_PGM_RSRC2:TGID_Y_EN: 1
; COMPUTE_PGM_RSRC2:TGID_Z_EN: 1
; COMPUTE_PGM_RSRC2:TIDIG_COMP_CNT: 0
; COMPUTE_PGM_RSRC3_GFX90A:ACCUM_OFFSET: 14
; COMPUTE_PGM_RSRC3_GFX90A:TG_SPLIT: 0
	.section	.text._ZL18flash_attn_ext_f16ILi112ELi112ELi4ELi8ELb0ELb0EEvPKcS1_S1_S1_S1_PKiPfP15HIP_vector_typeIfLj2EEffffjfiS5_IjLj3EEiiiiiiiiiiiliiliiiiil,"axG",@progbits,_ZL18flash_attn_ext_f16ILi112ELi112ELi4ELi8ELb0ELb0EEvPKcS1_S1_S1_S1_PKiPfP15HIP_vector_typeIfLj2EEffffjfiS5_IjLj3EEiiiiiiiiiiiliiliiiiil,comdat
	.globl	_ZL18flash_attn_ext_f16ILi112ELi112ELi4ELi8ELb0ELb0EEvPKcS1_S1_S1_S1_PKiPfP15HIP_vector_typeIfLj2EEffffjfiS5_IjLj3EEiiiiiiiiiiiliiliiiiil ; -- Begin function _ZL18flash_attn_ext_f16ILi112ELi112ELi4ELi8ELb0ELb0EEvPKcS1_S1_S1_S1_PKiPfP15HIP_vector_typeIfLj2EEffffjfiS5_IjLj3EEiiiiiiiiiiiliiliiiiil
	.p2align	8
	.type	_ZL18flash_attn_ext_f16ILi112ELi112ELi4ELi8ELb0ELb0EEvPKcS1_S1_S1_S1_PKiPfP15HIP_vector_typeIfLj2EEffffjfiS5_IjLj3EEiiiiiiiiiiiliiliiiiil,@function
_ZL18flash_attn_ext_f16ILi112ELi112ELi4ELi8ELb0ELb0EEvPKcS1_S1_S1_S1_PKiPfP15HIP_vector_typeIfLj2EEffffjfiS5_IjLj3EEiiiiiiiiiiiliiliiiiil: ; @_ZL18flash_attn_ext_f16ILi112ELi112ELi4ELi8ELb0ELb0EEvPKcS1_S1_S1_S1_PKiPfP15HIP_vector_typeIfLj2EEffffjfiS5_IjLj3EEiiiiiiiiiiiliiliiiiil
; %bb.0:
	s_load_dwordx2 s[4:5], s[0:1], 0x80
	s_load_dwordx4 s[20:23], s[0:1], 0x64
	s_mov_b32 s33, s2
                                        ; implicit-def: $vgpr204 : SGPR spill to VGPR lane
	s_load_dword s29, s[0:1], 0xd0
	s_mov_b32 s6, 0
	s_waitcnt lgkmcnt(0)
	s_abs_i32 s2, s5
	v_cvt_f32_u32_e32 v1, s2
	s_sub_i32 s8, 0, s2
	s_abs_i32 s7, s21
	s_xor_b32 s3, s21, s5
	v_rcp_iflag_f32_e32 v1, v1
	s_ashr_i32 s3, s3, 31
	v_mul_f32_e32 v1, 0x4f7ffffe, v1
	v_cvt_u32_f32_e32 v1, v1
	s_nop 0
	v_readfirstlane_b32 s9, v1
	s_mul_i32 s8, s8, s9
	s_mul_hi_u32 s8, s9, s8
	s_add_i32 s9, s9, s8
	s_mul_hi_u32 s8, s7, s9
	s_mul_i32 s9, s8, s2
	s_sub_i32 s7, s7, s9
	s_add_i32 s10, s8, 1
	s_sub_i32 s9, s7, s2
	s_cmp_ge_u32 s7, s2
	s_cselect_b32 s8, s10, s8
	s_cselect_b32 s7, s9, s7
	s_add_i32 s9, s8, 1
	s_cmp_ge_u32 s7, s2
	s_cselect_b32 s2, s9, s8
	s_add_i32 s4, s4, 63
	s_xor_b32 s2, s2, s3
	s_ashr_i32 s7, s4, 31
	s_sub_i32 s3, s2, s3
	s_lshr_b32 s2, s7, 26
	s_add_i32 s4, s4, s2
	s_add_i32 s2, s20, 3
	s_lshr_b32 s7, s2, 2
	s_add_i32 s2, s3, 7
	s_ashr_i32 s34, s4, 6
	s_ashr_i32 s4, s2, 31
	s_lshr_b32 s4, s4, 29
	s_add_i32 s2, s2, s4
	s_ashr_i32 s2, s2, 3
	v_writelane_b32 v204, s7, 0
	s_mul_i32 s4, s7, s34
	v_writelane_b32 v204, s4, 1
	s_mul_i32 s2, s4, s2
	;; [unrolled: 2-line block ×4, first 2 shown]
	s_ashr_i32 s10, s2, 31
	s_mul_i32 s4, s10, s33
	s_mul_hi_u32 s5, s2, s33
	s_add_i32 s7, s5, s4
	s_cmp_lg_u64 s[6:7], 0
	s_mul_i32 s6, s2, s33
	s_cbranch_scc0 .LBB19_2
; %bb.1:
	s_add_u32 s4, s29, 0
	s_addc_u32 s5, 0, 0
	s_xor_b64 s[8:9], s[4:5], 0
	v_cvt_f32_u32_e32 v1, s8
	v_cvt_f32_u32_e32 v2, s9
	s_sub_u32 s11, 0, s8
	s_subb_u32 s14, 0, s9
	s_mov_b64 s[4:5], 0
	v_fmamk_f32 v1, v2, 0x4f800000, v1
	v_rcp_f32_e32 v1, v1
	s_nop 0
	v_mul_f32_e32 v1, 0x5f7ffffc, v1
	v_mul_f32_e32 v2, 0x2f800000, v1
	v_trunc_f32_e32 v2, v2
	v_fmamk_f32 v1, v2, 0xcf800000, v1
	v_cvt_u32_f32_e32 v2, v2
	v_cvt_u32_f32_e32 v1, v1
	v_readfirstlane_b32 s15, v2
	v_readfirstlane_b32 s12, v1
	s_mul_i32 s13, s11, s15
	s_mul_hi_u32 s17, s11, s12
	s_mul_i32 s16, s14, s12
	s_add_i32 s13, s17, s13
	s_add_i32 s13, s13, s16
	s_mul_i32 s18, s11, s12
	s_mul_i32 s17, s12, s13
	s_mul_hi_u32 s19, s12, s18
	s_mul_hi_u32 s16, s12, s13
	s_add_u32 s17, s19, s17
	s_addc_u32 s16, 0, s16
	s_mul_hi_u32 s22, s15, s18
	s_mul_i32 s18, s15, s18
	s_add_u32 s17, s17, s18
	s_mul_hi_u32 s19, s15, s13
	s_addc_u32 s16, s16, s22
	s_addc_u32 s17, s19, 0
	s_mul_i32 s13, s15, s13
	s_add_u32 s13, s16, s13
	s_addc_u32 s16, 0, s17
	s_add_u32 s17, s12, s13
	s_cselect_b64 s[12:13], -1, 0
	s_cmp_lg_u64 s[12:13], 0
	s_addc_u32 s15, s15, s16
	s_mul_i32 s12, s11, s15
	s_mul_hi_u32 s13, s11, s17
	s_add_i32 s12, s13, s12
	s_mul_i32 s14, s14, s17
	s_add_i32 s12, s12, s14
	s_mul_i32 s11, s11, s17
	s_mul_hi_u32 s14, s15, s11
	s_mul_i32 s16, s15, s11
	s_mul_i32 s19, s17, s12
	s_mul_hi_u32 s11, s17, s11
	s_mul_hi_u32 s18, s17, s12
	s_add_u32 s11, s11, s19
	s_addc_u32 s18, 0, s18
	s_add_u32 s11, s11, s16
	s_mul_hi_u32 s13, s15, s12
	s_addc_u32 s11, s18, s14
	s_addc_u32 s13, s13, 0
	s_mul_i32 s12, s15, s12
	s_add_u32 s11, s11, s12
	s_addc_u32 s14, 0, s13
	s_add_u32 s11, s17, s11
	s_cselect_b64 s[12:13], -1, 0
	s_cmp_lg_u64 s[12:13], 0
	s_addc_u32 s16, s15, s14
	s_ashr_i32 s12, s7, 31
	s_add_u32 s14, s6, s12
	s_mov_b32 s13, s12
	s_addc_u32 s15, s7, s12
	s_xor_b64 s[14:15], s[14:15], s[12:13]
	s_mul_i32 s17, s14, s16
	s_mul_hi_u32 s18, s14, s11
	s_mul_hi_u32 s7, s14, s16
	s_add_u32 s17, s18, s17
	s_addc_u32 s7, 0, s7
	s_mul_hi_u32 s19, s15, s11
	s_mul_i32 s11, s15, s11
	s_add_u32 s11, s17, s11
	s_mul_hi_u32 s18, s15, s16
	s_addc_u32 s7, s7, s19
	s_addc_u32 s11, s18, 0
	s_mul_i32 s16, s15, s16
	s_add_u32 s7, s7, s16
	s_addc_u32 s11, 0, s11
	s_mul_i32 s16, s8, s11
	s_mul_hi_u32 s17, s8, s7
	s_add_i32 s16, s17, s16
	s_mul_i32 s17, s9, s7
	s_add_i32 s22, s16, s17
	s_sub_i32 s18, s15, s22
	s_mul_i32 s16, s8, s7
	s_sub_u32 s14, s14, s16
	s_cselect_b64 s[16:17], -1, 0
	s_cmp_lg_u64 s[16:17], 0
	s_subb_u32 s24, s18, s9
	s_sub_u32 s25, s14, s8
	s_cselect_b64 s[18:19], -1, 0
	s_cmp_lg_u64 s[18:19], 0
	s_subb_u32 s18, s24, 0
	s_cmp_ge_u32 s18, s9
	s_cselect_b32 s19, -1, 0
	s_cmp_ge_u32 s25, s8
	s_cselect_b32 s24, -1, 0
	s_cmp_eq_u32 s18, s9
	s_cselect_b32 s18, s24, s19
	s_add_u32 s19, s7, 1
	s_addc_u32 s24, s11, 0
	s_add_u32 s25, s7, 2
	s_addc_u32 s26, s11, 0
	s_cmp_lg_u32 s18, 0
	s_cselect_b32 s18, s25, s19
	s_cselect_b32 s19, s26, s24
	s_cmp_lg_u64 s[16:17], 0
	s_subb_u32 s15, s15, s22
	s_cmp_ge_u32 s15, s9
	s_cselect_b32 s16, -1, 0
	s_cmp_ge_u32 s14, s8
	s_cselect_b32 s8, -1, 0
	s_cmp_eq_u32 s15, s9
	s_cselect_b32 s8, s8, s16
	s_cmp_lg_u32 s8, 0
	s_cselect_b32 s9, s19, s11
	s_cselect_b32 s8, s18, s7
	s_xor_b64 s[12:13], s[12:13], 0
	s_xor_b64 s[8:9], s[8:9], s[12:13]
	s_sub_u32 s60, s8, s12
	s_branch .LBB19_3
.LBB19_2:
	s_mov_b64 s[4:5], -1
                                        ; implicit-def: $sgpr60_sgpr61
.LBB19_3:
	s_load_dwordx2 s[8:9], s[0:1], 0x74
	v_cvt_f32_u32_e32 v1, s29
	s_andn2_b64 vcc, exec, s[4:5]
	s_waitcnt lgkmcnt(0)
	v_writelane_b32 v204, s8, 4
	s_nop 1
	v_writelane_b32 v204, s9, 5
	s_cbranch_vccnz .LBB19_5
; %bb.4:
	v_rcp_iflag_f32_e32 v2, v1
	s_sub_i32 s4, 0, s29
	v_mul_f32_e32 v2, 0x4f7ffffe, v2
	v_cvt_u32_f32_e32 v2, v2
	s_nop 0
	v_readfirstlane_b32 s5, v2
	s_mul_i32 s4, s4, s5
	s_mul_hi_u32 s4, s5, s4
	s_add_i32 s5, s5, s4
	s_mul_hi_u32 s4, s6, s5
	s_mul_i32 s7, s4, s29
	s_sub_i32 s6, s6, s7
	s_add_i32 s5, s4, 1
	s_sub_i32 s7, s6, s29
	s_cmp_ge_u32 s6, s29
	s_cselect_b32 s4, s5, s4
	s_cselect_b32 s6, s7, s6
	s_add_i32 s5, s4, 1
	s_cmp_ge_u32 s6, s29
	s_cselect_b32 s60, s5, s4
.LBB19_5:
	s_add_i32 s4, s33, 1
	s_mul_i32 s5, s10, s4
	s_mul_hi_u32 s6, s2, s4
	s_add_i32 s9, s6, s5
	s_mov_b32 s8, 0
	s_cmp_lg_u64 s[8:9], 0
	s_mul_i32 s2, s2, s4
	s_cbranch_scc0 .LBB19_293
; %bb.6:
	s_add_u32 s4, s29, 0
	s_addc_u32 s5, 0, 0
	s_xor_b64 s[6:7], s[4:5], 0
	v_cvt_f32_u32_e32 v2, s6
	v_cvt_f32_u32_e32 v3, s7
	s_sub_u32 s8, 0, s6
	s_subb_u32 s12, 0, s7
	v_fmamk_f32 v2, v3, 0x4f800000, v2
	v_rcp_f32_e32 v2, v2
	s_nop 0
	v_mul_f32_e32 v2, 0x5f7ffffc, v2
	v_mul_f32_e32 v3, 0x2f800000, v2
	v_trunc_f32_e32 v3, v3
	v_fmamk_f32 v2, v3, 0xcf800000, v2
	v_cvt_u32_f32_e32 v3, v3
	v_cvt_u32_f32_e32 v2, v2
	v_readfirstlane_b32 s13, v3
	v_readfirstlane_b32 s10, v2
	s_mul_i32 s11, s8, s13
	s_mul_hi_u32 s15, s8, s10
	s_mul_i32 s14, s12, s10
	s_add_i32 s11, s15, s11
	s_add_i32 s11, s11, s14
	s_mul_i32 s16, s8, s10
	s_mul_i32 s15, s10, s11
	s_mul_hi_u32 s17, s10, s16
	s_mul_hi_u32 s14, s10, s11
	s_add_u32 s15, s17, s15
	s_addc_u32 s14, 0, s14
	s_mul_hi_u32 s18, s13, s16
	s_mul_i32 s16, s13, s16
	s_add_u32 s15, s15, s16
	s_mul_hi_u32 s17, s13, s11
	s_addc_u32 s14, s14, s18
	s_addc_u32 s15, s17, 0
	s_mul_i32 s11, s13, s11
	s_add_u32 s11, s14, s11
	s_addc_u32 s14, 0, s15
	s_add_u32 s15, s10, s11
	s_cselect_b64 s[10:11], -1, 0
	s_cmp_lg_u64 s[10:11], 0
	s_addc_u32 s13, s13, s14
	s_mul_i32 s10, s8, s13
	s_mul_hi_u32 s11, s8, s15
	s_add_i32 s10, s11, s10
	s_mul_i32 s12, s12, s15
	s_add_i32 s10, s10, s12
	s_mul_i32 s8, s8, s15
	s_mul_hi_u32 s12, s13, s8
	s_mul_i32 s14, s13, s8
	s_mul_i32 s17, s15, s10
	s_mul_hi_u32 s8, s15, s8
	s_mul_hi_u32 s16, s15, s10
	s_add_u32 s8, s8, s17
	s_addc_u32 s16, 0, s16
	s_add_u32 s8, s8, s14
	s_mul_hi_u32 s11, s13, s10
	s_addc_u32 s8, s16, s12
	s_addc_u32 s11, s11, 0
	s_mul_i32 s10, s13, s10
	s_add_u32 s8, s8, s10
	s_addc_u32 s12, 0, s11
	s_add_u32 s14, s15, s8
	s_cselect_b64 s[10:11], -1, 0
	s_cmp_lg_u64 s[10:11], 0
	s_addc_u32 s12, s13, s12
	s_ashr_i32 s10, s9, 31
	s_add_u32 s8, s2, s10
	s_mov_b32 s11, s10
	s_addc_u32 s9, s9, s10
	s_xor_b64 s[8:9], s[8:9], s[10:11]
	s_mul_i32 s15, s8, s12
	s_mul_hi_u32 s16, s8, s14
	s_mul_hi_u32 s13, s8, s12
	s_add_u32 s15, s16, s15
	s_addc_u32 s13, 0, s13
	s_mul_hi_u32 s17, s9, s14
	s_mul_i32 s14, s9, s14
	s_add_u32 s14, s15, s14
	s_mul_hi_u32 s16, s9, s12
	s_addc_u32 s13, s13, s17
	s_addc_u32 s14, s16, 0
	s_mul_i32 s12, s9, s12
	s_add_u32 s16, s13, s12
	s_addc_u32 s17, 0, s14
	s_mul_i32 s12, s6, s17
	s_mul_hi_u32 s13, s6, s16
	s_add_i32 s12, s13, s12
	s_mul_i32 s13, s7, s16
	s_add_i32 s18, s12, s13
	s_sub_i32 s14, s9, s18
	s_mul_i32 s12, s6, s16
	s_sub_u32 s8, s8, s12
	s_cselect_b64 s[12:13], -1, 0
	s_cmp_lg_u64 s[12:13], 0
	s_subb_u32 s19, s14, s7
	s_sub_u32 s22, s8, s6
	s_cselect_b64 s[14:15], -1, 0
	s_cmp_lg_u64 s[14:15], 0
	s_subb_u32 s14, s19, 0
	s_cmp_ge_u32 s14, s7
	s_cselect_b32 s15, -1, 0
	s_cmp_ge_u32 s22, s6
	s_cselect_b32 s19, -1, 0
	s_cmp_eq_u32 s14, s7
	s_cselect_b32 s14, s19, s15
	s_add_u32 s15, s16, 1
	s_addc_u32 s19, s17, 0
	s_add_u32 s22, s16, 2
	s_addc_u32 s24, s17, 0
	s_cmp_lg_u32 s14, 0
	s_cselect_b32 s14, s22, s15
	s_cselect_b32 s15, s24, s19
	s_cmp_lg_u64 s[12:13], 0
	s_subb_u32 s9, s9, s18
	s_cmp_ge_u32 s9, s7
	s_cselect_b32 s12, -1, 0
	s_cmp_ge_u32 s8, s6
	s_cselect_b32 s6, -1, 0
	s_cmp_eq_u32 s9, s7
	s_cselect_b32 s6, s6, s12
	s_cmp_lg_u32 s6, 0
	s_cselect_b32 s7, s15, s17
	s_cselect_b32 s6, s14, s16
	s_xor_b64 s[8:9], s[10:11], 0
	s_xor_b64 s[6:7], s[6:7], s[8:9]
	s_sub_u32 s64, s6, s8
	s_load_dwordx2 s[30:31], s[0:1], 0x5c
	s_cbranch_execnz .LBB19_8
.LBB19_7:
	v_rcp_iflag_f32_e32 v1, v1
	s_sub_i32 s4, 0, s29
	v_mul_f32_e32 v1, 0x4f7ffffe, v1
	v_cvt_u32_f32_e32 v1, v1
	s_nop 0
	v_readfirstlane_b32 s5, v1
	s_mul_i32 s4, s4, s5
	s_mul_hi_u32 s4, s5, s4
	s_add_i32 s5, s5, s4
	s_mul_hi_u32 s4, s2, s5
	s_mul_i32 s6, s4, s29
	s_sub_i32 s2, s2, s6
	s_add_i32 s5, s4, 1
	s_sub_i32 s6, s2, s29
	s_cmp_ge_u32 s2, s29
	s_cselect_b32 s4, s5, s4
	s_cselect_b32 s2, s6, s2
	s_add_i32 s5, s4, 1
	s_cmp_ge_u32 s2, s29
	s_cselect_b32 s64, s5, s4
.LBB19_8:
	s_abs_i32 s35, s34
	v_cvt_f32_u32_e32 v1, s35
	s_load_dwordx16 s[36:51], s[0:1], 0x0
	s_load_dword s2, s[0:1], 0x40
	s_load_dwordx2 s[4:5], s[0:1], 0x8c
	s_load_dwordx4 s[24:27], s[0:1], 0x98
	s_load_dwordx2 s[52:53], s[0:1], 0xa8
	s_load_dwordx2 s[14:15], s[0:1], 0xb8
	;; [unrolled: 1-line block ×3, first 2 shown]
	v_readlane_b32 s0, v204, 4
	v_readlane_b32 s1, v204, 5
	v_rcp_iflag_f32_e32 v1, v1
	s_waitcnt lgkmcnt(0)
	s_mov_b32 s1, s5
	s_ashr_i32 s28, s4, 2
	s_sub_i32 s4, 0, s35
	v_mul_f32_e32 v1, 0x4f7ffffe, v1
	v_cvt_u32_f32_e32 v1, v1
	s_ashr_i32 s18, s0, 3
	v_writelane_b32 v204, s0, 6
	s_ashr_i32 s11, s23, 3
	v_readfirstlane_b32 s56, v1
	s_mul_i32 s4, s4, s56
	v_writelane_b32 v204, s1, 7
	s_ashr_i32 s1, s34, 31
	s_mul_hi_u32 s4, s56, s4
	v_writelane_b32 v204, s1, 8
	s_abs_i32 s1, s60
	s_add_i32 s56, s56, s4
	s_mul_hi_u32 s4, s1, s56
	s_mul_i32 s4, s4, s35
	s_sub_i32 s1, s1, s4
	s_ashr_i32 s58, s15, 1
	s_ashr_i32 s22, s26, 2
	s_ashr_i32 s0, s60, 31
	s_sub_i32 s4, s1, s35
	s_cmp_ge_u32 s1, s35
	s_cselect_b32 s1, s4, s1
	s_sub_i32 s4, s1, s35
	s_cmp_ge_u32 s1, s35
	s_cselect_b32 s1, s4, s1
	s_xor_b32 s1, s1, s0
	s_sub_i32 s62, s1, s0
	s_sub_i32 s0, s64, s60
	s_add_i32 s4, s0, s62
	s_min_i32 s9, s34, s4
	s_cmp_gt_i32 s64, s60
	s_cselect_b64 s[12:13], -1, 0
	s_cmp_le_i32 s64, s60
	s_cselect_b64 s[0:1], -1, 0
	s_cmp_gt_i32 s34, s4
	v_cvt_f16_f32_e32 v1, s2
	s_cselect_b64 s[4:5], -1, 0
	s_or_b64 s[0:1], s[4:5], s[0:1]
	v_bfe_u32 v47, v0, 10, 10
	s_mov_b32 s67, 0
	s_and_b64 vcc, exec, s[0:1]
	v_bfe_u32 v55, v0, 5, 5
	v_lshlrev_b32_e32 v45, 1, v47
	v_and_b32_e32 v38, 31, v0
	v_lshlrev_b32_e32 v39, 2, v47
	v_lshlrev_b32_e32 v91, 3, v47
	v_lshlrev_b32_e32 v57, 4, v47
	v_mbcnt_lo_u32_b32 v93, -1, 0
	s_cbranch_vccz .LBB19_11
; %bb.9:
	s_andn2_b64 vcc, exec, s[12:13]
	s_cbranch_vccz .LBB19_254
.LBB19_10:
	s_endpgm
.LBB19_11:
	v_and_b32_e32 v2, 0x3ff, v0
	v_and_b32_e32 v40, 15, v0
	v_bfe_u32 v7, v0, 1, 9
	v_lshlrev_b32_e32 v9, 1, v2
	v_add_u32_e32 v43, v45, v55
	v_mul_u32_u24_e32 v6, 0xf0, v40
	v_and_b32_e32 v8, 0x78, v7
	v_and_b32_e32 v42, 62, v9
	v_add3_u32 v95, 0, v6, v8
	v_mul_u32_u24_e32 v6, 0x90, v43
	v_lshlrev_b32_e32 v9, 1, v42
	v_add3_u32 v97, 0, v6, v9
	v_lshl_add_u32 v6, v47, 5, v7
	v_bfe_u32 v7, v0, 2, 8
	v_lshlrev_b32_e32 v11, 2, v2
	s_movk_i32 s2, 0xf0
	v_add_u32_e32 v9, v57, v7
	v_and_b32_e32 v44, 12, v11
	v_mad_u32_u24 v10, v9, s2, 0
	v_lshlrev_b32_e32 v12, 2, v44
	s_movk_i32 s1, 0x80
	v_and_b32_e32 v46, 4, v11
	v_and_b32_e32 v5, 0x7f0, v91
	v_add3_u32 v99, v10, v12, s1
	v_mad_u32_u24 v12, v6, s2, 0
	v_lshlrev_b32_e32 v13, 2, v46
	s_movk_i32 s1, 0xc0
	v_and_b32_e32 v10, 16, v57
	v_add3_u32 v101, v12, v13, s1
	v_and_b32_e32 v7, 60, v7
	v_and_or_b32 v13, v0, 8, v5
	s_movk_i32 s0, 0x90
	v_add_u32_e32 v12, v7, v10
	v_lshrrev_b32_e32 v13, 3, v13
	v_add_u16_e32 v7, v7, v10
	v_bfe_u32 v4, v0, 3, 7
	v_mad_u32_u24 v13, v13, s0, 0
	v_lshrrev_b16_e32 v7, 1, v7
	v_lshl_add_u32 v103, v7, 2, v13
	v_lshl_add_u32 v7, v12, 1, v13
	v_lshlrev_b32_e32 v12, 1, v4
	v_or_b32_e32 v13, 3, v12
	v_or_b32_e32 v14, 2, v12
	v_and_b32_e32 v12, 60, v12
	v_and_b32_e32 v15, 8, v91
	s_movk_i32 s0, 0x1e0
	v_mul_u32_u24_e32 v12, 0xf0, v12
	v_mad_u32_u24 v15, v15, s0, 0
	v_lshlrev_b32_e32 v16, 1, v40
	v_add3_u32 v105, v15, v12, v16
	v_bfe_u32 v12, v0, 10, 1
	v_cmp_eq_u32_e64 s[0:1], 0, v12
	v_and_b32_e32 v12, 0x400, v0
	v_cmp_ne_u32_e64 s[4:5], 0, v12
	v_or_b32_e32 v12, v57, v40
	v_writelane_b32 v204, s29, 9
	v_mul_u32_u24_e32 v12, 0xf0, v12
	v_mul_u32_u24_e32 v13, 0xf0, v13
	;; [unrolled: 1-line block ×3, first 2 shown]
	v_writelane_b32 v204, s4, 10
	v_add3_u32 v135, 0, v12, v8
	v_add_u32_e32 v12, v55, v47
	v_add3_u32 v107, v15, v14, v16
	v_add3_u32 v134, v15, v13, v16
	v_writelane_b32 v204, s5, 11
	v_lshlrev_b32_e32 v8, 1, v12
	v_and_b32_e32 v14, 15, v12
	s_movk_i32 s4, 0x3e0
	v_add_u32_e32 v15, 4, v12
	v_and_or_b32 v8, v8, s4, v14
	v_lshlrev_b32_e32 v16, 1, v15
	v_and_b32_e32 v17, 15, v15
	s_movk_i32 s4, 0x7e0
	v_and_or_b32 v16, v16, s4, v17
	v_add_u32_e32 v17, 8, v12
	v_lshlrev_b32_e32 v18, 1, v17
	v_and_b32_e32 v19, 15, v17
	v_and_or_b32 v18, v18, s4, v19
	v_add_u32_e32 v19, 12, v12
	v_lshlrev_b32_e32 v20, 1, v19
	v_and_b32_e32 v21, 15, v19
	v_and_or_b32 v20, v20, s4, v21
	v_add_u32_e32 v21, 16, v12
	v_lshlrev_b32_e32 v22, 1, v21
	v_and_or_b32 v14, v22, s4, v14
	v_add_u32_e32 v22, 20, v12
	v_lshlrev_b32_e32 v23, 1, v22
	v_and_b32_e32 v24, 15, v22
	v_and_or_b32 v23, v23, s4, v24
	v_add_u32_e32 v24, 24, v12
	v_lshlrev_b32_e32 v25, 1, v24
	v_and_b32_e32 v26, 15, v24
	v_bfe_u32 v3, v0, 4, 6
	v_and_or_b32 v25, v25, s4, v26
	v_add_u32_e32 v26, 28, v12
	v_add_u32_e32 v13, v45, v3
	v_lshlrev_b32_e32 v27, 1, v26
	v_and_b32_e32 v28, 15, v26
	v_and_or_b32 v27, v27, s4, v28
	v_lshlrev_b32_e32 v28, 1, v13
	v_and_b32_e32 v29, 15, v13
	s_cmp_eq_u64 s[44:45], 0
	v_and_or_b32 v28, v28, s4, v29
	s_cselect_b64 s[4:5], -1, 0
	v_writelane_b32 v204, s4, 12
	s_cmp_lg_u64 s[46:47], 0
	v_add_u32_e32 v30, 8, v13
	v_writelane_b32 v204, s5, 13
	s_cselect_b64 s[4:5], -1, 0
	v_writelane_b32 v204, s4, 14
	s_lshl_b32 s66, s33, 5
	s_ashr_i32 s59, s58, 31
	v_writelane_b32 v204, s5, 15
	s_ashr_i32 s29, s28, 31
	s_ashr_i32 s23, s22, 31
	v_writelane_b32 v204, s33, 16
	s_lshl_b64 s[4:5], s[66:67], 3
	v_lshlrev_b32_e32 v31, 1, v30
	v_and_b32_e32 v32, 15, v30
	s_movk_i32 s6, 0xfe0
	s_add_u32 s4, s50, s4
	v_readlane_b32 s17, v204, 3
	v_and_or_b32 v31, v31, s6, v32
	v_add_u32_e32 v32, 16, v13
	s_addc_u32 s5, s51, s5
	s_abs_i32 s65, s17
	v_lshlrev_b32_e32 v33, 1, v32
	v_cvt_f32_u32_e32 v41, s65
	v_and_or_b32 v29, v33, s6, v29
	v_add_u32_e32 v33, 24, v13
	v_lshlrev_b32_e32 v34, 1, v33
	v_and_b32_e32 v35, 15, v33
	v_and_or_b32 v34, v34, s6, v35
	v_add_u32_e32 v35, v39, v4
	v_readlane_b32 s16, v204, 2
	v_and_b32_e32 v36, 15, v35
	v_lshlrev_b32_e32 v37, 1, v35
	v_add_u32_e32 v72, 16, v35
	v_rcp_iflag_f32_e32 v41, v41
	s_abs_i32 s61, s16
	v_and_or_b32 v37, v37, s6, v36
	s_movk_i32 s6, 0x1fe0
	v_cvt_f32_u32_e32 v48, s61
	v_lshlrev_b32_e32 v49, 1, v72
	v_and_or_b32 v36, v49, s6, v36
	s_mov_b32 s6, s14
	v_readlane_b32 s15, v204, 1
	v_writelane_b32 v204, s6, 17
	v_mul_f32_e32 v41, 0x4f7ffffe, v41
	v_cmp_gt_u32_e64 s[70:71], 16, v2
	v_writelane_b32 v204, s7, 18
	v_rcp_iflag_f32_e32 v48, v48
	s_abs_i32 s68, s15
	v_cvt_u32_f32_e32 v41, v41
	v_writelane_b32 v204, s70, 19
	v_cvt_f32_u32_e32 v49, s68
	v_add_u32_e32 v3, v39, v3
	v_writelane_b32 v204, s71, 20
	v_cmp_gt_u32_e64 s[70:71], 32, v2
	v_add_u32_e32 v4, v91, v4
	v_lshl_add_u32 v149, v40, 2, 0
	v_writelane_b32 v204, s70, 21
	v_mad_u32_u24 v136, v5, s2, v95
	v_mad_u32_u24 v5, v4, s2, 0
	v_writelane_b32 v204, s71, 22
	v_mad_u32_u24 v153, v3, s2, v149
	s_ashr_i32 s2, s17, 31
	s_abs_i32 s69, s14
	v_mul_f32_e32 v48, 0x4f7ffffe, v48
	v_readfirstlane_b32 s8, v41
	v_writelane_b32 v204, s2, 23
	s_sub_i32 s2, 0, s65
	v_cvt_f32_u32_e32 v50, s69
	v_rcp_iflag_f32_e32 v49, v49
	v_cvt_u32_f32_e32 v48, v48
	s_mul_i32 s2, s2, s8
	s_mul_hi_u32 s2, s8, s2
	s_add_i32 s2, s8, s2
	v_writelane_b32 v204, s2, 24
	s_ashr_i32 s2, s16, 31
	v_rcp_iflag_f32_e32 v50, v50
	v_mul_f32_e32 v49, 0x4f7ffffe, v49
	v_readfirstlane_b32 s10, v48
	v_writelane_b32 v204, s2, 25
	s_sub_i32 s2, 0, s61
	v_cvt_u32_f32_e32 v49, v49
	s_mul_i32 s2, s2, s10
	s_mul_hi_u32 s2, s10, s2
	s_add_i32 s2, s10, s2
	v_mul_f32_e32 v50, 0x4f7ffffe, v50
	v_writelane_b32 v204, s2, 26
	s_ashr_i32 s2, s15, 31
	v_cvt_u32_f32_e32 v50, v50
	v_readfirstlane_b32 s12, v49
	v_writelane_b32 v204, s2, 27
	s_sub_i32 s2, 0, s68
	s_mul_i32 s2, s2, s12
	v_or_b32_e32 v41, v91, v2
	s_mul_hi_u32 s2, s12, s2
	v_lshlrev_b32_e32 v48, 3, v41
	v_mov_b32_e32 v49, 0
	v_and_b32_e32 v41, 1, v0
	v_and_b32_e32 v54, 7, v0
	s_add_i32 s2, s12, s2
	v_readfirstlane_b32 s13, v50
	v_lshl_add_u64 v[50:51], s[4:5], 0, v[48:49]
	v_lshlrev_b32_e32 v48, 4, v41
	v_lshlrev_b32_e32 v41, 2, v54
	v_and_b32_e32 v56, 28, v11
	v_writelane_b32 v204, s2, 28
	s_sub_i32 s2, 0, s69
	v_add_u32_e32 v137, v5, v41
	v_lshl_add_u32 v138, v56, 2, v5
	v_mul_lo_u32 v58, s28, v4
	v_add_u32_e32 v5, 32, v4
	v_lshrrev_b32_e32 v142, 3, v4
	v_mul_lo_u32 v68, s22, v4
	v_add_u32_e32 v4, v57, v2
	s_mul_i32 s2, s2, s13
	v_mul_u32_u24_e32 v143, 0xf0, v4
	v_add_u32_e32 v4, v57, v38
	s_mul_hi_u32 s2, s13, s2
	v_mul_u32_u24_e32 v144, 0xf0, v4
	v_add_u32_e32 v4, 8, v43
	s_add_i32 s2, s13, s2
	v_lshrrev_b32_e32 v146, 3, v4
	v_add_u32_e32 v4, 16, v43
	v_writelane_b32 v204, s2, 29
	s_mov_b32 s2, s58
	v_mul_lo_u32 v64, s22, v6
	v_lshrrev_b32_e32 v147, 3, v4
	v_add_u32_e32 v4, 24, v43
	v_writelane_b32 v204, s2, 30
	v_ashrrev_i32_e32 v65, 31, v64
	v_mul_lo_u32 v66, s22, v5
	v_lshrrev_b32_e32 v148, 3, v4
	v_lshlrev_b32_e32 v4, 2, v38
	v_mov_b32_e32 v5, v49
	v_writelane_b32 v204, s3, 31
	s_lshl_b64 s[12:13], s[58:59], 1
	v_and_b32_e32 v150, 7, v3
	v_lshrrev_b32_e32 v151, 3, v3
	v_mul_u32_u24_e32 v152, 0xf0, v3
	v_add_u32_e32 v3, 16, v3
	v_lshrrev_b32_e32 v175, 3, v72
	v_add_u32_e32 v177, 0, v4
	v_lshl_add_u64 v[72:73], s[42:43], 0, v[4:5]
	v_writelane_b32 v204, s12, 32
	v_lshl_add_u64 v[4:5], v[64:65], 2, v[48:49]
	v_mul_lo_u32 v70, s22, v9
	v_lshrrev_b32_e32 v154, 3, v3
	v_writelane_b32 v204, s13, 33
	v_lshl_add_u64 v[4:5], s[40:41], 0, v[4:5]
	s_mov_b64 s[12:13], 0xc0
	v_and_b32_e32 v3, 3, v0
	v_mul_lo_u32 v52, s28, v9
	v_ashrrev_i32_e32 v71, 31, v70
	v_lshl_add_u64 v[74:75], v[4:5], 0, s[12:13]
	v_lshlrev_b32_e32 v4, 4, v3
	v_mov_b32_e32 v5, v49
	v_cmp_gt_u32_e64 s[6:7], 64, v6
	v_ashrrev_i32_e32 v53, 31, v52
	v_mul_lo_u32 v62, s28, v6
	v_add_u32_e32 v140, 64, v7
	v_add_u32_e32 v141, 0x44, v7
	v_lshl_add_u64 v[6:7], v[70:71], 2, v[4:5]
	v_lshl_add_u64 v[6:7], s[40:41], 0, v[6:7]
	s_mov_b64 s[76:77], 0x80
	v_lshl_add_u64 v[4:5], v[52:53], 2, v[4:5]
	v_ashrrev_i32_e32 v59, 31, v58
	v_lshl_add_u32 v60, s28, 5, v58
	v_lshl_add_u64 v[76:77], v[6:7], 0, s[76:77]
	v_lshlrev_b32_e32 v6, 4, v54
	v_mov_b32_e32 v7, v49
	v_lshl_add_u64 v[4:5], s[38:39], 0, v[4:5]
	v_ashrrev_i32_e32 v61, 31, v60
	v_lshl_add_u64 v[82:83], v[4:5], 0, s[76:77]
	v_lshl_add_u64 v[4:5], v[58:59], 2, v[6:7]
	v_ashrrev_i32_e32 v63, 31, v62
	v_ashrrev_i32_e32 v69, 31, v68
	v_lshl_add_u64 v[84:85], s[38:39], 0, v[4:5]
	v_lshl_add_u64 v[4:5], v[60:61], 2, v[6:7]
	v_ashrrev_i32_e32 v67, 31, v66
	v_mul_u32_u24_e32 v155, 0xf0, v8
	v_lshl_add_u64 v[8:9], v[68:69], 2, v[6:7]
	v_lshl_add_u64 v[86:87], s[38:39], 0, v[4:5]
	;; [unrolled: 1-line block ×3, first 2 shown]
	v_bfe_u32 v92, v2, 3, 3
	s_mov_b32 s14, 0x10001
	v_lshl_add_u64 v[78:79], s[40:41], 0, v[8:9]
	v_lshl_add_u64 v[8:9], v[66:67], 2, v[6:7]
	;; [unrolled: 1-line block ×3, first 2 shown]
	v_mul_lo_u32 v3, s18, v150
	v_mul_lo_u32 v2, s18, v92
	v_and_b32_e32 v181, 7, v43
	v_cmp_gt_u32_e64 s[4:5], 4, v43
	v_mul_u32_u24_e32 v139, 0xf0, v10
	v_add_u32_e32 v145, 0, v41
	v_mul_u32_u24_e32 v156, 0xf0, v16
	v_lshrrev_b32_e32 v157, 3, v17
	v_mul_u32_u24_e32 v158, 0xf0, v18
	v_mul_u32_u24_e32 v159, 0xf0, v20
	v_lshrrev_b32_e32 v160, 3, v21
	v_mul_u32_u24_e32 v161, 0xf0, v14
	;; [unrolled: 3-line block ×3, first 2 shown]
	v_mul_u32_u24_e32 v165, 0xf0, v27
	v_mul_u32_u24_e32 v166, 0xf0, v28
	v_lshrrev_b32_e32 v167, 3, v30
	v_mul_u32_u24_e32 v168, 0xf0, v31
	v_lshrrev_b32_e32 v169, 3, v32
	;; [unrolled: 2-line block ×4, first 2 shown]
	v_mul_u32_u24_e32 v174, 0xf0, v37
	v_mul_u32_u24_e32 v176, 0xf0, v36
	v_mov_b32_e32 v41, v49
	s_lshl_b64 s[74:75], s[22:23], 8
	v_lshl_add_u64 v[80:81], s[40:41], 0, v[8:9]
	s_lshl_b64 s[78:79], s[28:29], 8
	v_lshl_add_u64 v[88:89], v[4:5], 0, s[12:13]
	s_mov_b32 s71, 0x3fb8aa3b
	s_mov_b32 s70, 0xc2ce8ed0
	;; [unrolled: 1-line block ×5, first 2 shown]
	v_mul_lo_u32 v178, v1, s14
	v_add3_u32 v90, v3, v40, 32
	v_add3_u32 v94, v2, v54, 48
	v_add_u32_e32 v179, 0x1e00, v138
	v_lshrrev_b32_e32 v180, 3, v43
	v_mul_u32_u24_e32 v182, 0xf0, v43
	v_add_u32_e32 v183, 0xf00, v153
	v_lshrrev_b32_e32 v184, 3, v12
	v_and_b32_e32 v96, 7, v12
	v_lshrrev_b32_e32 v185, 3, v15
	v_and_b32_e32 v98, 7, v15
	;; [unrolled: 2-line block ×6, first 2 shown]
	v_mbcnt_hi_u32_b32 v190, -1, v93
	v_mov_b32_e32 v191, 0x7f800000
	v_mad_u64_u32 v[108:109], s[12:13], v181, s18, v[38:39]
	v_writelane_b32 v204, s18, 34
	s_branch .LBB19_14
.LBB19_12:                              ;   in Loop: Header=BB19_14 Depth=1
	s_or_b64 exec, exec, s[82:83]
	s_barrier
.LBB19_13:                              ;   in Loop: Header=BB19_14 Depth=1
	s_add_i32 s2, s60, s34
	s_abs_i32 s9, s2
	s_mul_hi_u32 s10, s9, s56
	s_mul_i32 s10, s10, s35
	s_sub_i32 s9, s9, s10
	s_ashr_i32 s8, s2, 31
	s_sub_i32 s10, s9, s35
	s_cmp_ge_u32 s9, s35
	s_cselect_b32 s9, s10, s9
	s_sub_i32 s10, s9, s35
	s_cmp_ge_u32 s9, s35
	s_cselect_b32 s9, s10, s9
	s_xor_b32 s9, s9, s8
	s_sub_i32 s8, s8, s9
	s_add_i32 s60, s2, s8
	s_sub_i32 s2, s64, s60
	s_min_i32 s9, s34, s2
	s_cmp_gt_i32 s64, s60
	s_cselect_b64 s[12:13], -1, 0
	s_cmp_le_i32 s34, s2
	s_cselect_b64 s[14:15], -1, 0
	s_and_b64 s[14:15], s[14:15], s[12:13]
	s_mov_b32 s62, 0
	s_and_b64 vcc, exec, s[14:15]
	s_cbranch_vccz .LBB19_253
.LBB19_14:                              ; =>This Loop Header: Depth=1
                                        ;     Child Loop BB19_168 Depth 2
                                        ;     Child Loop BB19_48 Depth 2
	s_ashr_i32 s2, s60, 31
	v_readlane_b32 s8, v204, 23
	s_xor_b32 s2, s2, s8
	s_abs_i32 s8, s60
	v_readlane_b32 s10, v204, 24
	s_mul_hi_u32 s10, s8, s10
	s_mul_i32 s12, s10, s65
	s_sub_i32 s8, s8, s12
	s_add_i32 s12, s10, 1
	s_sub_i32 s13, s8, s65
	s_cmp_ge_u32 s8, s65
	s_cselect_b32 s10, s12, s10
	s_cselect_b32 s8, s13, s8
	s_add_i32 s12, s10, 1
	s_cmp_ge_u32 s8, s65
	s_cselect_b32 s8, s12, s10
	s_xor_b32 s8, s8, s2
	s_sub_i32 s2, s8, s2
	v_readlane_b32 s8, v204, 3
	s_mul_i32 s8, s2, s8
	s_sub_i32 s8, s60, s8
	s_ashr_i32 s10, s8, 31
	v_readlane_b32 s12, v204, 25
	s_xor_b32 s10, s10, s12
	s_abs_i32 s12, s8
	v_readlane_b32 s13, v204, 26
	s_mul_hi_u32 s13, s12, s13
	s_mul_i32 s14, s13, s61
	s_sub_i32 s12, s12, s14
	s_add_i32 s14, s13, 1
	s_sub_i32 s15, s12, s61
	s_cmp_ge_u32 s12, s61
	s_cselect_b32 s13, s14, s13
	s_cselect_b32 s12, s15, s12
	s_add_i32 s14, s13, 1
	s_cmp_ge_u32 s12, s61
	s_cselect_b32 s12, s14, s13
	s_xor_b32 s12, s12, s10
	s_sub_i32 s12, s12, s10
	v_readlane_b32 s10, v204, 2
	s_mul_i32 s10, s12, s10
	s_sub_i32 s10, s8, s10
	;; [unrolled: 21-line block ×3, first 2 shown]
	s_ashr_i32 s13, s10, 31
	v_readlane_b32 s14, v204, 8
	s_abs_i32 s10, s10
	s_xor_b32 s13, s13, s14
	s_mul_hi_u32 s14, s10, s56
	s_mul_i32 s15, s14, s35
	s_sub_i32 s10, s10, s15
	s_add_i32 s15, s14, 1
	s_sub_i32 s17, s10, s35
	s_cmp_ge_u32 s10, s35
	s_cselect_b32 s14, s15, s14
	s_cselect_b32 s10, s17, s10
	s_add_i32 s15, s14, 1
	s_cmp_ge_u32 s10, s35
	s_cselect_b32 s10, s15, s14
	v_readlane_b32 s14, v204, 14
	s_xor_b32 s10, s10, s13
	v_readlane_b32 s15, v204, 15
	s_andn2_b64 vcc, exec, s[14:15]
	s_sub_i32 s58, s10, s13
	s_cbranch_vccnz .LBB19_16
; %bb.15:                               ;   in Loop: Header=BB19_14 Depth=1
	v_readlane_b32 s10, v204, 0
	s_mul_i32 s10, s2, s10
	s_add_i32 s14, s58, s10
	s_ashr_i32 s15, s14, 31
	s_lshl_b64 s[14:15], s[14:15], 2
	s_add_u32 s14, s46, s14
	s_addc_u32 s15, s47, s15
	global_load_dword v2, v49, s[14:15]
	s_waitcnt vmcnt(0)
	v_readfirstlane_b32 s10, v2
	s_ashr_i32 s13, s10, 31
	s_lshr_b32 s13, s13, 26
	s_add_i32 s10, s10, s13
	s_ashr_i32 s10, s10, 6
	s_min_i32 s9, s9, s10
.LBB19_16:                              ;   in Loop: Header=BB19_14 Depth=1
	v_readlane_b32 s18, v204, 4
	v_readlane_b32 s19, v204, 5
	s_mul_i32 s13, s12, s3
	s_lshl_b32 s10, s8, 3
	s_mul_i32 s8, s2, s19
	s_add_i32 s14, s10, s13
	s_ashr_i32 s13, s8, 31
	s_add_u32 s8, s36, s8
	s_mul_i32 s15, s14, s18
	s_addc_u32 s13, s37, s13
	s_ashr_i32 s17, s15, 31
	s_add_u32 s92, s8, s15
	s_addc_u32 s93, s13, s17
	s_ashr_i32 s13, s2, 31
	s_mul_hi_u32 s8, s24, s2
	s_mul_i32 s15, s24, s13
	s_add_i32 s8, s8, s15
	s_mul_i32 s15, s25, s2
	v_readlane_b32 s18, v204, 6
	s_add_i32 s91, s8, s15
	s_mul_i32 s90, s24, s2
	v_readlane_b32 s19, v204, 7
	s_add_u32 s8, s38, s90
	s_mul_i32 s86, s12, s19
	s_addc_u32 s15, s39, s91
	s_ashr_i32 s87, s86, 31
	s_add_u32 s17, s8, s86
	s_addc_u32 s8, s15, s87
	s_abs_i32 s15, s2
	v_readlane_b32 s18, v204, 29
	s_mul_hi_u32 s18, s15, s18
	s_mul_i32 s18, s18, s69
	s_sub_i32 s15, s15, s18
	s_sub_i32 s18, s15, s69
	s_cmp_ge_u32 s15, s69
	s_cselect_b32 s15, s18, s15
	s_sub_i32 s18, s15, s69
	s_cmp_ge_u32 s15, s69
	s_cselect_b32 s15, s18, s15
	s_xor_b32 s15, s15, s13
	s_sub_i32 s15, s15, s13
	s_ashr_i32 s18, s15, 31
	s_mul_i32 s18, s54, s18
	s_mul_hi_u32 s19, s54, s15
	s_add_i32 s18, s19, s18
	s_mul_i32 s19, s55, s15
	s_add_i32 s95, s18, s19
	s_mul_i32 s94, s54, s15
	s_mul_i32 s15, s20, s21
	s_add_u32 s84, s42, s94
	s_mul_i32 s15, s15, s2
	s_addc_u32 s85, s43, s95
	s_add_i32 s15, s14, s15
	s_mul_i32 s66, s15, 56
	s_lshl_b64 s[18:19], s[66:67], 3
	s_add_u32 s80, s48, s18
	s_mul_hi_u32 s15, s52, s2
	s_mul_i32 s13, s52, s13
	s_addc_u32 s81, s49, s19
	s_add_i32 s13, s15, s13
	s_mul_i32 s15, s53, s2
	s_add_i32 s97, s13, s15
	s_mul_i32 s96, s52, s2
	s_add_u32 s2, s40, s96
	s_mul_i32 s88, s12, s27
	s_addc_u32 s13, s41, s97
	s_ashr_i32 s89, s88, 31
	s_add_u32 s33, s2, s88
	s_addc_u32 s2, s13, s89
	s_ashr_i32 s15, s14, 31
	s_lshl_b64 s[12:13], s[14:15], 2
	s_add_u32 s14, s44, s12
	s_addc_u32 s15, s45, s13
	v_readlane_b32 s12, v204, 12
	v_readlane_b32 s13, v204, 13
	s_and_b64 s[12:13], s[12:13], exec
	s_cselect_b32 s83, 0, s15
	s_cselect_b32 s82, 0, s14
	s_cmp_lg_u32 s62, 0
	v_or_b32_e32 v109, s10, v181
	s_cbranch_scc0 .LBB19_54
; %bb.17:                               ;   in Loop: Header=BB19_14 Depth=1
	s_lshl_b32 s59, s58, 2
	v_add_u32_e32 v2, s59, v180
	v_cmp_le_i32_e64 s[12:13], s20, v2
	v_cmp_le_i32_e64 s[14:15], s3, v109
	v_cmp_gt_i32_e32 vcc, s3, v109
	s_or_b64 s[12:13], s[12:13], s[14:15]
	s_and_saveexec_b64 s[14:15], s[12:13]
	s_xor_b64 s[12:13], exec, s[14:15]
; %bb.18:                               ;   in Loop: Header=BB19_14 Depth=1
	v_add_u32_e32 v2, v177, v182
	ds_write_b32 v2, v49
                                        ; implicit-def: $vgpr2
; %bb.19:                               ;   in Loop: Header=BB19_14 Depth=1
	s_or_saveexec_b64 s[12:13], s[12:13]
	s_movk_i32 s66, 0x47
	s_xor_b64 exec, exec, s[12:13]
	s_cbranch_execz .LBB19_21
; %bb.20:                               ;   in Loop: Header=BB19_14 Depth=1
	v_mad_u64_u32 v[2:3], s[14:15], v2, s11, v[108:109]
	v_ashrrev_i32_e32 v3, 31, v2
	v_lshl_add_u64 v[2:3], v[2:3], 3, s[92:93]
	global_load_dwordx2 v[2:3], v[2:3], off
	s_waitcnt vmcnt(0)
	v_cvt_pk_f16_f32 v2, v2, v3
	v_pk_mul_f16 v2, v2, v178
	v_add_u32_e32 v3, v177, v182
	ds_write_b32 v3, v2
.LBB19_21:                              ;   in Loop: Header=BB19_14 Depth=1
	s_or_b64 exec, exec, s[12:13]
	v_add_u32_e32 v2, s59, v146
	v_cmp_le_i32_e64 s[12:13], s20, v2
	s_xor_b64 s[14:15], vcc, -1
	s_or_b64 s[12:13], s[12:13], s[14:15]
	s_and_saveexec_b64 s[18:19], s[12:13]
	s_xor_b64 s[12:13], exec, s[18:19]
; %bb.22:                               ;   in Loop: Header=BB19_14 Depth=1
	v_add_u32_e32 v2, v177, v182
	ds_write_b32 v2, v49 offset:1920
                                        ; implicit-def: $vgpr2
; %bb.23:                               ;   in Loop: Header=BB19_14 Depth=1
	s_andn2_saveexec_b64 s[12:13], s[12:13]
	s_cbranch_execz .LBB19_25
; %bb.24:                               ;   in Loop: Header=BB19_14 Depth=1
	v_mad_u64_u32 v[2:3], s[18:19], v2, s11, v[108:109]
	v_ashrrev_i32_e32 v3, 31, v2
	v_lshl_add_u64 v[2:3], v[2:3], 3, s[92:93]
	global_load_dwordx2 v[2:3], v[2:3], off
	s_waitcnt vmcnt(0)
	v_cvt_pk_f16_f32 v2, v2, v3
	v_pk_mul_f16 v2, v2, v178
	v_add_u32_e32 v3, v177, v182
	ds_write_b32 v3, v2 offset:1920
.LBB19_25:                              ;   in Loop: Header=BB19_14 Depth=1
	s_or_b64 exec, exec, s[12:13]
	v_add_u32_e32 v2, s59, v147
	v_cmp_le_i32_e32 vcc, s20, v2
	s_or_b64 s[12:13], vcc, s[14:15]
	s_and_saveexec_b64 s[18:19], s[12:13]
	s_xor_b64 s[12:13], exec, s[18:19]
; %bb.26:                               ;   in Loop: Header=BB19_14 Depth=1
	v_add_u32_e32 v2, v177, v182
	ds_write_b32 v2, v49 offset:3840
                                        ; implicit-def: $vgpr2
; %bb.27:                               ;   in Loop: Header=BB19_14 Depth=1
	s_andn2_saveexec_b64 s[12:13], s[12:13]
	s_cbranch_execz .LBB19_29
; %bb.28:                               ;   in Loop: Header=BB19_14 Depth=1
	v_mad_u64_u32 v[2:3], s[18:19], v2, s11, v[108:109]
	v_ashrrev_i32_e32 v3, 31, v2
	v_lshl_add_u64 v[2:3], v[2:3], 3, s[92:93]
	global_load_dwordx2 v[2:3], v[2:3], off
	s_waitcnt vmcnt(0)
	v_cvt_pk_f16_f32 v2, v2, v3
	v_pk_mul_f16 v2, v2, v178
	v_add_u32_e32 v3, v177, v182
	ds_write_b32 v3, v2 offset:3840
.LBB19_29:                              ;   in Loop: Header=BB19_14 Depth=1
	s_or_b64 exec, exec, s[12:13]
	v_add_u32_e32 v2, s59, v148
	v_cmp_le_i32_e32 vcc, s20, v2
	s_or_b64 s[12:13], vcc, s[14:15]
	s_and_saveexec_b64 s[14:15], s[12:13]
	s_xor_b64 s[12:13], exec, s[14:15]
; %bb.30:                               ;   in Loop: Header=BB19_14 Depth=1
	v_add_u32_e32 v2, v177, v182
	ds_write_b32 v2, v49 offset:5760
                                        ; implicit-def: $vgpr2
; %bb.31:                               ;   in Loop: Header=BB19_14 Depth=1
	s_andn2_saveexec_b64 s[12:13], s[12:13]
	s_cbranch_execz .LBB19_33
; %bb.32:                               ;   in Loop: Header=BB19_14 Depth=1
	v_mad_u64_u32 v[2:3], s[14:15], v2, s11, v[108:109]
	v_ashrrev_i32_e32 v3, 31, v2
	v_lshl_add_u64 v[2:3], v[2:3], 3, s[92:93]
	global_load_dwordx2 v[2:3], v[2:3], off
	s_waitcnt vmcnt(0)
	v_cvt_pk_f16_f32 v2, v2, v3
	v_pk_mul_f16 v2, v2, v178
	v_add_u32_e32 v3, v177, v182
	ds_write_b32 v3, v2 offset:5760
.LBB19_33:                              ;   in Loop: Header=BB19_14 Depth=1
	s_or_b64 exec, exec, s[12:13]
	v_or_b32_e32 v2, s10, v150
	v_cmp_gt_i32_e32 vcc, s3, v2
	v_cmp_le_i32_e64 s[12:13], s3, v2
	v_add_u32_e32 v2, s59, v151
	v_cmp_le_i32_e64 s[14:15], s20, v2
	s_or_b64 s[12:13], s[14:15], s[12:13]
	s_and_saveexec_b64 s[14:15], s[12:13]
	s_xor_b64 s[12:13], exec, s[14:15]
; %bb.34:                               ;   in Loop: Header=BB19_14 Depth=1
	ds_write_b32 v153, v49 offset:128
                                        ; implicit-def: $vgpr2
; %bb.35:                               ;   in Loop: Header=BB19_14 Depth=1
	s_andn2_saveexec_b64 s[12:13], s[12:13]
	s_cbranch_execz .LBB19_37
; %bb.36:                               ;   in Loop: Header=BB19_14 Depth=1
	v_mad_u64_u32 v[2:3], s[14:15], v2, s11, v[90:91]
	v_ashrrev_i32_e32 v3, 31, v2
	v_lshl_add_u64 v[2:3], v[2:3], 3, s[92:93]
	global_load_dwordx2 v[2:3], v[2:3], off
	s_waitcnt vmcnt(0)
	v_cvt_pk_f16_f32 v2, v2, v3
	v_pk_mul_f16 v2, v2, v178
	v_add_u32_e32 v3, v149, v152
	ds_write_b32 v3, v2 offset:128
.LBB19_37:                              ;   in Loop: Header=BB19_14 Depth=1
	s_or_b64 exec, exec, s[12:13]
	v_add_u32_e32 v2, s59, v154
	v_cmp_le_i32_e64 s[12:13], s20, v2
	s_xor_b64 s[14:15], vcc, -1
	s_or_b64 s[12:13], s[12:13], s[14:15]
	s_and_saveexec_b64 s[14:15], s[12:13]
	s_xor_b64 s[12:13], exec, s[14:15]
; %bb.38:                               ;   in Loop: Header=BB19_14 Depth=1
	ds_write_b32 v183, v49 offset:128
                                        ; implicit-def: $vgpr2
; %bb.39:                               ;   in Loop: Header=BB19_14 Depth=1
	s_andn2_saveexec_b64 s[12:13], s[12:13]
	s_cbranch_execz .LBB19_41
; %bb.40:                               ;   in Loop: Header=BB19_14 Depth=1
	v_mad_u64_u32 v[2:3], s[14:15], v2, s11, v[90:91]
	v_ashrrev_i32_e32 v3, 31, v2
	v_lshl_add_u64 v[2:3], v[2:3], 3, s[92:93]
	global_load_dwordx2 v[2:3], v[2:3], off
	s_waitcnt vmcnt(0)
	v_cvt_pk_f16_f32 v2, v2, v3
	v_pk_mul_f16 v2, v2, v178
	v_add_u32_e32 v3, v149, v152
	ds_write_b32 v3, v2 offset:3968
.LBB19_41:                              ;   in Loop: Header=BB19_14 Depth=1
	s_or_b64 exec, exec, s[12:13]
	v_add_u32_e32 v2, s59, v142
	v_or_b32_e32 v3, s10, v92
	v_cmp_le_i32_e64 s[12:13], s20, v2
	v_cmp_le_i32_e64 s[14:15], s3, v3
	v_cmp_gt_i32_e32 vcc, s3, v3
	s_or_b64 s[12:13], s[12:13], s[14:15]
	s_and_saveexec_b64 s[14:15], s[12:13]
	s_xor_b64 s[12:13], exec, s[14:15]
; %bb.42:                               ;   in Loop: Header=BB19_14 Depth=1
	ds_write_b32 v137, v49 offset:192
                                        ; implicit-def: $vgpr2
; %bb.43:                               ;   in Loop: Header=BB19_14 Depth=1
	s_andn2_saveexec_b64 s[12:13], s[12:13]
	s_cbranch_execz .LBB19_45
; %bb.44:                               ;   in Loop: Header=BB19_14 Depth=1
	v_mad_u64_u32 v[2:3], s[14:15], v2, s11, v[94:95]
	v_ashrrev_i32_e32 v3, 31, v2
	v_lshl_add_u64 v[2:3], v[2:3], 3, s[92:93]
	global_load_dwordx2 v[2:3], v[2:3], off
	s_waitcnt vmcnt(0)
	v_cvt_pk_f16_f32 v2, v2, v3
	v_pk_mul_f16 v2, v2, v178
	ds_write_b32 v137, v2 offset:192
.LBB19_45:                              ;   in Loop: Header=BB19_14 Depth=1
	s_or_b64 exec, exec, s[12:13]
	s_waitcnt lgkmcnt(0)
	s_barrier
	ds_read2_b64 v[10:13], v136 offset1:4
	ds_read2_b64 v[6:9], v136 offset0:8 offset1:12
	ds_read2_b64 v[2:5], v136 offset0:16 offset1:20
	ds_read_b64 v[110:111], v136 offset:192
	s_add_i32 s63, s9, -1
	s_cmp_ge_i32 s62, s63
	s_waitcnt lgkmcnt(0)
	s_barrier
	s_cbranch_scc1 .LBB19_55
; %bb.46:                               ;   in Loop: Header=BB19_14 Depth=1
	v_add_u32_e32 v14, s59, v43
	v_mul_hi_u32 v15, s30, v14
	v_add_u32_e32 v15, v14, v15
	v_lshrrev_b32_e32 v15, s31, v15
	v_mul_lo_u32 v15, v15, s20
	v_readlane_b32 s12, v204, 30
	v_sub_u32_e32 v14, v14, v15
	v_readlane_b32 s13, v204, 31
	v_mad_i64_i32 v[14:15], s[12:13], v14, s12, 0
	v_lshl_add_u64 v[14:15], v[14:15], 1, s[84:85]
	v_lshlrev_b32_e32 v48, 1, v42
	v_lshl_add_u64 v[112:113], v[14:15], 0, v[48:49]
	v_and_b32_e32 v14, 64, v190
	v_add_u32_e32 v14, 64, v14
	v_xor_b32_e32 v15, 32, v190
	v_cmp_lt_i32_e64 s[12:13], v15, v14
	s_lshl_b32 s14, s62, 6
	v_mov_b32_e32 v35, 0
	v_cndmask_b32_e64 v15, v190, v15, s[12:13]
	v_lshlrev_b32_e32 v120, 2, v15
	v_xor_b32_e32 v15, 16, v190
	v_cmp_lt_i32_e64 s[12:13], v15, v14
	v_mov_b32_e32 v25, 0xfeffffff
	v_mov_b32_e32 v23, 0
	v_cndmask_b32_e64 v14, v190, v15, s[12:13]
	v_lshlrev_b32_e32 v121, 2, v14
	v_mov_b32_e32 v34, 0
	v_mov_b32_e32 v31, 0
	;; [unrolled: 1-line block ×13, first 2 shown]
	s_ashr_i32 s15, s14, 31
	s_and_saveexec_b64 s[12:13], s[4:5]
	s_cbranch_execz .LBB19_48
.LBB19_47:                              ;   in Loop: Header=BB19_14 Depth=1
	v_lshl_add_u64 v[14:15], s[14:15], 1, v[112:113]
	global_load_dword v14, v[14:15], off
	s_waitcnt vmcnt(0)
	ds_write_b32 v97, v14 offset:15360
.LBB19_48:                              ;   Parent Loop BB19_14 Depth=1
                                        ; =>  This Inner Loop Header: Depth=2
	s_or_b64 exec, exec, s[12:13]
	s_mul_hi_i32 s13, s14, s28
	s_mul_i32 s12, s14, s28
	s_lshl_b64 s[12:13], s[12:13], 2
	s_add_u32 s12, s17, s12
	s_addc_u32 s13, s8, s13
	s_and_saveexec_b64 s[18:19], s[6:7]
	s_cbranch_execz .LBB19_50
; %bb.49:                               ;   in Loop: Header=BB19_48 Depth=2
	v_lshl_add_u64 v[14:15], v[62:63], 2, s[12:13]
	v_lshlrev_b32_e32 v48, 2, v46
	v_lshl_add_u64 v[14:15], v[14:15], 0, v[48:49]
	global_load_dwordx4 v[114:117], v[14:15], off offset:192
	s_waitcnt vmcnt(0)
	ds_write_b128 v101, v[114:117]
.LBB19_50:                              ;   in Loop: Header=BB19_48 Depth=2
	s_or_b64 exec, exec, s[18:19]
	v_lshl_add_u64 v[14:15], v[52:53], 2, s[12:13]
	v_lshlrev_b32_e32 v48, 2, v44
	v_lshl_add_u64 v[36:37], v[14:15], 0, v[48:49]
	v_lshl_add_u64 v[114:115], v[58:59], 2, s[12:13]
	v_lshlrev_b32_e32 v14, 2, v56
	v_mov_b32_e32 v15, v49
	v_lshl_add_u64 v[118:119], v[114:115], 0, v[14:15]
	v_lshl_add_u64 v[114:115], v[60:61], 2, s[12:13]
	;; [unrolled: 1-line block ×3, first 2 shown]
	global_load_dwordx4 v[114:117], v[36:37], off offset:128
	v_add_u32_e32 v22, v95, v139
	v_add_u32_e32 v26, 0x1800, v22
	s_mul_hi_i32 s13, s14, s22
	s_mul_i32 s12, s14, s22
	s_lshl_b64 s[12:13], s[12:13], 2
	s_add_u32 s18, s33, s12
	s_addc_u32 s19, s2, s13
	s_waitcnt vmcnt(0)
	ds_write_b128 v99, v[114:117]
	global_load_dwordx4 v[114:117], v[118:119], off
	s_waitcnt vmcnt(0)
	ds_write_b128 v138, v[114:117]
	global_load_dwordx4 v[114:117], v[122:123], off
	s_waitcnt vmcnt(0)
	ds_write_b128 v179, v[114:117]
	s_waitcnt lgkmcnt(0)
	s_barrier
	ds_read2_b64 v[114:117], v22 offset1:4
	s_waitcnt lgkmcnt(0)
	v_mfma_f32_16x16x16_f16 v[122:125], v[114:115], v[10:11], 0
	ds_read_b64 v[36:37], v22 offset:192
	v_mfma_f32_16x16x16_f16 v[114:117], v[116:117], v[12:13], v[122:125]
	s_nop 5
	ds_read2_b64 v[122:125], v22 offset0:8 offset1:12
	s_waitcnt lgkmcnt(0)
	v_mfma_f32_16x16x16_f16 v[114:117], v[122:123], v[6:7], v[114:117]
	v_mfma_f32_16x16x16_f16 v[114:117], v[124:125], v[8:9], v[114:117]
	ds_read2_b64 v[122:125], v22 offset0:16 offset1:20
	s_waitcnt lgkmcnt(0)
	v_mfma_f32_16x16x16_f16 v[114:117], v[122:123], v[2:3], v[114:117]
	v_mfma_f32_16x16x16_f16 v[114:117], v[124:125], v[4:5], v[114:117]
	;; [unrolled: 4-line block ×3, first 2 shown]
	s_nop 6
	ds_read2_b64 v[126:129], v26 offset0:200 offset1:204
	s_waitcnt lgkmcnt(0)
	v_mfma_f32_16x16x16_f16 v[122:125], v[126:127], v[6:7], v[122:125]
	v_mfma_f32_16x16x16_f16 v[122:125], v[128:129], v[8:9], v[122:125]
	ds_read2_b64 v[126:129], v26 offset0:208 offset1:212
	v_mfma_f32_16x16x16_f16 v[114:117], v[36:37], v[110:111], v[114:117]
	ds_read_b64 v[36:37], v22 offset:7872
	v_add_u32_e32 v22, 0x3c00, v103
	s_waitcnt lgkmcnt(0)
	v_mfma_f32_16x16x16_f16 v[122:125], v[126:127], v[2:3], v[122:125]
	s_barrier
	v_mfma_f32_16x16x16_f16 v[122:125], v[128:129], v[4:5], v[122:125]
	v_mfma_f32_16x16x16_f16 v[122:125], v[36:37], v[110:111], v[122:125]
	ds_read2_b32 v[36:37], v22 offset1:1
	s_waitcnt lgkmcnt(0)
	v_cvt_f32_f16_sdwa v26, v36 dst_sel:DWORD dst_unused:UNUSED_PAD src0_sel:WORD_1
	v_cvt_f32_f16_e32 v22, v36
	v_cvt_f32_f16_sdwa v36, v37 dst_sel:DWORD dst_unused:UNUSED_PAD src0_sel:WORD_1
	v_add_f32_e32 v29, v115, v26
	v_cvt_f32_f16_e32 v26, v37
	v_add_f32_e32 v22, v114, v22
	ds_read_b32 v114, v141 offset:15360
	v_add_f32_e32 v36, v117, v36
	v_add_f32_e32 v33, v116, v26
	ds_read_b32 v26, v140 offset:15360
	v_add_f32_e32 v117, 0x40051340, v29
	s_waitcnt lgkmcnt(1)
	v_cvt_f32_f16_e32 v115, v114
	v_cvt_f32_f16_sdwa v114, v114 dst_sel:DWORD dst_unused:UNUSED_PAD src0_sel:WORD_1
	v_add_f32_e32 v118, 0x40051340, v36
	s_waitcnt lgkmcnt(0)
	v_cvt_f32_f16_e32 v37, v26
	v_cvt_f32_f16_sdwa v26, v26 dst_sel:DWORD dst_unused:UNUSED_PAD src0_sel:WORD_1
	v_add_f32_e32 v116, v125, v114
	v_add_f32_e32 v114, 0x40051340, v22
	;; [unrolled: 1-line block ×4, first 2 shown]
	v_max3_f32 v114, v25, v114, v117
	v_add_f32_e32 v117, 0x40051340, v33
	v_add_f32_e32 v115, v124, v115
	v_max3_f32 v114, v114, v117, v118
	v_add_f32_e32 v117, 0x40051340, v37
	v_add_f32_e32 v118, 0x40051340, v26
	;; [unrolled: 3-line block ×3, first 2 shown]
	v_max3_f32 v114, v114, v117, v118
	ds_bpermute_b32 v117, v120, v114
	s_waitcnt lgkmcnt(0)
	v_max_f32_e32 v117, v117, v117
	v_max_f32_e32 v114, v114, v117
	ds_bpermute_b32 v117, v121, v114
	s_and_saveexec_b64 s[12:13], s[6:7]
	s_cbranch_execz .LBB19_52
; %bb.51:                               ;   in Loop: Header=BB19_48 Depth=2
	v_lshl_add_u64 v[118:119], v[64:65], 2, s[18:19]
	v_lshlrev_b32_e32 v122, 2, v46
	v_mov_b32_e32 v123, v49
	v_lshl_add_u64 v[118:119], v[118:119], 0, v[122:123]
	global_load_dwordx4 v[122:125], v[118:119], off offset:192
	s_waitcnt vmcnt(0)
	ds_write_b128 v101, v[122:125]
.LBB19_52:                              ;   in Loop: Header=BB19_48 Depth=2
	s_or_b64 exec, exec, s[12:13]
	s_waitcnt lgkmcnt(0)
	v_max_f32_e32 v117, v117, v117
	v_max_f32_e32 v114, v114, v114
	;; [unrolled: 1-line block ×3, first 2 shown]
	v_sub_f32_e32 v22, v22, v118
	v_mul_f32_e32 v114, 0x3fb8aa3b, v22
	v_fma_f32 v117, v22, s71, -v114
	v_rndne_f32_e32 v119, v114
	v_fmac_f32_e32 v117, 0x32a5705f, v22
	v_sub_f32_e32 v114, v114, v119
	v_add_f32_e32 v114, v114, v117
	v_exp_f32_e32 v114, v114
	v_cvt_i32_f32_e32 v117, v119
	v_cmp_ngt_f32_e64 s[12:13], s70, v22
	v_sub_f32_e32 v29, v29, v118
	v_sub_f32_e32 v33, v33, v118
	v_ldexp_f32 v114, v114, v117
	v_cndmask_b32_e64 v114, 0, v114, s[12:13]
	v_cmp_nlt_f32_e64 s[12:13], s26, v22
	v_sub_f32_e32 v36, v36, v118
	v_sub_f32_e32 v37, v37, v118
	v_cndmask_b32_e64 v22, v191, v114, s[12:13]
	v_mul_f32_e32 v114, 0x3fb8aa3b, v29
	v_fma_f32 v117, v29, s71, -v114
	v_rndne_f32_e32 v119, v114
	v_fmac_f32_e32 v117, 0x32a5705f, v29
	v_sub_f32_e32 v114, v114, v119
	v_add_f32_e32 v114, v114, v117
	v_exp_f32_e32 v114, v114
	v_cvt_i32_f32_e32 v117, v119
	v_cmp_ngt_f32_e64 s[12:13], s70, v29
	v_sub_f32_e32 v26, v26, v118
	v_sub_f32_e32 v115, v115, v118
	v_ldexp_f32 v114, v114, v117
	v_mul_f32_e32 v117, 0x3fb8aa3b, v33
	v_fma_f32 v119, v33, s71, -v117
	v_rndne_f32_e32 v122, v117
	v_fmac_f32_e32 v119, 0x32a5705f, v33
	v_sub_f32_e32 v117, v117, v122
	v_add_f32_e32 v117, v117, v119
	v_exp_f32_e32 v117, v117
	v_cvt_i32_f32_e32 v119, v122
	v_cndmask_b32_e64 v114, 0, v114, s[12:13]
	v_cmp_nlt_f32_e64 s[12:13], s26, v29
	v_sub_f32_e32 v116, v116, v118
	v_ldexp_f32 v117, v117, v119
	v_cndmask_b32_e64 v29, v191, v114, s[12:13]
	v_cmp_ngt_f32_e64 s[12:13], s70, v33
	v_add_f32_e32 v114, v22, v29
	v_sub_f32_e32 v25, v25, v118
	v_cndmask_b32_e64 v117, 0, v117, s[12:13]
	v_cmp_nlt_f32_e64 s[12:13], s26, v33
	s_add_i32 s62, s62, 1
	s_add_i32 s14, s14, 64
	v_cndmask_b32_e64 v33, v191, v117, s[12:13]
	v_mul_f32_e32 v117, 0x3fb8aa3b, v36
	v_fma_f32 v119, v36, s71, -v117
	v_rndne_f32_e32 v122, v117
	v_fmac_f32_e32 v119, 0x32a5705f, v36
	v_sub_f32_e32 v117, v117, v122
	v_add_f32_e32 v117, v117, v119
	v_exp_f32_e32 v117, v117
	v_cvt_i32_f32_e32 v119, v122
	v_cmp_ngt_f32_e64 s[12:13], s70, v36
	v_add_f32_e32 v114, v33, v114
	s_cmp_lt_i32 s62, s63
	v_ldexp_f32 v117, v117, v119
	v_cndmask_b32_e64 v117, 0, v117, s[12:13]
	v_cmp_nlt_f32_e64 s[12:13], s26, v36
	s_nop 1
	v_cndmask_b32_e64 v36, v191, v117, s[12:13]
	v_mul_f32_e32 v117, 0x3fb8aa3b, v37
	v_fma_f32 v119, v37, s71, -v117
	v_rndne_f32_e32 v122, v117
	v_fmac_f32_e32 v119, 0x32a5705f, v37
	v_sub_f32_e32 v117, v117, v122
	v_add_f32_e32 v117, v117, v119
	v_exp_f32_e32 v117, v117
	v_cvt_i32_f32_e32 v119, v122
	v_cmp_ngt_f32_e64 s[12:13], s70, v37
	v_add_f32_e32 v114, v36, v114
	v_ldexp_f32 v117, v117, v119
	v_cndmask_b32_e64 v117, 0, v117, s[12:13]
	v_cmp_nlt_f32_e64 s[12:13], s26, v37
	s_nop 1
	v_cndmask_b32_e64 v37, v191, v117, s[12:13]
	v_add_f32_e32 v117, v37, v114
	v_mul_f32_e32 v114, 0x3fb8aa3b, v26
	v_fma_f32 v119, v26, s71, -v114
	v_rndne_f32_e32 v122, v114
	v_fmac_f32_e32 v119, 0x32a5705f, v26
	v_sub_f32_e32 v114, v114, v122
	v_add_f32_e32 v114, v114, v119
	v_exp_f32_e32 v114, v114
	v_cvt_i32_f32_e32 v119, v122
	v_cmp_ngt_f32_e64 s[12:13], s70, v26
	v_ldexp_f32 v114, v114, v119
	s_nop 0
	v_cndmask_b32_e64 v114, 0, v114, s[12:13]
	v_cmp_nlt_f32_e64 s[12:13], s26, v26
	s_nop 1
	v_cndmask_b32_e64 v114, v191, v114, s[12:13]
	v_add_f32_e32 v26, v114, v117
	v_mul_f32_e32 v117, 0x3fb8aa3b, v115
	v_fma_f32 v119, v115, s71, -v117
	v_rndne_f32_e32 v122, v117
	v_fmac_f32_e32 v119, 0x32a5705f, v115
	v_sub_f32_e32 v117, v117, v122
	v_add_f32_e32 v117, v117, v119
	v_exp_f32_e32 v117, v117
	v_cvt_i32_f32_e32 v119, v122
	v_cmp_ngt_f32_e64 s[12:13], s70, v115
	v_cvt_pk_f16_f32 v114, v37, v114
	v_ldexp_f32 v117, v117, v119
	v_cndmask_b32_e64 v117, 0, v117, s[12:13]
	v_cmp_nlt_f32_e64 s[12:13], s26, v115
	s_nop 1
	v_cndmask_b32_e64 v115, v191, v117, s[12:13]
	v_mul_f32_e32 v117, 0x3fb8aa3b, v116
	v_fma_f32 v119, v116, s71, -v117
	v_rndne_f32_e32 v122, v117
	v_fmac_f32_e32 v119, 0x32a5705f, v116
	v_sub_f32_e32 v117, v117, v122
	v_add_f32_e32 v117, v117, v119
	v_exp_f32_e32 v117, v117
	v_cvt_i32_f32_e32 v119, v122
	v_cmp_ngt_f32_e64 s[12:13], s70, v116
	v_add_f32_e32 v26, v115, v26
	v_ldexp_f32 v117, v117, v119
	v_cndmask_b32_e64 v117, 0, v117, s[12:13]
	v_cmp_nlt_f32_e64 s[12:13], s26, v116
	s_nop 1
	v_cndmask_b32_e64 v124, v191, v117, s[12:13]
	v_add_f32_e32 v119, v124, v26
	v_mul_f32_e32 v26, 0x3fb8aa3b, v25
	v_fma_f32 v116, v25, s71, -v26
	v_rndne_f32_e32 v117, v26
	v_fmac_f32_e32 v116, 0x32a5705f, v25
	v_sub_f32_e32 v26, v26, v117
	v_add_f32_e32 v26, v26, v116
	v_exp_f32_e32 v26, v26
	v_cvt_i32_f32_e32 v116, v117
	v_cmp_ngt_f32_e64 s[12:13], s70, v25
	v_cvt_pk_f16_f32 v117, v33, v36
	v_cvt_pk_f16_f32 v115, v115, v124
	v_ldexp_f32 v26, v26, v116
	v_cndmask_b32_e64 v26, 0, v26, s[12:13]
	v_cmp_nlt_f32_e64 s[12:13], s26, v25
	s_nop 1
	v_cndmask_b32_e64 v26, v191, v26, s[12:13]
	v_cmp_le_f32_e64 s[12:13], s57, v25
	s_nop 1
	v_cndmask_b32_e64 v25, 0, v26, s[12:13]
	v_fmac_f32_e32 v119, v23, v25
	v_cvt_f16_f32_e32 v23, v25
	v_mul_u32_u24_e32 v116, 0x10001, v23
	v_pk_mul_f16 v123, v17, v116
	v_pk_mul_f16 v122, v16, v116
	v_lshl_add_u64 v[16:17], v[70:71], 2, s[18:19]
	v_lshl_add_u64 v[16:17], v[16:17], 0, v[48:49]
	global_load_dwordx4 v[126:129], v[16:17], off offset:128
	v_lshl_add_u64 v[16:17], v[68:69], 2, s[18:19]
	v_lshl_add_u64 v[16:17], v[16:17], 0, v[14:15]
	v_pk_mul_f16 v21, v21, v116
	v_pk_mul_f16 v20, v20, v116
	;; [unrolled: 1-line block ×12, first 2 shown]
	v_cvt_pk_f16_f32 v116, v22, v29
	v_cvt_f32_f16_e32 v124, v19
	v_cvt_f32_f16_sdwa v125, v19 dst_sel:DWORD dst_unused:UNUSED_PAD src0_sel:WORD_1
	s_waitcnt vmcnt(0)
	ds_write_b128 v99, v[126:129]
	global_load_dwordx4 v[126:129], v[16:17], off
	v_lshl_add_u64 v[16:17], v[66:67], 2, s[18:19]
	v_lshl_add_u64 v[14:15], v[16:17], 0, v[14:15]
	global_load_dwordx4 v[14:17], v[14:15], off
	s_waitcnt vmcnt(1)
	ds_write_b128 v138, v[126:129]
	v_cvt_f32_f16_e32 v126, v18
	v_cvt_f32_f16_sdwa v127, v18 dst_sel:DWORD dst_unused:UNUSED_PAD src0_sel:WORD_1
	s_waitcnt vmcnt(0)
	ds_write_b128 v179, v[14:17]
	s_waitcnt lgkmcnt(0)
	s_barrier
	ds_read_u16 v24, v105 offset:240
	v_cvt_f32_f16_e32 v14, v21
	v_cvt_f32_f16_sdwa v15, v21 dst_sel:DWORD dst_unused:UNUSED_PAD src0_sel:WORD_1
	v_cvt_f32_f16_e32 v16, v20
	v_cvt_f32_f16_sdwa v17, v20 dst_sel:DWORD dst_unused:UNUSED_PAD src0_sel:WORD_1
	ds_read_u16 v20, v107
	ds_read_u16 v27, v107 offset:32
	ds_read_u16 v21, v134
	ds_read_u16 v32, v134 offset:32
	s_waitcnt lgkmcnt(1)
	v_perm_b32 v21, v21, v20, s16
	ds_read_u16 v20, v105
	ds_read_u16 v48, v105 offset:32
	s_waitcnt lgkmcnt(2)
	v_perm_b32 v19, v32, v27, s16
	s_waitcnt lgkmcnt(1)
	v_perm_b32 v20, v24, v20, s16
	s_nop 1
	v_mfma_f32_16x16x16_f16 v[14:17], v[20:21], v[116:117], v[14:17]
	ds_read_u16 v20, v105 offset:7680
	ds_read_u16 v22, v105 offset:7920
	;; [unrolled: 1-line block ×4, first 2 shown]
	s_nop 3
	v_cvt_f16_f32_e32 v14, v14
	v_cvt_f16_f32_e32 v15, v15
	;; [unrolled: 1-line block ×4, first 2 shown]
	s_waitcnt lgkmcnt(0)
	v_perm_b32 v21, v24, v21, s16
	v_perm_b32 v20, v22, v20, s16
	v_cvt_f32_f16_e32 v14, v14
	v_cvt_f32_f16_e32 v15, v15
	;; [unrolled: 1-line block ×4, first 2 shown]
	s_nop 1
	v_mfma_f32_16x16x16_f16 v[14:17], v[20:21], v[114:115], v[14:17]
	ds_read_u16 v20, v105 offset:272
	ds_read_u16 v22, v105 offset:7712
	;; [unrolled: 1-line block ×5, first 2 shown]
	s_waitcnt lgkmcnt(2)
	v_perm_b32 v32, v24, v22, s16
	v_perm_b32 v18, v20, v48, s16
	s_waitcnt lgkmcnt(0)
	v_perm_b32 v33, v29, v27, s16
	ds_read_u16 v22, v105 offset:64
	ds_read_u16 v24, v105 offset:304
	;; [unrolled: 1-line block ×4, first 2 shown]
	v_mfma_f32_16x16x16_f16 v[18:21], v[18:19], v[116:117], v[124:127]
	s_waitcnt lgkmcnt(2)
	v_perm_b32 v22, v24, v22, s16
	s_nop 0
	v_cvt_f32_f16_e32 v126, v23
	v_cvt_f32_f16_sdwa v127, v23 dst_sel:DWORD dst_unused:UNUSED_PAD src0_sel:WORD_1
	s_nop 2
	v_cvt_f16_f32_e32 v18, v18
	v_cvt_f16_f32_e32 v19, v19
	;; [unrolled: 1-line block ×4, first 2 shown]
	s_waitcnt lgkmcnt(0)
	v_perm_b32 v23, v29, v27, s16
	v_cvt_f32_f16_e32 v124, v25
	v_cvt_f32_f16_sdwa v125, v25 dst_sel:DWORD dst_unused:UNUSED_PAD src0_sel:WORD_1
	v_cvt_f32_f16_e32 v18, v18
	v_cvt_f32_f16_e32 v19, v19
	;; [unrolled: 1-line block ×4, first 2 shown]
	v_mfma_f32_16x16x16_f16 v[22:25], v[22:23], v[116:117], v[124:127]
	s_nop 0
	v_mfma_f32_16x16x16_f16 v[18:21], v[32:33], v[114:115], v[18:21]
	ds_read_u16 v27, v105 offset:7744
	ds_read_u16 v29, v105 offset:7984
	;; [unrolled: 1-line block ×4, first 2 shown]
	s_nop 1
	v_cvt_f16_f32_e32 v22, v22
	v_cvt_f16_f32_e32 v23, v23
	;; [unrolled: 1-line block ×4, first 2 shown]
	s_waitcnt lgkmcnt(0)
	v_perm_b32 v33, v33, v32, s16
	v_perm_b32 v32, v29, v27, s16
	v_cvt_f32_f16_e32 v22, v22
	v_cvt_f32_f16_e32 v23, v23
	;; [unrolled: 1-line block ×5, first 2 shown]
	v_cvt_f32_f16_sdwa v127, v26 dst_sel:DWORD dst_unused:UNUSED_PAD src0_sel:WORD_1
	v_mfma_f32_16x16x16_f16 v[22:25], v[32:33], v[114:115], v[22:25]
	ds_read_u16 v29, v105 offset:96
	ds_read_u16 v32, v105 offset:336
	;; [unrolled: 1-line block ×4, first 2 shown]
	v_cvt_f32_f16_e32 v124, v28
	v_cvt_f32_f16_sdwa v125, v28 dst_sel:DWORD dst_unused:UNUSED_PAD src0_sel:WORD_1
	s_waitcnt lgkmcnt(2)
	v_perm_b32 v26, v32, v29, s16
	v_cvt_pk_f16_f32 v24, v24, v25
	s_waitcnt lgkmcnt(0)
	v_perm_b32 v27, v33, v27, s16
	ds_read_u16 v32, v105 offset:7776
	ds_read_u16 v36, v105 offset:8016
	;; [unrolled: 1-line block ×4, first 2 shown]
	v_mfma_f32_16x16x16_f16 v[26:29], v[26:27], v[116:117], v[124:127]
	s_waitcnt lgkmcnt(0)
	v_perm_b32 v33, v37, v33, s16
	v_perm_b32 v32, v36, v32, s16
	v_cvt_f32_f16_e32 v124, v31
	s_nop 3
	v_cvt_f16_f32_e32 v26, v26
	v_cvt_f16_f32_e32 v27, v27
	;; [unrolled: 1-line block ×4, first 2 shown]
	v_cvt_f32_f16_e32 v26, v26
	v_cvt_f32_f16_e32 v27, v27
	;; [unrolled: 1-line block ×4, first 2 shown]
	v_cvt_f32_f16_sdwa v125, v31 dst_sel:DWORD dst_unused:UNUSED_PAD src0_sel:WORD_1
	v_cvt_f32_f16_e32 v126, v30
	v_mfma_f32_16x16x16_f16 v[26:29], v[32:33], v[114:115], v[26:29]
	ds_read_u16 v32, v105 offset:128
	ds_read_u16 v33, v105 offset:368
	;; [unrolled: 1-line block ×4, first 2 shown]
	v_cvt_f32_f16_sdwa v127, v30 dst_sel:DWORD dst_unused:UNUSED_PAD src0_sel:WORD_1
	v_cvt_pk_f16_f32 v19, v18, v19
	s_waitcnt lgkmcnt(2)
	v_perm_b32 v30, v33, v32, s16
	v_cvt_pk_f16_f32 v18, v20, v21
	s_waitcnt lgkmcnt(0)
	v_perm_b32 v31, v37, v36, s16
	v_cvt_pk_f16_f32 v21, v14, v15
	v_cvt_pk_f16_f32 v20, v16, v17
	v_mfma_f32_16x16x16_f16 v[30:33], v[30:31], v[116:117], v[124:127]
	ds_read_u16 v36, v105 offset:7808
	ds_read_u16 v48, v105 offset:8048
	;; [unrolled: 1-line block ×4, first 2 shown]
	v_cvt_f32_f16_sdwa v125, v35 dst_sel:DWORD dst_unused:UNUSED_PAD src0_sel:WORD_1
	v_cvt_f32_f16_e32 v126, v34
	s_nop 1
	v_cvt_f16_f32_e32 v30, v30
	v_cvt_f16_f32_e32 v31, v31
	;; [unrolled: 1-line block ×4, first 2 shown]
	s_waitcnt lgkmcnt(0)
	v_perm_b32 v37, v124, v37, s16
	v_perm_b32 v36, v48, v36, s16
	v_cvt_f32_f16_e32 v30, v30
	v_cvt_f32_f16_e32 v31, v31
	;; [unrolled: 1-line block ×5, first 2 shown]
	v_cvt_f32_f16_sdwa v127, v34 dst_sel:DWORD dst_unused:UNUSED_PAD src0_sel:WORD_1
	v_mfma_f32_16x16x16_f16 v[30:33], v[36:37], v[114:115], v[30:33]
	ds_read_u16 v36, v105 offset:160
	ds_read_u16 v37, v105 offset:400
	;; [unrolled: 1-line block ×4, first 2 shown]
	s_waitcnt lgkmcnt(2)
	v_perm_b32 v34, v37, v36, s16
	s_nop 1
	v_cvt_pk_f16_f32 v31, v30, v31
	s_waitcnt lgkmcnt(0)
	v_perm_b32 v35, v128, v48, s16
	v_cvt_pk_f16_f32 v30, v32, v33
	v_cvt_pk_f16_f32 v32, v26, v27
	v_mfma_f32_16x16x16_f16 v[34:37], v[34:35], v[116:117], v[124:127]
	ds_read_u16 v48, v105 offset:7840
	s_nop 1
	ds_read_u16 v124, v105 offset:8080
	ds_read_u16 v125, v107 offset:7840
	;; [unrolled: 1-line block ×3, first 2 shown]
	v_cvt_f32_f16_sdwa v127, v122 dst_sel:DWORD dst_unused:UNUSED_PAD src0_sel:WORD_1
	v_cvt_pk_f16_f32 v27, v28, v29
	v_cvt_f16_f32_e32 v34, v34
	v_cvt_f16_f32_e32 v35, v35
	;; [unrolled: 1-line block ×4, first 2 shown]
	s_waitcnt lgkmcnt(0)
	v_perm_b32 v125, v126, v125, s16
	v_perm_b32 v124, v124, v48, s16
	ds_read_u16 v48, v105 offset:192
	ds_read_u16 v128, v105 offset:432
	;; [unrolled: 1-line block ×4, first 2 shown]
	v_cvt_f32_f16_e32 v34, v34
	v_cvt_f32_f16_e32 v35, v35
	;; [unrolled: 1-line block ×5, first 2 shown]
	s_waitcnt lgkmcnt(2)
	v_perm_b32 v122, v128, v48, s16
	v_mfma_f32_16x16x16_f16 v[34:37], v[124:125], v[114:115], v[34:37]
	v_cvt_f32_f16_e32 v124, v123
	v_cvt_f32_f16_sdwa v125, v123 dst_sel:DWORD dst_unused:UNUSED_PAD src0_sel:WORD_1
	s_waitcnt lgkmcnt(0)
	v_perm_b32 v123, v130, v129, s16
	v_cvt_pk_f16_f32 v28, v22, v23
	s_nop 2
	v_cvt_pk_f16_f32 v35, v34, v35
	v_mfma_f32_16x16x16_f16 v[122:125], v[122:123], v[116:117], v[124:127]
	v_cvt_pk_f16_f32 v34, v36, v37
	s_nop 6
	v_cvt_f16_f32_e32 v116, v122
	v_cvt_f16_f32_e32 v117, v123
	;; [unrolled: 1-line block ×4, first 2 shown]
	ds_read_u16 v48, v105 offset:7872
	ds_read_u16 v124, v105 offset:8112
	;; [unrolled: 1-line block ×4, first 2 shown]
	v_cvt_f32_f16_e32 v126, v116
	v_cvt_f32_f16_e32 v127, v117
	s_waitcnt lgkmcnt(2)
	v_perm_b32 v116, v124, v48, s16
	v_cvt_f32_f16_e32 v128, v122
	s_waitcnt lgkmcnt(0)
	v_perm_b32 v117, v130, v125, s16
	v_cvt_f32_f16_e32 v129, v123
	s_barrier
	s_nop 0
	v_mfma_f32_16x16x16_f16 v[114:117], v[116:117], v[114:115], v[126:129]
	s_nop 7
	v_cvt_pk_f16_f32 v17, v114, v115
	v_cvt_pk_f16_f32 v16, v116, v117
	s_cbranch_scc0 .LBB19_56
; %bb.53:                               ;   in Loop: Header=BB19_48 Depth=2
	v_mov_b32_e32 v23, v119
	v_mov_b32_e32 v25, v118
	s_ashr_i32 s15, s14, 31
	s_and_saveexec_b64 s[12:13], s[4:5]
	s_cbranch_execnz .LBB19_47
	s_branch .LBB19_48
.LBB19_54:                              ;   in Loop: Header=BB19_14 Depth=1
	s_movk_i32 s66, 0x47
	s_cbranch_execz .LBB19_13
	s_branch .LBB19_137
.LBB19_55:                              ;   in Loop: Header=BB19_14 Depth=1
	v_mov_b32_e32 v118, 0xfeffffff
	v_mov_b32_e32 v119, 0
	;; [unrolled: 1-line block ×16, first 2 shown]
.LBB19_56:                              ;   in Loop: Header=BB19_14 Depth=1
	s_lshl_b32 s14, s62, 6
	s_ashr_i32 s15, s14, 31
	s_and_saveexec_b64 s[12:13], s[4:5]
	s_cbranch_execz .LBB19_58
; %bb.57:                               ;   in Loop: Header=BB19_14 Depth=1
	v_or_b32_e32 v14, s59, v43
	v_mul_hi_u32 v15, s30, v14
	v_add_u32_e32 v15, v14, v15
	v_lshrrev_b32_e32 v15, s31, v15
	s_lshl_b64 s[18:19], s[14:15], 1
	v_mul_lo_u32 v15, v15, s20
	v_readlane_b32 s62, v204, 30
	s_add_u32 s18, s84, s18
	v_sub_u32_e32 v14, v14, v15
	v_readlane_b32 s63, v204, 31
	s_addc_u32 s19, s85, s19
	v_mad_i64_i32 v[14:15], s[62:63], v14, s62, 0
	v_lshl_add_u64 v[14:15], v[14:15], 1, s[18:19]
	v_lshlrev_b32_e32 v48, 1, v42
	v_lshl_add_u64 v[14:15], v[14:15], 0, v[48:49]
	global_load_dword v14, v[14:15], off
	s_waitcnt vmcnt(0)
	ds_write_b32 v97, v14 offset:15360
.LBB19_58:                              ;   in Loop: Header=BB19_14 Depth=1
	s_or_b64 exec, exec, s[12:13]
	s_mul_hi_i32 s13, s14, s28
	s_mul_i32 s12, s14, s28
	s_lshl_b64 s[12:13], s[12:13], 2
	s_add_u32 s12, s17, s12
	s_addc_u32 s13, s8, s13
	s_and_saveexec_b64 s[18:19], s[6:7]
	s_cbranch_execz .LBB19_60
; %bb.59:                               ;   in Loop: Header=BB19_14 Depth=1
	v_lshl_add_u64 v[14:15], v[62:63], 2, s[12:13]
	v_lshlrev_b32_e32 v48, 2, v46
	v_lshl_add_u64 v[14:15], v[14:15], 0, v[48:49]
	global_load_dwordx4 v[112:115], v[14:15], off offset:192
	s_waitcnt vmcnt(0)
	ds_write_b128 v101, v[112:115]
.LBB19_60:                              ;   in Loop: Header=BB19_14 Depth=1
	s_or_b64 exec, exec, s[18:19]
	v_lshl_add_u64 v[14:15], v[52:53], 2, s[12:13]
	v_lshlrev_b32_e32 v48, 2, v44
	v_lshl_add_u64 v[22:23], v[14:15], 0, v[48:49]
	v_lshlrev_b32_e32 v14, 2, v56
	v_mov_b32_e32 v15, v49
	v_lshl_add_u64 v[112:113], v[60:61], 2, s[12:13]
	v_lshl_add_u64 v[116:117], v[112:113], 0, v[14:15]
	global_load_dwordx4 v[112:115], v[22:23], off offset:128
	v_lshl_add_u64 v[36:37], v[58:59], 2, s[12:13]
	v_lshl_add_u64 v[36:37], v[36:37], 0, v[14:15]
	v_add_u32_e32 v25, v95, v139
	s_waitcnt vmcnt(0)
	ds_write_b128 v99, v[112:115]
	global_load_dwordx4 v[112:115], v[36:37], off
	s_waitcnt vmcnt(0)
	ds_write_b128 v138, v[112:115]
	global_load_dwordx4 v[112:115], v[116:117], off
	s_waitcnt vmcnt(0)
	ds_write_b128 v179, v[112:115]
	s_waitcnt lgkmcnt(0)
	s_barrier
	ds_read2_b64 v[112:115], v25 offset1:4
	s_waitcnt lgkmcnt(0)
	v_mfma_f32_16x16x16_f16 v[120:123], v[112:113], v[10:11], 0
	ds_read_b64 v[22:23], v25 offset:192
	v_mfma_f32_16x16x16_f16 v[112:115], v[114:115], v[12:13], v[120:123]
	s_nop 5
	ds_read2_b64 v[120:123], v25 offset0:8 offset1:12
	s_waitcnt lgkmcnt(0)
	v_mfma_f32_16x16x16_f16 v[112:115], v[120:121], v[6:7], v[112:115]
	v_mfma_f32_16x16x16_f16 v[112:115], v[122:123], v[8:9], v[112:115]
	ds_read2_b64 v[120:123], v25 offset0:16 offset1:20
	s_waitcnt lgkmcnt(0)
	v_mfma_f32_16x16x16_f16 v[112:115], v[120:121], v[2:3], v[112:115]
	v_mfma_f32_16x16x16_f16 v[112:115], v[122:123], v[4:5], v[112:115]
	;; [unrolled: 1-line block ×3, first 2 shown]
	v_add_u32_e32 v22, 0x1800, v25
	ds_read2_b64 v[120:123], v22 offset0:192 offset1:196
	s_waitcnt lgkmcnt(0)
	v_mfma_f32_16x16x16_f16 v[124:127], v[120:121], v[10:11], 0
	v_mfma_f32_16x16x16_f16 v[10:13], v[122:123], v[12:13], v[124:127]
	ds_read2_b64 v[120:123], v22 offset0:200 offset1:204
	s_waitcnt lgkmcnt(0)
	v_mfma_f32_16x16x16_f16 v[10:13], v[120:121], v[6:7], v[10:13]
	v_mfma_f32_16x16x16_f16 v[6:9], v[122:123], v[8:9], v[10:13]
	s_nop 6
	ds_read2_b64 v[10:13], v22 offset0:208 offset1:212
	s_waitcnt lgkmcnt(0)
	v_mfma_f32_16x16x16_f16 v[6:9], v[10:11], v[2:3], v[6:9]
	v_mfma_f32_16x16x16_f16 v[2:5], v[12:13], v[4:5], v[6:9]
	s_nop 6
	ds_read_b64 v[6:7], v25 offset:7872
	s_waitcnt lgkmcnt(0)
	v_mfma_f32_16x16x16_f16 v[10:13], v[6:7], v[110:111], v[2:5]
	s_nop 2
	v_add_u32_e32 v2, 0x3c00, v103
	s_barrier
	ds_read2_b32 v[2:3], v2 offset1:1
	s_waitcnt lgkmcnt(0)
	v_cvt_f32_f16_e32 v4, v2
	v_cvt_f32_f16_sdwa v2, v2 dst_sel:DWORD dst_unused:UNUSED_PAD src0_sel:WORD_1
	v_add_f32_e32 v9, v112, v4
	v_add_f32_e32 v8, v113, v2
	v_cvt_f32_f16_e32 v2, v3
	v_cvt_f32_f16_sdwa v3, v3 dst_sel:DWORD dst_unused:UNUSED_PAD src0_sel:WORD_1
	v_add_f32_e32 v7, v114, v2
	ds_read_b32 v2, v140 offset:15360
	v_add_f32_e32 v6, v115, v3
	s_waitcnt lgkmcnt(0)
	v_cvt_f32_f16_e32 v3, v2
	v_cvt_f32_f16_sdwa v2, v2 dst_sel:DWORD dst_unused:UNUSED_PAD src0_sel:WORD_1
	v_add_f32_e32 v5, v10, v3
	v_add_f32_e32 v4, v11, v2
	ds_read_b32 v2, v141 offset:15360
	v_add_f32_e32 v10, 0x40051340, v9
	v_add_f32_e32 v11, 0x40051340, v8
	v_max3_f32 v10, v118, v10, v11
	v_add_f32_e32 v11, 0x40051340, v7
	s_waitcnt lgkmcnt(0)
	v_cvt_f32_f16_e32 v3, v2
	v_cvt_f32_f16_sdwa v2, v2 dst_sel:DWORD dst_unused:UNUSED_PAD src0_sel:WORD_1
	v_add_f32_e32 v3, v12, v3
	v_add_f32_e32 v12, 0x40051340, v6
	;; [unrolled: 1-line block ×3, first 2 shown]
	v_max3_f32 v10, v10, v11, v12
	v_add_f32_e32 v11, 0x40051340, v5
	v_add_f32_e32 v12, 0x40051340, v4
	v_max3_f32 v10, v10, v11, v12
	v_add_f32_e32 v11, 0x40051340, v3
	v_add_f32_e32 v12, 0x40051340, v2
	v_max3_f32 v10, v10, v11, v12
	v_and_b32_e32 v11, 64, v190
	v_add_u32_e32 v11, 64, v11
	v_xor_b32_e32 v12, 32, v190
	v_cmp_lt_i32_e64 s[12:13], v12, v11
	s_nop 1
	v_cndmask_b32_e64 v12, v190, v12, s[12:13]
	v_lshlrev_b32_e32 v23, 2, v12
	ds_bpermute_b32 v12, v23, v10
	s_waitcnt lgkmcnt(0)
	v_max_f32_e32 v12, v12, v12
	v_max_f32_e32 v10, v10, v12
	v_xor_b32_e32 v12, 16, v190
	v_cmp_lt_i32_e64 s[12:13], v12, v11
	s_nop 1
	v_cndmask_b32_e64 v11, v190, v12, s[12:13]
	v_lshlrev_b32_e32 v26, 2, v11
	ds_bpermute_b32 v11, v26, v10
	s_mul_hi_i32 s13, s14, s22
	s_mul_i32 s12, s14, s22
	s_lshl_b64 s[12:13], s[12:13], 2
	s_add_u32 s14, s33, s12
	s_addc_u32 s15, s2, s13
	s_and_saveexec_b64 s[12:13], s[6:7]
	s_cbranch_execz .LBB19_62
; %bb.61:                               ;   in Loop: Header=BB19_14 Depth=1
	v_lshl_add_u64 v[12:13], v[64:65], 2, s[14:15]
	v_lshlrev_b32_e32 v36, 2, v46
	v_mov_b32_e32 v37, v49
	v_lshl_add_u64 v[12:13], v[12:13], 0, v[36:37]
	global_load_dwordx4 v[110:113], v[12:13], off offset:192
	s_waitcnt vmcnt(0)
	ds_write_b128 v101, v[110:113]
.LBB19_62:                              ;   in Loop: Header=BB19_14 Depth=1
	s_or_b64 exec, exec, s[12:13]
	s_waitcnt lgkmcnt(0)
	v_max_f32_e32 v11, v11, v11
	v_max_f32_e32 v10, v10, v10
	;; [unrolled: 1-line block ×3, first 2 shown]
	v_sub_f32_e32 v9, v9, v22
	v_mul_f32_e32 v10, 0x3fb8aa3b, v9
	v_fma_f32 v11, v9, s71, -v10
	v_rndne_f32_e32 v12, v10
	v_fmac_f32_e32 v11, 0x32a5705f, v9
	v_sub_f32_e32 v10, v10, v12
	v_add_f32_e32 v10, v10, v11
	v_exp_f32_e32 v10, v10
	v_cvt_i32_f32_e32 v11, v12
	v_sub_f32_e32 v8, v8, v22
	v_cmp_ngt_f32_e64 s[12:13], s70, v9
	v_sub_f32_e32 v7, v7, v22
	v_ldexp_f32 v10, v10, v11
	v_mul_f32_e32 v11, 0x3fb8aa3b, v8
	v_fma_f32 v12, v8, s71, -v11
	v_rndne_f32_e32 v13, v11
	v_fmac_f32_e32 v12, 0x32a5705f, v8
	v_sub_f32_e32 v11, v11, v13
	v_add_f32_e32 v11, v11, v12
	v_exp_f32_e32 v11, v11
	v_cvt_i32_f32_e32 v12, v13
	v_cndmask_b32_e64 v10, 0, v10, s[12:13]
	v_cmp_nlt_f32_e64 s[12:13], s26, v9
	v_sub_f32_e32 v6, v6, v22
	v_ldexp_f32 v9, v11, v12
	v_cndmask_b32_e64 v33, v191, v10, s[12:13]
	v_mul_f32_e32 v10, 0x3fb8aa3b, v7
	v_fma_f32 v11, v7, s71, -v10
	v_rndne_f32_e32 v12, v10
	v_fmac_f32_e32 v11, 0x32a5705f, v7
	v_sub_f32_e32 v10, v10, v12
	v_add_f32_e32 v10, v10, v11
	v_exp_f32_e32 v10, v10
	v_cvt_i32_f32_e32 v11, v12
	v_cmp_ngt_f32_e64 s[12:13], s70, v8
	v_sub_f32_e32 v5, v5, v22
	v_lshl_add_u64 v[36:37], v[66:67], 2, s[14:15]
	v_cndmask_b32_e64 v9, 0, v9, s[12:13]
	v_cmp_nlt_f32_e64 s[12:13], s26, v8
	v_sub_f32_e32 v4, v4, v22
	v_sub_f32_e32 v3, v3, v22
	v_cndmask_b32_e64 v114, v191, v9, s[12:13]
	v_ldexp_f32 v9, v10, v11
	v_mul_f32_e32 v10, 0x3fb8aa3b, v6
	v_fma_f32 v11, v6, s71, -v10
	v_rndne_f32_e32 v12, v10
	v_fmac_f32_e32 v11, 0x32a5705f, v6
	v_sub_f32_e32 v10, v10, v12
	v_add_f32_e32 v10, v10, v11
	v_exp_f32_e32 v10, v10
	v_cvt_i32_f32_e32 v11, v12
	v_cmp_ngt_f32_e64 s[12:13], s70, v7
	v_add_f32_e32 v8, v33, v114
	v_sub_f32_e32 v2, v2, v22
	v_cndmask_b32_e64 v9, 0, v9, s[12:13]
	v_cmp_nlt_f32_e64 s[12:13], s26, v7
	s_cmp_lg_u64 s[82:83], 0
	s_nop 0
	v_cndmask_b32_e64 v25, v191, v9, s[12:13]
	v_mul_f32_e32 v9, 0x3fb8aa3b, v5
	v_add_f32_e32 v7, v25, v8
	v_ldexp_f32 v8, v10, v11
	v_fma_f32 v10, v5, s71, -v9
	v_rndne_f32_e32 v11, v9
	v_fmac_f32_e32 v10, 0x32a5705f, v5
	v_sub_f32_e32 v9, v9, v11
	v_add_f32_e32 v9, v9, v10
	v_cmp_ngt_f32_e64 s[12:13], s70, v6
	v_exp_f32_e32 v9, v9
	v_cvt_i32_f32_e32 v10, v11
	v_cndmask_b32_e64 v8, 0, v8, s[12:13]
	v_cmp_nlt_f32_e64 s[12:13], s26, v6
	v_ldexp_f32 v116, v9, v10
	s_nop 0
	v_cndmask_b32_e64 v115, v191, v8, s[12:13]
	v_add_f32_e32 v29, v115, v7
	v_lshl_add_u64 v[6:7], v[70:71], 2, s[14:15]
	v_lshl_add_u64 v[6:7], v[6:7], 0, v[48:49]
	;; [unrolled: 1-line block ×3, first 2 shown]
	global_load_dwordx4 v[6:9], v[6:7], off offset:128
	v_lshl_add_u64 v[10:11], v[10:11], 0, v[14:15]
	global_load_dwordx4 v[10:13], v[10:11], off
	v_lshl_add_u64 v[14:15], v[36:37], 0, v[14:15]
	global_load_dwordx4 v[110:113], v[14:15], off
	v_mul_f32_e32 v15, 0x3fb8aa3b, v4
	v_fma_f32 v36, v4, s71, -v15
	v_rndne_f32_e32 v37, v15
	v_fmac_f32_e32 v36, 0x32a5705f, v4
	v_sub_f32_e32 v15, v15, v37
	v_add_f32_e32 v15, v15, v36
	v_exp_f32_e32 v15, v15
	v_cvt_i32_f32_e32 v36, v37
	v_cmp_ngt_f32_e64 s[12:13], s70, v5
	v_cvt_pk_f16_f32 v25, v25, v115
	s_waitcnt vmcnt(2)
	ds_write_b128 v99, v[6:9]
	s_waitcnt vmcnt(1)
	ds_write_b128 v138, v[10:13]
	;; [unrolled: 2-line block ×3, first 2 shown]
	v_cndmask_b32_e64 v14, 0, v116, s[12:13]
	v_cmp_nlt_f32_e64 s[12:13], s26, v5
	s_waitcnt lgkmcnt(0)
	s_barrier
	v_cndmask_b32_e64 v37, v191, v14, s[12:13]
	v_ldexp_f32 v14, v15, v36
	v_mul_f32_e32 v15, 0x3fb8aa3b, v3
	v_add_f32_e32 v5, v37, v29
	v_fma_f32 v29, v3, s71, -v15
	v_rndne_f32_e32 v36, v15
	v_fmac_f32_e32 v29, 0x32a5705f, v3
	v_sub_f32_e32 v15, v15, v36
	v_add_f32_e32 v15, v15, v29
	v_exp_f32_e32 v15, v15
	v_cvt_i32_f32_e32 v29, v36
	v_cmp_ngt_f32_e64 s[12:13], s70, v4
	ds_read_u16 v6, v105 offset:240
	s_nop 0
	v_cndmask_b32_e64 v14, 0, v14, s[12:13]
	v_cmp_nlt_f32_e64 s[12:13], s26, v4
	ds_read_u16 v7, v107
	ds_read_u16 v8, v134
	;; [unrolled: 1-line block ×3, first 2 shown]
	v_cndmask_b32_e64 v36, v191, v14, s[12:13]
	v_mul_f32_e32 v14, 0x3fb8aa3b, v2
	v_add_f32_e32 v4, v36, v5
	v_ldexp_f32 v5, v15, v29
	v_fma_f32 v15, v2, s71, -v14
	v_rndne_f32_e32 v29, v14
	v_fmac_f32_e32 v15, 0x32a5705f, v2
	v_sub_f32_e32 v14, v14, v29
	v_add_f32_e32 v14, v14, v15
	v_exp_f32_e32 v14, v14
	v_cvt_i32_f32_e32 v15, v29
	v_cmp_ngt_f32_e64 s[12:13], s70, v3
	s_waitcnt lgkmcnt(1)
	v_perm_b32 v7, v8, v7, s16
	s_waitcnt lgkmcnt(0)
	v_perm_b32 v6, v6, v9, s16
	v_cndmask_b32_e64 v5, 0, v5, s[12:13]
	v_cmp_nlt_f32_e64 s[12:13], s26, v3
	ds_read_u16 v9, v107 offset:32
	ds_read_u16 v10, v134 offset:32
	v_cndmask_b32_e64 v48, v191, v5, s[12:13]
	v_sub_f32_e32 v5, v118, v22
	v_add_f32_e32 v3, v48, v4
	v_ldexp_f32 v4, v14, v15
	v_mul_f32_e32 v14, 0x3fb8aa3b, v5
	v_fma_f32 v15, v5, s71, -v14
	v_rndne_f32_e32 v29, v14
	v_fmac_f32_e32 v15, 0x32a5705f, v5
	v_sub_f32_e32 v14, v14, v29
	v_add_f32_e32 v14, v14, v15
	v_exp_f32_e32 v14, v14
	v_cvt_i32_f32_e32 v15, v29
	v_cmp_ngt_f32_e64 s[12:13], s70, v2
	v_cmp_ngt_f32_e64 s[14:15], s70, v5
	s_nop 0
	v_cndmask_b32_e64 v4, 0, v4, s[12:13]
	v_cmp_nlt_f32_e64 s[12:13], s26, v2
	v_ldexp_f32 v2, v14, v15
	v_cndmask_b32_e64 v2, 0, v2, s[14:15]
	v_cmp_nlt_f32_e64 s[14:15], s26, v5
	v_cndmask_b32_e64 v116, v191, v4, s[12:13]
	v_add_f32_e32 v29, v116, v3
	v_cndmask_b32_e64 v2, v191, v2, s[14:15]
	v_cmp_le_f32_e64 s[14:15], s57, v5
	s_cselect_b64 s[12:13], -1, 0
	s_and_b64 s[12:13], s[0:1], s[12:13]
	v_cndmask_b32_e64 v2, 0, v2, s[14:15]
	v_cvt_f16_f32_e32 v5, v2
	v_fmac_f32_e32 v29, v119, v2
	ds_bpermute_b32 v23, v23, v29
	v_mul_u32_u24_e32 v117, 0x10001, v5
	v_pk_mul_f16 v3, v21, v117
	v_pk_mul_f16 v5, v20, v117
	v_cvt_f32_f16_e32 v2, v3
	v_cvt_f32_f16_sdwa v3, v3 dst_sel:DWORD dst_unused:UNUSED_PAD src0_sel:WORD_1
	v_cvt_f32_f16_e32 v4, v5
	v_cvt_f32_f16_sdwa v5, v5 dst_sel:DWORD dst_unused:UNUSED_PAD src0_sel:WORD_1
	v_pk_mul_f16 v118, v24, v117
	v_cvt_pk_f16_f32 v24, v33, v114
	v_pk_mul_f16 v19, v19, v117
	v_pk_mul_f16 v18, v18, v117
	v_mfma_f32_16x16x16_f16 v[2:5], v[6:7], v[24:25], v[2:5]
	ds_read_u16 v6, v105 offset:7680
	ds_read_u16 v7, v107 offset:7680
	;; [unrolled: 1-line block ×6, first 2 shown]
	s_nop 1
	v_cvt_f16_f32_e32 v2, v2
	v_cvt_f16_f32_e32 v3, v3
	;; [unrolled: 1-line block ×4, first 2 shown]
	s_waitcnt lgkmcnt(3)
	v_perm_b32 v7, v8, v7, s16
	s_waitcnt lgkmcnt(2)
	v_perm_b32 v6, v11, v6, s16
	v_cvt_f32_f16_e32 v2, v2
	v_cvt_f32_f16_e32 v3, v3
	;; [unrolled: 1-line block ×4, first 2 shown]
	v_cvt_pk_f16_f32 v21, v48, v116
	v_cvt_pk_f16_f32 v20, v37, v36
	v_perm_b32 v11, v10, v9, s16
	s_waitcnt lgkmcnt(0)
	v_perm_b32 v10, v13, v12, s16
	v_mfma_f32_16x16x16_f16 v[2:5], v[6:7], v[20:21], v[2:5]
	v_cvt_f32_f16_e32 v6, v19
	v_cvt_f32_f16_sdwa v7, v19 dst_sel:DWORD dst_unused:UNUSED_PAD src0_sel:WORD_1
	v_cvt_f32_f16_e32 v8, v18
	v_cvt_f32_f16_sdwa v9, v18 dst_sel:DWORD dst_unused:UNUSED_PAD src0_sel:WORD_1
	v_pk_mul_f16 v14, v27, v117
	v_pk_mul_f16 v48, v30, v117
	v_mfma_f32_16x16x16_f16 v[6:9], v[10:11], v[24:25], v[6:9]
	ds_read_u16 v10, v105 offset:7712
	ds_read_u16 v11, v107 offset:7712
	;; [unrolled: 1-line block ×4, first 2 shown]
	v_pk_mul_f16 v110, v17, v117
	v_pk_mul_f16 v30, v16, v117
	s_nop 1
	v_cvt_f16_f32_e32 v6, v6
	v_cvt_f16_f32_e32 v7, v7
	;; [unrolled: 1-line block ×4, first 2 shown]
	s_waitcnt lgkmcnt(0)
	v_perm_b32 v10, v13, v10, s16
	ds_read_u16 v13, v105 offset:64
	ds_read_u16 v16, v107 offset:64
	;; [unrolled: 1-line block ×4, first 2 shown]
	v_perm_b32 v11, v12, v11, s16
	v_cvt_f32_f16_e32 v6, v6
	v_cvt_f32_f16_e32 v7, v7
	;; [unrolled: 1-line block ×4, first 2 shown]
	v_pk_mul_f16 v28, v28, v117
	s_waitcnt lgkmcnt(1)
	v_perm_b32 v17, v17, v16, s16
	s_waitcnt lgkmcnt(0)
	v_perm_b32 v16, v27, v13, s16
	v_mfma_f32_16x16x16_f16 v[6:9], v[10:11], v[20:21], v[6:9]
	v_cvt_f32_f16_e32 v10, v28
	v_cvt_f32_f16_sdwa v11, v28 dst_sel:DWORD dst_unused:UNUSED_PAD src0_sel:WORD_1
	v_cvt_f32_f16_e32 v12, v118
	v_cvt_f32_f16_sdwa v13, v118 dst_sel:DWORD dst_unused:UNUSED_PAD src0_sel:WORD_1
	v_pk_mul_f16 v15, v32, v117
	v_cvt_f16_f32_e32 v27, v4
	v_mfma_f32_16x16x16_f16 v[10:13], v[16:17], v[24:25], v[10:13]
	ds_read_u16 v16, v105 offset:7744
	ds_read_u16 v17, v107 offset:7744
	;; [unrolled: 1-line block ×4, first 2 shown]
	v_pk_mul_f16 v18, v35, v117
	v_pk_mul_f16 v19, v34, v117
	s_nop 1
	v_cvt_f16_f32_e32 v4, v10
	v_cvt_f16_f32_e32 v11, v11
	;; [unrolled: 1-line block ×4, first 2 shown]
	s_waitcnt lgkmcnt(1)
	v_perm_b32 v17, v28, v17, s16
	s_waitcnt lgkmcnt(0)
	v_perm_b32 v16, v32, v16, s16
	v_cvt_f32_f16_e32 v10, v4
	v_cvt_f32_f16_e32 v11, v11
	;; [unrolled: 1-line block ×5, first 2 shown]
	v_cvt_f32_f16_sdwa v35, v15 dst_sel:DWORD dst_unused:UNUSED_PAD src0_sel:WORD_1
	v_mfma_f32_16x16x16_f16 v[10:13], v[16:17], v[20:21], v[10:13]
	ds_read_u16 v16, v105 offset:96
	ds_read_u16 v17, v107 offset:96
	;; [unrolled: 1-line block ×4, first 2 shown]
	v_cvt_f32_f16_e32 v36, v14
	v_cvt_f32_f16_sdwa v37, v14 dst_sel:DWORD dst_unused:UNUSED_PAD src0_sel:WORD_1
	v_cvt_f16_f32_e32 v8, v8
	s_waitcnt lgkmcnt(1)
	v_perm_b32 v17, v28, v17, s16
	s_waitcnt lgkmcnt(0)
	v_perm_b32 v16, v32, v16, s16
	v_cvt_f16_f32_e32 v9, v9
	v_pk_mul_f16 v33, v31, v117
	v_mfma_f32_16x16x16_f16 v[14:17], v[16:17], v[24:25], v[34:37]
	ds_read_u16 v28, v105 offset:7776
	s_nop 1
	ds_read_u16 v34, v107 offset:7776
	ds_read_u16 v35, v134 offset:7776
	ds_read_u16 v36, v105 offset:8016
	v_perm_b32 v8, v9, v8, s16
	v_cvt_f16_f32_e32 v9, v12
	v_cvt_f16_f32_e32 v14, v14
	;; [unrolled: 1-line block ×5, first 2 shown]
	s_waitcnt lgkmcnt(1)
	v_perm_b32 v35, v35, v34, s16
	s_waitcnt lgkmcnt(0)
	v_perm_b32 v34, v36, v28, s16
	v_cvt_f32_f16_e32 v14, v14
	v_cvt_f32_f16_e32 v15, v15
	;; [unrolled: 1-line block ×4, first 2 shown]
	v_cvt_f16_f32_e32 v28, v13
	v_cvt_f32_f16_e32 v112, v33
	v_mfma_f32_16x16x16_f16 v[12:15], v[34:35], v[20:21], v[14:17]
	s_nop 2
	ds_read_u16 v16, v105 offset:128
	ds_read_u16 v17, v107 offset:128
	;; [unrolled: 1-line block ×4, first 2 shown]
	v_cvt_f32_f16_sdwa v113, v33 dst_sel:DWORD dst_unused:UNUSED_PAD src0_sel:WORD_1
	v_cvt_f32_f16_e32 v114, v48
	v_cvt_f32_f16_sdwa v115, v48 dst_sel:DWORD dst_unused:UNUSED_PAD src0_sel:WORD_1
	s_waitcnt lgkmcnt(1)
	v_perm_b32 v17, v34, v17, s16
	s_waitcnt lgkmcnt(0)
	v_perm_b32 v16, v35, v16, s16
	ds_read_u16 v36, v105 offset:7808
	ds_read_u16 v37, v107 offset:7808
	;; [unrolled: 1-line block ×4, first 2 shown]
	v_mfma_f32_16x16x16_f16 v[112:115], v[16:17], v[24:25], v[112:115]
	v_perm_b32 v9, v28, v9, s16
	v_cvt_f16_f32_e32 v5, v5
	v_add_f32_e32 v23, v29, v23
	s_nop 4
	v_cvt_f16_f32_e32 v16, v112
	v_cvt_f16_f32_e32 v17, v113
	;; [unrolled: 1-line block ×4, first 2 shown]
	v_cvt_f32_f16_e32 v112, v16
	v_cvt_f32_f16_e32 v113, v17
	s_waitcnt lgkmcnt(1)
	v_perm_b32 v17, v48, v37, s16
	s_waitcnt lgkmcnt(0)
	v_perm_b32 v16, v111, v36, s16
	v_cvt_f32_f16_e32 v114, v28
	v_cvt_f32_f16_e32 v115, v35
	v_cvt_f16_f32_e32 v28, v14
	v_cvt_f16_f32_e32 v37, v15
	v_mfma_f32_16x16x16_f16 v[14:17], v[16:17], v[20:21], v[112:115]
	ds_read_u16 v36, v105 offset:160
	ds_read_u16 v48, v107 offset:160
	;; [unrolled: 1-line block ×4, first 2 shown]
	v_cvt_f32_f16_e32 v112, v18
	v_cvt_f32_f16_sdwa v113, v18 dst_sel:DWORD dst_unused:UNUSED_PAD src0_sel:WORD_1
	v_cvt_f32_f16_e32 v114, v19
	s_waitcnt lgkmcnt(1)
	v_perm_b32 v117, v111, v48, s16
	s_waitcnt lgkmcnt(0)
	v_perm_b32 v116, v115, v36, s16
	v_cvt_f32_f16_sdwa v115, v19 dst_sel:DWORD dst_unused:UNUSED_PAD src0_sel:WORD_1
	ds_bpermute_b32 v29, v26, v23
	v_cvt_f16_f32_e32 v31, v2
	v_mfma_f32_16x16x16_f16 v[112:115], v[116:117], v[24:25], v[112:115]
	v_cvt_f16_f32_e32 v4, v3
	v_perm_b32 v27, v5, v27, s16
	v_cvt_f16_f32_e32 v5, v6
	v_cvt_f16_f32_e32 v32, v7
	s_nop 3
	v_cvt_f16_f32_e32 v111, v115
	ds_read_u16 v115, v105 offset:7840
	ds_read_u16 v116, v107 offset:7840
	;; [unrolled: 1-line block ×4, first 2 shown]
	v_cvt_f16_f32_e32 v18, v112
	v_cvt_f16_f32_e32 v19, v113
	;; [unrolled: 1-line block ×4, first 2 shown]
	v_cvt_f32_f16_e32 v112, v18
	v_cvt_f32_f16_e32 v113, v19
	s_waitcnt lgkmcnt(1)
	v_perm_b32 v19, v117, v116, s16
	s_waitcnt lgkmcnt(0)
	v_perm_b32 v18, v118, v115, s16
	v_cvt_f32_f16_e32 v114, v48
	v_cvt_f32_f16_e32 v115, v111
	v_cvt_f16_f32_e32 v116, v16
	v_cvt_f16_f32_e32 v117, v17
	v_mfma_f32_16x16x16_f16 v[16:19], v[18:19], v[20:21], v[112:115]
	s_nop 2
	ds_read_u16 v115, v105 offset:192
	ds_read_u16 v111, v107 offset:192
	;; [unrolled: 1-line block ×4, first 2 shown]
	v_cvt_f32_f16_e32 v112, v110
	v_cvt_f32_f16_sdwa v113, v110 dst_sel:DWORD dst_unused:UNUSED_PAD src0_sel:WORD_1
	v_cvt_f32_f16_e32 v114, v30
	s_waitcnt lgkmcnt(1)
	v_perm_b32 v111, v118, v111, s16
	s_waitcnt lgkmcnt(0)
	v_perm_b32 v110, v119, v115, s16
	v_cvt_f32_f16_sdwa v115, v30 dst_sel:DWORD dst_unused:UNUSED_PAD src0_sel:WORD_1
	v_perm_b32 v30, v117, v116, s16
	v_cvt_f16_f32_e32 v18, v18
	v_mfma_f32_16x16x16_f16 v[110:113], v[110:111], v[24:25], v[112:115]
	v_cvt_f16_f32_e32 v19, v19
	v_cvt_f16_f32_e32 v34, v11
	;; [unrolled: 1-line block ×4, first 2 shown]
	s_nop 3
	v_cvt_f16_f32_e32 v24, v113
	ds_read_u16 v25, v105 offset:7872
	ds_read_u16 v113, v107 offset:7872
	ds_read_u16 v114, v134 offset:7872
	ds_read_u16 v115, v105 offset:8112
	v_cvt_f16_f32_e32 v110, v110
	v_cvt_f16_f32_e32 v111, v111
	;; [unrolled: 1-line block ×3, first 2 shown]
	s_waitcnt lgkmcnt(1)
	v_perm_b32 v117, v114, v113, s16
	s_waitcnt lgkmcnt(0)
	v_perm_b32 v116, v115, v25, s16
	v_cvt_f32_f16_e32 v110, v110
	v_cvt_f32_f16_e32 v111, v111
	v_cvt_f32_f16_e32 v112, v112
	v_cvt_f32_f16_e32 v113, v24
	v_perm_b32 v24, v19, v18, s16
	v_perm_b32 v28, v37, v28, s16
	v_mfma_f32_16x16x16_f16 v[18:21], v[116:117], v[20:21], v[110:113]
	v_cvt_f16_f32_e32 v37, v14
	v_cvt_f16_f32_e32 v48, v15
	;; [unrolled: 1-line block ×4, first 2 shown]
	s_nop 3
	v_cvt_f16_f32_e32 v110, v18
	v_cvt_f16_f32_e32 v20, v20
	;; [unrolled: 1-line block ×4, first 2 shown]
	v_add_f32_e32 v23, v23, v29
	v_perm_b32 v29, v36, v35, s16
	v_perm_b32 v20, v21, v20, s16
	;; [unrolled: 1-line block ×8, first 2 shown]
	s_barrier
	s_and_saveexec_b64 s[14:15], s[12:13]
	s_cbranch_execz .LBB19_64
; %bb.63:                               ;   in Loop: Header=BB19_14 Depth=1
	v_cvt_pk_f16_f32 v3, v2, v3
	v_lshlrev_b32_e32 v2, 2, v54
	v_cvt_pk_f16_f32 v4, v6, v7
	v_cvt_pk_f16_f32 v6, v12, v13
	global_load_dword v12, v2, s[82:83]
	v_max_f32_e32 v13, v22, v22
	v_cvt_pk_f16_f32 v7, v14, v15
	v_cvt_pk_f16_f32 v5, v10, v11
	v_cvt_pk_f16_f32 v10, v16, v17
	v_cvt_pk_f16_f32 v11, v18, v19
	s_waitcnt vmcnt(0)
	v_max_f32_e32 v2, v12, v12
	v_max_f32_e32 v2, v13, v2
	v_sub_f32_e32 v13, v22, v2
	v_mul_f32_e32 v14, 0x3fb8aa3b, v13
	v_fma_f32 v15, v13, s71, -v14
	v_rndne_f32_e32 v16, v14
	v_fmac_f32_e32 v15, 0x32a5705f, v13
	v_sub_f32_e32 v14, v14, v16
	v_add_f32_e32 v14, v14, v15
	v_exp_f32_e32 v14, v14
	v_cvt_i32_f32_e32 v15, v16
	v_cmp_ngt_f32_e64 s[12:13], s70, v13
	v_sub_f32_e32 v12, v12, v2
	v_ldexp_f32 v14, v14, v15
	v_cndmask_b32_e64 v14, 0, v14, s[12:13]
	v_cmp_nlt_f32_e64 s[12:13], s26, v13
	s_nop 1
	v_cndmask_b32_e64 v14, v191, v14, s[12:13]
	v_cmp_le_f32_e64 s[12:13], s57, v13
	s_nop 1
	v_cndmask_b32_e64 v13, 0, v14, s[12:13]
	v_cvt_f16_f32_e32 v14, v13
	v_cmp_ngt_f32_e64 s[12:13], s70, v12
	v_mul_u32_u24_e32 v14, 0x10001, v14
	v_pk_mul_f16 v31, v3, v14
	v_mul_f32_e32 v3, 0x3fb8aa3b, v12
	v_pk_mul_f16 v32, v4, v14
	v_pk_mul_f16 v33, v5, v14
	v_fma_f32 v4, v12, s71, -v3
	v_rndne_f32_e32 v5, v3
	v_fmac_f32_e32 v4, 0x32a5705f, v12
	v_sub_f32_e32 v3, v3, v5
	v_add_f32_e32 v3, v3, v4
	v_exp_f32_e32 v3, v3
	v_cvt_i32_f32_e32 v4, v5
	v_pk_mul_f16 v27, v27, v14
	v_pk_mul_f16 v8, v8, v14
	v_pk_mul_f16 v9, v9, v14
	v_ldexp_f32 v3, v3, v4
	v_cndmask_b32_e64 v3, 0, v3, s[12:13]
	v_cmp_nlt_f32_e64 s[12:13], s26, v12
	v_pk_mul_f16 v29, v6, v14
	v_pk_mul_f16 v28, v28, v14
	v_cndmask_b32_e64 v3, v191, v3, s[12:13]
	v_fmac_f32_e32 v3, v23, v13
	v_pk_mul_f16 v25, v7, v14
	v_pk_mul_f16 v30, v30, v14
	v_pk_mul_f16 v21, v10, v14
	v_pk_mul_f16 v24, v24, v14
	v_pk_mul_f16 v34, v11, v14
	v_pk_mul_f16 v20, v20, v14
	v_mov_b64_e32 v[22:23], v[2:3]
.LBB19_64:                              ;   in Loop: Header=BB19_14 Depth=1
	s_or_b64 exec, exec, s[14:15]
	s_mov_b64 s[12:13], exec
	v_readlane_b32 s14, v204, 19
	v_readlane_b32 s15, v204, 20
	s_and_b64 s[14:15], s[12:13], s[14:15]
	s_mov_b64 exec, s[14:15]
; %bb.65:                               ;   in Loop: Header=BB19_14 Depth=1
	v_add_u32_e32 v2, 0, v143
	ds_write2_b32 v2, v22, v23 offset0:56 offset1:57
; %bb.66:                               ;   in Loop: Header=BB19_14 Depth=1
	s_or_b64 exec, exec, s[12:13]
	s_waitcnt lgkmcnt(0)
	s_barrier
	s_mov_b64 s[12:13], exec
	v_readlane_b32 s14, v204, 10
	v_readlane_b32 s15, v204, 11
	s_and_b64 s[14:15], s[12:13], s[14:15]
	s_xor_b64 s[12:13], s[14:15], s[12:13]
	s_mov_b64 exec, s[14:15]
	s_cbranch_execz .LBB19_68
; %bb.67:                               ;   in Loop: Header=BB19_14 Depth=1
	s_barrier
                                        ; implicit-def: $vgpr26
.LBB19_68:                              ;   in Loop: Header=BB19_14 Depth=1
	s_andn2_saveexec_b64 s[14:15], s[12:13]
	s_cbranch_execz .LBB19_74
; %bb.69:                               ;   in Loop: Header=BB19_14 Depth=1
	v_add_u32_e32 v3, 0, v144
	ds_read_b64 v[6:7], v3 offset:224
	s_waitcnt lgkmcnt(0)
	s_barrier
	ds_bpermute_b32 v2, v26, v6
	v_max_f32_e32 v4, v6, v6
	s_waitcnt lgkmcnt(0)
	v_max_f32_e32 v2, v2, v2
	v_max_f32_e32 v2, v4, v2
	v_sub_f32_e32 v4, v6, v2
	v_mul_f32_e32 v5, 0x3fb8aa3b, v4
	v_fma_f32 v6, v4, s71, -v5
	v_rndne_f32_e32 v10, v5
	v_fmac_f32_e32 v6, 0x32a5705f, v4
	v_sub_f32_e32 v5, v5, v10
	v_add_f32_e32 v5, v5, v6
	v_cvt_i32_f32_e32 v10, v10
	v_exp_f32_e32 v5, v5
	v_cmp_ngt_f32_e64 s[12:13], s70, v4
	v_ldexp_f32 v5, v5, v10
	s_nop 0
	v_cndmask_b32_e64 v5, 0, v5, s[12:13]
	v_cmp_nlt_f32_e64 s[12:13], s26, v4
	s_nop 1
	v_cndmask_b32_e64 v4, v191, v5, s[12:13]
	v_mul_f32_e32 v5, v7, v4
	ds_bpermute_b32 v5, v26, v5
	s_waitcnt lgkmcnt(0)
	v_fmac_f32_e32 v5, v7, v4
	s_mov_b64 s[12:13], exec
	v_readlane_b32 s18, v204, 21
	v_readlane_b32 s19, v204, 22
	s_and_b64 s[18:19], s[12:13], s[18:19]
	s_mov_b64 exec, s[18:19]
; %bb.70:                               ;   in Loop: Header=BB19_14 Depth=1
	ds_write_b64 v3, v[4:5] offset:224
; %bb.71:                               ;   in Loop: Header=BB19_14 Depth=1
	s_or_b64 exec, exec, s[12:13]
	s_mov_b64 s[12:13], exec
	v_readlane_b32 s18, v204, 19
	v_readlane_b32 s19, v204, 20
	s_and_b64 s[18:19], s[12:13], s[18:19]
	s_mov_b64 exec, s[18:19]
	s_cbranch_execz .LBB19_73
; %bb.72:                               ;   in Loop: Header=BB19_14 Depth=1
	v_mov_b32_e32 v3, v5
	global_store_dwordx2 v[50:51], v[2:3], off
.LBB19_73:                              ;   in Loop: Header=BB19_14 Depth=1
	s_or_b64 exec, exec, s[12:13]
.LBB19_74:                              ;   in Loop: Header=BB19_14 Depth=1
	s_or_b64 exec, exec, s[14:15]
	ds_write2_b32 v135, v31, v27 offset1:1
	ds_write2_b32 v135, v32, v8 offset0:8 offset1:9
	ds_write2_b32 v135, v33, v9 offset0:16 offset1:17
	;; [unrolled: 1-line block ×6, first 2 shown]
	s_waitcnt lgkmcnt(0)
	s_barrier
	s_and_saveexec_b64 s[98:99], s[0:1]
	s_cbranch_execz .LBB19_136
; %bb.75:                               ;   in Loop: Header=BB19_14 Depth=1
	v_add_u32_e32 v3, s59, v184
	v_or_b32_e32 v2, s10, v96
	v_cmp_gt_i32_e64 s[14:15], s20, v3
	v_cmp_gt_i32_e64 s[12:13], s3, v2
	s_and_b64 s[18:19], s[14:15], s[12:13]
	v_mov_b32_e32 v2, 0x47
	s_and_saveexec_b64 s[14:15], s[18:19]
	s_cbranch_execz .LBB19_77
; %bb.76:                               ;   in Loop: Header=BB19_14 Depth=1
	v_mad_u64_u32 v[2:3], s[18:19], v3, s21, v[96:97]
	v_add_u32_e32 v3, 0, v155
	v_add_u32_e32 v3, 0xe0, v3
	ds_read2st64_b32 v[4:5], v3 offset1:15
	v_add_u32_e32 v3, v177, v155
	ds_read2st64_b32 v[6:7], v3 offset1:15
	v_mad_u64_u32 v[2:3], s[18:19], v2, 56, v[38:39]
	v_ashrrev_i32_e32 v3, 31, v2
	v_lshl_add_u64 v[2:3], v[2:3], 3, s[80:81]
	s_waitcnt lgkmcnt(0)
	v_cvt_f32_f16_e32 v8, v6
	v_cvt_f32_f16_sdwa v9, v6 dst_sel:DWORD dst_unused:UNUSED_PAD src0_sel:WORD_1
	v_cvt_f32_f16_e32 v6, v7
	v_cvt_f32_f16_sdwa v7, v7 dst_sel:DWORD dst_unused:UNUSED_PAD src0_sel:WORD_1
	v_pk_fma_f32 v[8:9], v[4:5], v[8:9], 0 op_sel_hi:[0,1,0]
	v_mov_b32_e32 v4, v5
	v_pk_fma_f32 v[4:5], v[4:5], v[6:7], v[8:9] op_sel_hi:[0,1,1]
	global_store_dwordx2 v[2:3], v[4:5], off
	v_mov_b32_e32 v2, 0
.LBB19_77:                              ;   in Loop: Header=BB19_14 Depth=1
	s_or_b64 exec, exec, s[14:15]
	v_cmp_gt_i32_e64 s[14:15], s66, v2
	s_mov_b64 s[18:19], -1
	s_and_saveexec_b64 s[62:63], s[14:15]
; %bb.78:                               ;   in Loop: Header=BB19_14 Depth=1
	v_cmp_eq_u32_e64 s[14:15], 0, v2
	s_orn2_b64 s[18:19], s[14:15], exec
; %bb.79:                               ;   in Loop: Header=BB19_14 Depth=1
	s_or_b64 exec, exec, s[62:63]
	s_and_saveexec_b64 s[62:63], s[18:19]
	s_cbranch_execz .LBB19_112
; %bb.80:                               ;   in Loop: Header=BB19_14 Depth=1
	v_add_u32_e32 v3, s59, v185
	v_or_b32_e32 v2, s10, v98
	v_cmp_gt_i32_e64 s[14:15], s20, v3
	v_cmp_gt_i32_e64 s[18:19], s3, v2
	s_and_b64 s[18:19], s[14:15], s[18:19]
	v_mov_b32_e32 v2, 0x47
	s_and_saveexec_b64 s[14:15], s[18:19]
	s_cbranch_execz .LBB19_82
; %bb.81:                               ;   in Loop: Header=BB19_14 Depth=1
	v_mad_u64_u32 v[2:3], s[18:19], v3, s21, v[98:99]
	v_add_u32_e32 v3, 0, v156
	v_add_u32_e32 v3, 0xe0, v3
	ds_read2st64_b32 v[4:5], v3 offset1:15
	v_add_u32_e32 v3, v177, v156
	ds_read2st64_b32 v[6:7], v3 offset1:15
	v_mad_u64_u32 v[2:3], s[18:19], v2, 56, v[38:39]
	v_ashrrev_i32_e32 v3, 31, v2
	v_lshl_add_u64 v[2:3], v[2:3], 3, s[80:81]
	s_waitcnt lgkmcnt(0)
	v_cvt_f32_f16_e32 v8, v6
	v_cvt_f32_f16_sdwa v9, v6 dst_sel:DWORD dst_unused:UNUSED_PAD src0_sel:WORD_1
	v_cvt_f32_f16_e32 v6, v7
	v_cvt_f32_f16_sdwa v7, v7 dst_sel:DWORD dst_unused:UNUSED_PAD src0_sel:WORD_1
	v_pk_fma_f32 v[8:9], v[4:5], v[8:9], 0 op_sel_hi:[0,1,0]
	v_mov_b32_e32 v4, v5
	v_pk_fma_f32 v[4:5], v[4:5], v[6:7], v[8:9] op_sel_hi:[0,1,1]
	global_store_dwordx2 v[2:3], v[4:5], off
	v_mov_b32_e32 v2, 0
.LBB19_82:                              ;   in Loop: Header=BB19_14 Depth=1
	s_or_b64 exec, exec, s[14:15]
	v_cmp_gt_i32_e64 s[14:15], s66, v2
	s_mov_b64 s[18:19], -1
	s_and_saveexec_b64 s[72:73], s[14:15]
; %bb.83:                               ;   in Loop: Header=BB19_14 Depth=1
	v_cmp_eq_u32_e64 s[14:15], 0, v2
	s_orn2_b64 s[18:19], s[14:15], exec
; %bb.84:                               ;   in Loop: Header=BB19_14 Depth=1
	s_or_b64 exec, exec, s[72:73]
	s_and_b64 exec, exec, s[18:19]
	s_cbranch_execz .LBB19_112
; %bb.85:                               ;   in Loop: Header=BB19_14 Depth=1
	v_add_u32_e32 v3, s59, v157
	v_cmp_gt_i32_e64 s[14:15], s20, v3
	s_and_b64 s[18:19], s[14:15], s[12:13]
	v_mov_b32_e32 v2, 0x47
	s_and_saveexec_b64 s[14:15], s[18:19]
	s_cbranch_execz .LBB19_87
; %bb.86:                               ;   in Loop: Header=BB19_14 Depth=1
	v_mad_u64_u32 v[2:3], s[18:19], v3, s21, v[96:97]
	v_add_u32_e32 v3, 0, v158
	v_add_u32_e32 v3, 0xe0, v3
	ds_read2st64_b32 v[4:5], v3 offset1:15
	v_add_u32_e32 v3, v177, v158
	ds_read2st64_b32 v[6:7], v3 offset1:15
	v_mad_u64_u32 v[2:3], s[18:19], v2, 56, v[38:39]
	v_ashrrev_i32_e32 v3, 31, v2
	v_lshl_add_u64 v[2:3], v[2:3], 3, s[80:81]
	s_waitcnt lgkmcnt(0)
	v_cvt_f32_f16_e32 v8, v6
	v_cvt_f32_f16_sdwa v9, v6 dst_sel:DWORD dst_unused:UNUSED_PAD src0_sel:WORD_1
	v_cvt_f32_f16_e32 v6, v7
	v_cvt_f32_f16_sdwa v7, v7 dst_sel:DWORD dst_unused:UNUSED_PAD src0_sel:WORD_1
	v_pk_fma_f32 v[8:9], v[4:5], v[8:9], 0 op_sel_hi:[0,1,0]
	v_mov_b32_e32 v4, v5
	v_pk_fma_f32 v[4:5], v[4:5], v[6:7], v[8:9] op_sel_hi:[0,1,1]
	global_store_dwordx2 v[2:3], v[4:5], off
	v_mov_b32_e32 v2, 0
.LBB19_87:                              ;   in Loop: Header=BB19_14 Depth=1
	s_or_b64 exec, exec, s[14:15]
	v_cmp_gt_i32_e64 s[14:15], s66, v2
	s_mov_b64 s[18:19], -1
	s_and_saveexec_b64 s[72:73], s[14:15]
; %bb.88:                               ;   in Loop: Header=BB19_14 Depth=1
	v_cmp_eq_u32_e64 s[14:15], 0, v2
	s_orn2_b64 s[18:19], s[14:15], exec
; %bb.89:                               ;   in Loop: Header=BB19_14 Depth=1
	s_or_b64 exec, exec, s[72:73]
	s_and_b64 exec, exec, s[18:19]
	s_cbranch_execz .LBB19_112
; %bb.90:                               ;   in Loop: Header=BB19_14 Depth=1
	v_add_u32_e32 v3, s59, v186
	v_or_b32_e32 v2, s10, v100
	v_cmp_gt_i32_e64 s[14:15], s20, v3
	v_cmp_gt_i32_e64 s[18:19], s3, v2
	s_and_b64 s[18:19], s[14:15], s[18:19]
	v_mov_b32_e32 v2, 0x47
	s_and_saveexec_b64 s[14:15], s[18:19]
	s_cbranch_execz .LBB19_92
; %bb.91:                               ;   in Loop: Header=BB19_14 Depth=1
	v_mad_u64_u32 v[2:3], s[18:19], v3, s21, v[100:101]
	v_add_u32_e32 v3, 0, v159
	v_add_u32_e32 v3, 0xe0, v3
	ds_read2st64_b32 v[4:5], v3 offset1:15
	v_add_u32_e32 v3, v177, v159
	ds_read2st64_b32 v[6:7], v3 offset1:15
	v_mad_u64_u32 v[2:3], s[18:19], v2, 56, v[38:39]
	v_ashrrev_i32_e32 v3, 31, v2
	v_lshl_add_u64 v[2:3], v[2:3], 3, s[80:81]
	s_waitcnt lgkmcnt(0)
	v_cvt_f32_f16_e32 v8, v6
	v_cvt_f32_f16_sdwa v9, v6 dst_sel:DWORD dst_unused:UNUSED_PAD src0_sel:WORD_1
	v_cvt_f32_f16_e32 v6, v7
	v_cvt_f32_f16_sdwa v7, v7 dst_sel:DWORD dst_unused:UNUSED_PAD src0_sel:WORD_1
	v_pk_fma_f32 v[8:9], v[4:5], v[8:9], 0 op_sel_hi:[0,1,0]
	v_mov_b32_e32 v4, v5
	v_pk_fma_f32 v[4:5], v[4:5], v[6:7], v[8:9] op_sel_hi:[0,1,1]
	global_store_dwordx2 v[2:3], v[4:5], off
	v_mov_b32_e32 v2, 0
.LBB19_92:                              ;   in Loop: Header=BB19_14 Depth=1
	s_or_b64 exec, exec, s[14:15]
	v_cmp_gt_i32_e64 s[14:15], s66, v2
	s_mov_b64 s[18:19], -1
	s_and_saveexec_b64 s[72:73], s[14:15]
; %bb.93:                               ;   in Loop: Header=BB19_14 Depth=1
	v_cmp_eq_u32_e64 s[14:15], 0, v2
	s_orn2_b64 s[18:19], s[14:15], exec
; %bb.94:                               ;   in Loop: Header=BB19_14 Depth=1
	s_or_b64 exec, exec, s[72:73]
	s_and_b64 exec, exec, s[18:19]
	s_cbranch_execz .LBB19_112
; %bb.95:                               ;   in Loop: Header=BB19_14 Depth=1
	v_add_u32_e32 v3, s59, v160
	v_cmp_gt_i32_e64 s[14:15], s20, v3
	s_and_b64 s[18:19], s[14:15], s[12:13]
	v_mov_b32_e32 v2, 0x47
	s_and_saveexec_b64 s[14:15], s[18:19]
	s_cbranch_execz .LBB19_97
; %bb.96:                               ;   in Loop: Header=BB19_14 Depth=1
	v_mad_u64_u32 v[2:3], s[18:19], v3, s21, v[96:97]
	v_add_u32_e32 v3, 0, v161
	v_add_u32_e32 v3, 0xe0, v3
	ds_read2st64_b32 v[4:5], v3 offset1:15
	v_add_u32_e32 v3, v177, v161
	ds_read2st64_b32 v[6:7], v3 offset1:15
	v_mad_u64_u32 v[2:3], s[18:19], v2, 56, v[38:39]
	v_ashrrev_i32_e32 v3, 31, v2
	v_lshl_add_u64 v[2:3], v[2:3], 3, s[80:81]
	s_waitcnt lgkmcnt(0)
	v_cvt_f32_f16_e32 v8, v6
	v_cvt_f32_f16_sdwa v9, v6 dst_sel:DWORD dst_unused:UNUSED_PAD src0_sel:WORD_1
	v_cvt_f32_f16_e32 v6, v7
	v_cvt_f32_f16_sdwa v7, v7 dst_sel:DWORD dst_unused:UNUSED_PAD src0_sel:WORD_1
	v_pk_fma_f32 v[8:9], v[4:5], v[8:9], 0 op_sel_hi:[0,1,0]
	v_mov_b32_e32 v4, v5
	v_pk_fma_f32 v[4:5], v[4:5], v[6:7], v[8:9] op_sel_hi:[0,1,1]
	global_store_dwordx2 v[2:3], v[4:5], off
	v_mov_b32_e32 v2, 0
.LBB19_97:                              ;   in Loop: Header=BB19_14 Depth=1
	s_or_b64 exec, exec, s[14:15]
	v_cmp_gt_i32_e64 s[14:15], s66, v2
	s_mov_b64 s[18:19], -1
	s_and_saveexec_b64 s[72:73], s[14:15]
; %bb.98:                               ;   in Loop: Header=BB19_14 Depth=1
	v_cmp_eq_u32_e64 s[14:15], 0, v2
	s_orn2_b64 s[18:19], s[14:15], exec
; %bb.99:                               ;   in Loop: Header=BB19_14 Depth=1
	s_or_b64 exec, exec, s[72:73]
	s_and_b64 exec, exec, s[18:19]
	s_cbranch_execz .LBB19_112
; %bb.100:                              ;   in Loop: Header=BB19_14 Depth=1
	v_add_u32_e32 v3, s59, v187
	v_or_b32_e32 v2, s10, v102
	v_cmp_gt_i32_e64 s[14:15], s20, v3
	v_cmp_gt_i32_e64 s[18:19], s3, v2
	s_and_b64 s[18:19], s[14:15], s[18:19]
	v_mov_b32_e32 v2, 0x47
	s_and_saveexec_b64 s[14:15], s[18:19]
	s_cbranch_execz .LBB19_102
; %bb.101:                              ;   in Loop: Header=BB19_14 Depth=1
	v_mad_u64_u32 v[2:3], s[18:19], v3, s21, v[102:103]
	v_add_u32_e32 v3, 0, v162
	v_add_u32_e32 v3, 0xe0, v3
	ds_read2st64_b32 v[4:5], v3 offset1:15
	v_add_u32_e32 v3, v177, v162
	ds_read2st64_b32 v[6:7], v3 offset1:15
	v_mad_u64_u32 v[2:3], s[18:19], v2, 56, v[38:39]
	v_ashrrev_i32_e32 v3, 31, v2
	v_lshl_add_u64 v[2:3], v[2:3], 3, s[80:81]
	s_waitcnt lgkmcnt(0)
	v_cvt_f32_f16_e32 v8, v6
	v_cvt_f32_f16_sdwa v9, v6 dst_sel:DWORD dst_unused:UNUSED_PAD src0_sel:WORD_1
	v_cvt_f32_f16_e32 v6, v7
	v_cvt_f32_f16_sdwa v7, v7 dst_sel:DWORD dst_unused:UNUSED_PAD src0_sel:WORD_1
	v_pk_fma_f32 v[8:9], v[4:5], v[8:9], 0 op_sel_hi:[0,1,0]
	v_mov_b32_e32 v4, v5
	v_pk_fma_f32 v[4:5], v[4:5], v[6:7], v[8:9] op_sel_hi:[0,1,1]
	global_store_dwordx2 v[2:3], v[4:5], off
	v_mov_b32_e32 v2, 0
.LBB19_102:                             ;   in Loop: Header=BB19_14 Depth=1
	s_or_b64 exec, exec, s[14:15]
	v_cmp_gt_i32_e64 s[14:15], s66, v2
	s_mov_b64 s[18:19], -1
	s_and_saveexec_b64 s[72:73], s[14:15]
; %bb.103:                              ;   in Loop: Header=BB19_14 Depth=1
	v_cmp_eq_u32_e64 s[14:15], 0, v2
	s_orn2_b64 s[18:19], s[14:15], exec
; %bb.104:                              ;   in Loop: Header=BB19_14 Depth=1
	s_or_b64 exec, exec, s[72:73]
	s_and_b64 exec, exec, s[18:19]
	s_cbranch_execz .LBB19_112
; %bb.105:                              ;   in Loop: Header=BB19_14 Depth=1
	v_add_u32_e32 v3, s59, v163
	v_cmp_gt_i32_e64 s[14:15], s20, v3
	s_and_b64 s[14:15], s[14:15], s[12:13]
	v_mov_b32_e32 v2, 0x47
	s_and_saveexec_b64 s[12:13], s[14:15]
	s_cbranch_execz .LBB19_107
; %bb.106:                              ;   in Loop: Header=BB19_14 Depth=1
	v_mad_u64_u32 v[2:3], s[14:15], v3, s21, v[96:97]
	v_add_u32_e32 v3, 0, v164
	v_add_u32_e32 v3, 0xe0, v3
	ds_read2st64_b32 v[4:5], v3 offset1:15
	v_add_u32_e32 v3, v177, v164
	ds_read2st64_b32 v[6:7], v3 offset1:15
	v_mad_u64_u32 v[2:3], s[14:15], v2, 56, v[38:39]
	v_ashrrev_i32_e32 v3, 31, v2
	v_lshl_add_u64 v[2:3], v[2:3], 3, s[80:81]
	s_waitcnt lgkmcnt(0)
	v_cvt_f32_f16_e32 v8, v6
	v_cvt_f32_f16_sdwa v9, v6 dst_sel:DWORD dst_unused:UNUSED_PAD src0_sel:WORD_1
	v_cvt_f32_f16_e32 v6, v7
	v_cvt_f32_f16_sdwa v7, v7 dst_sel:DWORD dst_unused:UNUSED_PAD src0_sel:WORD_1
	v_pk_fma_f32 v[8:9], v[4:5], v[8:9], 0 op_sel_hi:[0,1,0]
	v_mov_b32_e32 v4, v5
	v_pk_fma_f32 v[4:5], v[4:5], v[6:7], v[8:9] op_sel_hi:[0,1,1]
	global_store_dwordx2 v[2:3], v[4:5], off
	v_mov_b32_e32 v2, 0
.LBB19_107:                             ;   in Loop: Header=BB19_14 Depth=1
	s_or_b64 exec, exec, s[12:13]
	v_cmp_gt_i32_e64 s[12:13], s66, v2
	s_mov_b64 s[14:15], -1
	s_and_saveexec_b64 s[18:19], s[12:13]
; %bb.108:                              ;   in Loop: Header=BB19_14 Depth=1
	v_cmp_eq_u32_e64 s[12:13], 0, v2
	s_orn2_b64 s[14:15], s[12:13], exec
; %bb.109:                              ;   in Loop: Header=BB19_14 Depth=1
	s_or_b64 exec, exec, s[18:19]
	s_and_b64 exec, exec, s[14:15]
	s_cbranch_execz .LBB19_112
; %bb.110:                              ;   in Loop: Header=BB19_14 Depth=1
	v_add_u32_e32 v2, s59, v188
	v_or_b32_e32 v3, s10, v104
	v_cmp_gt_i32_e64 s[12:13], s20, v2
	v_cmp_gt_i32_e64 s[14:15], s3, v3
	s_and_b64 s[12:13], s[12:13], s[14:15]
	s_and_b64 exec, exec, s[12:13]
	s_cbranch_execz .LBB19_112
; %bb.111:                              ;   in Loop: Header=BB19_14 Depth=1
	v_mad_u64_u32 v[2:3], s[12:13], v2, s21, v[104:105]
	v_add_u32_e32 v3, 0, v165
	v_add_u32_e32 v3, 0xe0, v3
	ds_read2st64_b32 v[4:5], v3 offset1:15
	v_add_u32_e32 v3, v177, v165
	ds_read2st64_b32 v[6:7], v3 offset1:15
	v_mad_u64_u32 v[2:3], s[12:13], v2, 56, v[38:39]
	v_ashrrev_i32_e32 v3, 31, v2
	v_lshl_add_u64 v[2:3], v[2:3], 3, s[80:81]
	s_waitcnt lgkmcnt(0)
	v_cvt_f32_f16_e32 v8, v6
	v_cvt_f32_f16_sdwa v9, v6 dst_sel:DWORD dst_unused:UNUSED_PAD src0_sel:WORD_1
	v_cvt_f32_f16_e32 v6, v7
	v_cvt_f32_f16_sdwa v7, v7 dst_sel:DWORD dst_unused:UNUSED_PAD src0_sel:WORD_1
	v_pk_fma_f32 v[8:9], v[4:5], v[8:9], 0 op_sel_hi:[0,1,0]
	v_mov_b32_e32 v4, v5
	v_pk_fma_f32 v[4:5], v[4:5], v[6:7], v[8:9] op_sel_hi:[0,1,1]
	global_store_dwordx2 v[2:3], v[4:5], off
.LBB19_112:                             ;   in Loop: Header=BB19_14 Depth=1
	s_or_b64 exec, exec, s[62:63]
	v_add_u32_e32 v3, s59, v189
	v_or_b32_e32 v2, s10, v106
	v_cmp_gt_i32_e64 s[14:15], s20, v3
	v_cmp_gt_i32_e64 s[12:13], s3, v2
	s_and_b64 s[18:19], s[14:15], s[12:13]
	v_mov_b32_e32 v2, 0x47
	s_and_saveexec_b64 s[14:15], s[18:19]
	s_cbranch_execz .LBB19_114
; %bb.113:                              ;   in Loop: Header=BB19_14 Depth=1
	v_mad_u64_u32 v[2:3], s[18:19], v3, s21, v[106:107]
	v_add_u32_e32 v3, 0, v166
	v_add_u32_e32 v3, 0xe0, v3
	ds_read2st64_b32 v[4:5], v3 offset1:15
	v_add_u32_e32 v3, v149, v166
	v_add_u32_e32 v3, 0x80, v3
	ds_read2st64_b32 v[6:7], v3 offset1:15
	v_mul_lo_u32 v2, v2, 56
	v_ashrrev_i32_e32 v3, 31, v2
	v_lshl_add_u64 v[2:3], v[2:3], 0, v[40:41]
	v_lshl_add_u64 v[2:3], v[2:3], 3, s[80:81]
	s_waitcnt lgkmcnt(0)
	v_cvt_f32_f16_e32 v8, v6
	v_cvt_f32_f16_sdwa v9, v6 dst_sel:DWORD dst_unused:UNUSED_PAD src0_sel:WORD_1
	v_cvt_f32_f16_e32 v6, v7
	v_cvt_f32_f16_sdwa v7, v7 dst_sel:DWORD dst_unused:UNUSED_PAD src0_sel:WORD_1
	v_pk_fma_f32 v[8:9], v[4:5], v[8:9], 0 op_sel_hi:[0,1,0]
	v_mov_b32_e32 v4, v5
	v_pk_fma_f32 v[4:5], v[4:5], v[6:7], v[8:9] op_sel_hi:[0,1,1]
	global_store_dwordx2 v[2:3], v[4:5], off offset:256
	v_mov_b32_e32 v2, 0
.LBB19_114:                             ;   in Loop: Header=BB19_14 Depth=1
	s_or_b64 exec, exec, s[14:15]
	v_cmp_gt_i32_e64 s[14:15], s66, v2
	s_mov_b64 s[62:63], -1
	s_and_saveexec_b64 s[18:19], s[14:15]
; %bb.115:                              ;   in Loop: Header=BB19_14 Depth=1
	v_cmp_eq_u32_e64 s[14:15], 0, v2
	s_orn2_b64 s[62:63], s[14:15], exec
; %bb.116:                              ;   in Loop: Header=BB19_14 Depth=1
	s_or_b64 exec, exec, s[18:19]
	s_and_saveexec_b64 s[18:19], s[62:63]
	s_cbranch_execz .LBB19_129
; %bb.117:                              ;   in Loop: Header=BB19_14 Depth=1
	v_add_u32_e32 v3, s59, v167
	v_cmp_gt_i32_e64 s[14:15], s20, v3
	s_and_b64 s[62:63], s[14:15], s[12:13]
	v_mov_b32_e32 v2, 0x47
	s_and_saveexec_b64 s[14:15], s[62:63]
	s_cbranch_execz .LBB19_119
; %bb.118:                              ;   in Loop: Header=BB19_14 Depth=1
	v_mad_u64_u32 v[2:3], s[62:63], v3, s21, v[106:107]
	v_add_u32_e32 v3, 0, v168
	v_add_u32_e32 v3, 0xe0, v3
	ds_read2st64_b32 v[4:5], v3 offset1:15
	v_add_u32_e32 v3, v149, v168
	v_add_u32_e32 v3, 0x80, v3
	ds_read2st64_b32 v[6:7], v3 offset1:15
	v_mul_lo_u32 v2, v2, 56
	v_ashrrev_i32_e32 v3, 31, v2
	v_lshl_add_u64 v[2:3], v[2:3], 0, v[40:41]
	v_lshl_add_u64 v[2:3], v[2:3], 3, s[80:81]
	s_waitcnt lgkmcnt(0)
	v_cvt_f32_f16_e32 v8, v6
	v_cvt_f32_f16_sdwa v9, v6 dst_sel:DWORD dst_unused:UNUSED_PAD src0_sel:WORD_1
	v_cvt_f32_f16_e32 v6, v7
	v_cvt_f32_f16_sdwa v7, v7 dst_sel:DWORD dst_unused:UNUSED_PAD src0_sel:WORD_1
	v_pk_fma_f32 v[8:9], v[4:5], v[8:9], 0 op_sel_hi:[0,1,0]
	v_mov_b32_e32 v4, v5
	v_pk_fma_f32 v[4:5], v[4:5], v[6:7], v[8:9] op_sel_hi:[0,1,1]
	global_store_dwordx2 v[2:3], v[4:5], off offset:256
	v_mov_b32_e32 v2, 0
.LBB19_119:                             ;   in Loop: Header=BB19_14 Depth=1
	s_or_b64 exec, exec, s[14:15]
	v_cmp_gt_i32_e64 s[14:15], s66, v2
	s_mov_b64 s[62:63], -1
	s_and_saveexec_b64 s[72:73], s[14:15]
; %bb.120:                              ;   in Loop: Header=BB19_14 Depth=1
	v_cmp_eq_u32_e64 s[14:15], 0, v2
	s_orn2_b64 s[62:63], s[14:15], exec
; %bb.121:                              ;   in Loop: Header=BB19_14 Depth=1
	s_or_b64 exec, exec, s[72:73]
	s_and_b64 exec, exec, s[62:63]
	s_cbranch_execz .LBB19_129
; %bb.122:                              ;   in Loop: Header=BB19_14 Depth=1
	v_add_u32_e32 v3, s59, v169
	v_cmp_gt_i32_e64 s[14:15], s20, v3
	s_and_b64 s[62:63], s[14:15], s[12:13]
	v_mov_b32_e32 v2, 0x47
	s_and_saveexec_b64 s[14:15], s[62:63]
	s_cbranch_execz .LBB19_124
; %bb.123:                              ;   in Loop: Header=BB19_14 Depth=1
	v_mad_u64_u32 v[2:3], s[62:63], v3, s21, v[106:107]
	v_add_u32_e32 v3, 0, v170
	v_add_u32_e32 v3, 0xe0, v3
	ds_read2st64_b32 v[4:5], v3 offset1:15
	v_add_u32_e32 v3, v149, v170
	v_add_u32_e32 v3, 0x80, v3
	ds_read2st64_b32 v[6:7], v3 offset1:15
	v_mul_lo_u32 v2, v2, 56
	v_ashrrev_i32_e32 v3, 31, v2
	v_lshl_add_u64 v[2:3], v[2:3], 0, v[40:41]
	v_lshl_add_u64 v[2:3], v[2:3], 3, s[80:81]
	s_waitcnt lgkmcnt(0)
	v_cvt_f32_f16_e32 v8, v6
	v_cvt_f32_f16_sdwa v9, v6 dst_sel:DWORD dst_unused:UNUSED_PAD src0_sel:WORD_1
	v_cvt_f32_f16_e32 v6, v7
	v_cvt_f32_f16_sdwa v7, v7 dst_sel:DWORD dst_unused:UNUSED_PAD src0_sel:WORD_1
	v_pk_fma_f32 v[8:9], v[4:5], v[8:9], 0 op_sel_hi:[0,1,0]
	v_mov_b32_e32 v4, v5
	v_pk_fma_f32 v[4:5], v[4:5], v[6:7], v[8:9] op_sel_hi:[0,1,1]
	global_store_dwordx2 v[2:3], v[4:5], off offset:256
	v_mov_b32_e32 v2, 0
.LBB19_124:                             ;   in Loop: Header=BB19_14 Depth=1
	s_or_b64 exec, exec, s[14:15]
	v_cmp_gt_i32_e64 s[14:15], s66, v2
	s_mov_b64 s[62:63], -1
	s_and_saveexec_b64 s[72:73], s[14:15]
; %bb.125:                              ;   in Loop: Header=BB19_14 Depth=1
	v_cmp_eq_u32_e64 s[14:15], 0, v2
	s_orn2_b64 s[62:63], s[14:15], exec
; %bb.126:                              ;   in Loop: Header=BB19_14 Depth=1
	s_or_b64 exec, exec, s[72:73]
	s_and_b64 exec, exec, s[62:63]
	s_cbranch_execz .LBB19_129
; %bb.127:                              ;   in Loop: Header=BB19_14 Depth=1
	v_add_u32_e32 v2, s59, v171
	v_cmp_gt_i32_e64 s[14:15], s20, v2
	s_and_b64 s[12:13], s[14:15], s[12:13]
	s_and_b64 exec, exec, s[12:13]
	s_cbranch_execz .LBB19_129
; %bb.128:                              ;   in Loop: Header=BB19_14 Depth=1
	v_mad_u64_u32 v[2:3], s[12:13], v2, s21, v[106:107]
	v_add_u32_e32 v3, 0, v172
	v_add_u32_e32 v3, 0xe0, v3
	ds_read2st64_b32 v[4:5], v3 offset1:15
	v_add_u32_e32 v3, v149, v172
	v_add_u32_e32 v3, 0x80, v3
	ds_read2st64_b32 v[6:7], v3 offset1:15
	v_mul_lo_u32 v2, v2, 56
	v_ashrrev_i32_e32 v3, 31, v2
	v_lshl_add_u64 v[2:3], v[2:3], 0, v[40:41]
	v_lshl_add_u64 v[2:3], v[2:3], 3, s[80:81]
	s_waitcnt lgkmcnt(0)
	v_cvt_f32_f16_e32 v8, v6
	v_cvt_f32_f16_sdwa v9, v6 dst_sel:DWORD dst_unused:UNUSED_PAD src0_sel:WORD_1
	v_cvt_f32_f16_e32 v6, v7
	v_cvt_f32_f16_sdwa v7, v7 dst_sel:DWORD dst_unused:UNUSED_PAD src0_sel:WORD_1
	v_pk_fma_f32 v[8:9], v[4:5], v[8:9], 0 op_sel_hi:[0,1,0]
	v_mov_b32_e32 v4, v5
	v_pk_fma_f32 v[4:5], v[4:5], v[6:7], v[8:9] op_sel_hi:[0,1,1]
	global_store_dwordx2 v[2:3], v[4:5], off offset:256
.LBB19_129:                             ;   in Loop: Header=BB19_14 Depth=1
	s_or_b64 exec, exec, s[18:19]
	v_add_u32_e32 v3, s59, v173
	v_cmp_gt_i32_e64 s[12:13], s20, v3
	s_and_b64 s[14:15], s[12:13], vcc
	v_mov_b32_e32 v2, 0x47
	s_and_saveexec_b64 s[12:13], s[14:15]
	s_cbranch_execz .LBB19_131
; %bb.130:                              ;   in Loop: Header=BB19_14 Depth=1
	v_add_u32_e32 v4, v145, v174
	v_add_u32_e32 v4, 0xc0, v4
	ds_read2st64_b32 v[4:5], v4 offset1:15
	v_mad_u64_u32 v[2:3], s[14:15], v3, s21, v[92:93]
	v_mul_lo_u32 v6, v2, 56
	v_add_u32_e32 v2, 0, v174
	v_add_u32_e32 v2, 0xe0, v2
	ds_read2st64_b32 v[2:3], v2 offset1:15
	s_waitcnt lgkmcnt(1)
	v_cvt_f32_f16_e32 v8, v4
	v_cvt_f32_f16_sdwa v9, v4 dst_sel:DWORD dst_unused:UNUSED_PAD src0_sel:WORD_1
	v_cvt_f32_f16_e32 v4, v5
	v_cvt_f32_f16_sdwa v5, v5 dst_sel:DWORD dst_unused:UNUSED_PAD src0_sel:WORD_1
	v_ashrrev_i32_e32 v7, 31, v6
	v_or_b32_e32 v6, v6, v54
	s_waitcnt lgkmcnt(0)
	v_pk_fma_f32 v[8:9], v[2:3], v[8:9], 0 op_sel_hi:[0,1,0]
	v_mov_b32_e32 v2, v3
	v_lshl_add_u64 v[6:7], v[6:7], 3, s[80:81]
	v_pk_fma_f32 v[2:3], v[2:3], v[4:5], v[8:9] op_sel_hi:[0,1,1]
	global_store_dwordx2 v[6:7], v[2:3], off offset:384
	v_mov_b32_e32 v2, 0
.LBB19_131:                             ;   in Loop: Header=BB19_14 Depth=1
	s_or_b64 exec, exec, s[12:13]
	v_cmp_gt_i32_e64 s[12:13], s66, v2
	s_mov_b64 s[14:15], -1
	s_and_saveexec_b64 s[18:19], s[12:13]
; %bb.132:                              ;   in Loop: Header=BB19_14 Depth=1
	v_cmp_eq_u32_e64 s[12:13], 0, v2
	s_orn2_b64 s[14:15], s[12:13], exec
; %bb.133:                              ;   in Loop: Header=BB19_14 Depth=1
	s_or_b64 exec, exec, s[18:19]
	s_and_b64 exec, exec, s[14:15]
	s_cbranch_execz .LBB19_136
; %bb.134:                              ;   in Loop: Header=BB19_14 Depth=1
	v_add_u32_e32 v2, s59, v175
	v_cmp_gt_i32_e64 s[12:13], s20, v2
	s_and_b64 s[12:13], s[12:13], vcc
	s_and_b64 exec, exec, s[12:13]
	s_cbranch_execz .LBB19_136
; %bb.135:                              ;   in Loop: Header=BB19_14 Depth=1
	v_add_u32_e32 v4, v145, v176
	v_add_u32_e32 v4, 0xc0, v4
	ds_read2st64_b32 v[4:5], v4 offset1:15
	v_mad_u64_u32 v[2:3], s[12:13], v2, s21, v[92:93]
	v_mul_lo_u32 v6, v2, 56
	v_add_u32_e32 v2, 0, v176
	v_add_u32_e32 v2, 0xe0, v2
	ds_read2st64_b32 v[2:3], v2 offset1:15
	s_waitcnt lgkmcnt(1)
	v_cvt_f32_f16_e32 v8, v4
	v_cvt_f32_f16_sdwa v9, v4 dst_sel:DWORD dst_unused:UNUSED_PAD src0_sel:WORD_1
	v_cvt_f32_f16_e32 v4, v5
	v_cvt_f32_f16_sdwa v5, v5 dst_sel:DWORD dst_unused:UNUSED_PAD src0_sel:WORD_1
	v_ashrrev_i32_e32 v7, 31, v6
	v_or_b32_e32 v6, v6, v54
	s_waitcnt lgkmcnt(0)
	v_pk_fma_f32 v[8:9], v[2:3], v[8:9], 0 op_sel_hi:[0,1,0]
	v_mov_b32_e32 v2, v3
	v_lshl_add_u64 v[6:7], v[6:7], 3, s[80:81]
	v_pk_fma_f32 v[2:3], v[2:3], v[4:5], v[8:9] op_sel_hi:[0,1,1]
	global_store_dwordx2 v[6:7], v[2:3], off offset:384
.LBB19_136:                             ;   in Loop: Header=BB19_14 Depth=1
	s_or_b64 exec, exec, s[98:99]
	s_barrier
	s_branch .LBB19_13
.LBB19_137:                             ;   in Loop: Header=BB19_14 Depth=1
	s_lshl_b32 s72, s58, 2
	v_add_u32_e32 v2, s72, v180
	v_cmp_le_i32_e64 s[12:13], s20, v2
	v_cmp_le_i32_e64 s[14:15], s3, v109
	v_cmp_gt_i32_e32 vcc, s3, v109
	s_or_b64 s[12:13], s[12:13], s[14:15]
	s_and_saveexec_b64 s[14:15], s[12:13]
	s_xor_b64 s[12:13], exec, s[14:15]
; %bb.138:                              ;   in Loop: Header=BB19_14 Depth=1
	v_add_u32_e32 v2, v177, v182
	ds_write_b32 v2, v49
                                        ; implicit-def: $vgpr2
; %bb.139:                              ;   in Loop: Header=BB19_14 Depth=1
	s_andn2_saveexec_b64 s[12:13], s[12:13]
	s_cbranch_execz .LBB19_141
; %bb.140:                              ;   in Loop: Header=BB19_14 Depth=1
	v_mad_u64_u32 v[2:3], s[14:15], v2, s11, v[108:109]
	v_ashrrev_i32_e32 v3, 31, v2
	v_lshl_add_u64 v[2:3], v[2:3], 3, s[92:93]
	global_load_dwordx2 v[2:3], v[2:3], off
	s_waitcnt vmcnt(0)
	v_cvt_pk_f16_f32 v2, v2, v3
	v_pk_mul_f16 v2, v2, v178
	v_add_u32_e32 v3, v177, v182
	ds_write_b32 v3, v2
.LBB19_141:                             ;   in Loop: Header=BB19_14 Depth=1
	s_or_b64 exec, exec, s[12:13]
	v_add_u32_e32 v2, s72, v146
	v_cmp_le_i32_e64 s[12:13], s20, v2
	s_xor_b64 s[14:15], vcc, -1
	s_or_b64 s[12:13], s[12:13], s[14:15]
	s_and_saveexec_b64 s[18:19], s[12:13]
	s_xor_b64 s[12:13], exec, s[18:19]
; %bb.142:                              ;   in Loop: Header=BB19_14 Depth=1
	v_add_u32_e32 v2, v177, v182
	ds_write_b32 v2, v49 offset:1920
                                        ; implicit-def: $vgpr2
; %bb.143:                              ;   in Loop: Header=BB19_14 Depth=1
	s_andn2_saveexec_b64 s[12:13], s[12:13]
	s_cbranch_execz .LBB19_145
; %bb.144:                              ;   in Loop: Header=BB19_14 Depth=1
	v_mad_u64_u32 v[2:3], s[18:19], v2, s11, v[108:109]
	v_ashrrev_i32_e32 v3, 31, v2
	v_lshl_add_u64 v[2:3], v[2:3], 3, s[92:93]
	global_load_dwordx2 v[2:3], v[2:3], off
	s_waitcnt vmcnt(0)
	v_cvt_pk_f16_f32 v2, v2, v3
	v_pk_mul_f16 v2, v2, v178
	v_add_u32_e32 v3, v177, v182
	ds_write_b32 v3, v2 offset:1920
.LBB19_145:                             ;   in Loop: Header=BB19_14 Depth=1
	s_or_b64 exec, exec, s[12:13]
	v_add_u32_e32 v2, s72, v147
	v_cmp_le_i32_e32 vcc, s20, v2
	s_or_b64 s[12:13], vcc, s[14:15]
	s_and_saveexec_b64 s[18:19], s[12:13]
	s_xor_b64 s[12:13], exec, s[18:19]
; %bb.146:                              ;   in Loop: Header=BB19_14 Depth=1
	v_add_u32_e32 v2, v177, v182
	ds_write_b32 v2, v49 offset:3840
                                        ; implicit-def: $vgpr2
; %bb.147:                              ;   in Loop: Header=BB19_14 Depth=1
	s_andn2_saveexec_b64 s[12:13], s[12:13]
	s_cbranch_execz .LBB19_149
; %bb.148:                              ;   in Loop: Header=BB19_14 Depth=1
	v_mad_u64_u32 v[2:3], s[18:19], v2, s11, v[108:109]
	v_ashrrev_i32_e32 v3, 31, v2
	v_lshl_add_u64 v[2:3], v[2:3], 3, s[92:93]
	global_load_dwordx2 v[2:3], v[2:3], off
	s_waitcnt vmcnt(0)
	v_cvt_pk_f16_f32 v2, v2, v3
	v_pk_mul_f16 v2, v2, v178
	v_add_u32_e32 v3, v177, v182
	ds_write_b32 v3, v2 offset:3840
.LBB19_149:                             ;   in Loop: Header=BB19_14 Depth=1
	s_or_b64 exec, exec, s[12:13]
	v_add_u32_e32 v2, s72, v148
	v_cmp_le_i32_e32 vcc, s20, v2
	s_or_b64 s[12:13], vcc, s[14:15]
	s_and_saveexec_b64 s[14:15], s[12:13]
	s_xor_b64 s[12:13], exec, s[14:15]
; %bb.150:                              ;   in Loop: Header=BB19_14 Depth=1
	v_add_u32_e32 v2, v177, v182
	ds_write_b32 v2, v49 offset:5760
                                        ; implicit-def: $vgpr2
; %bb.151:                              ;   in Loop: Header=BB19_14 Depth=1
	s_andn2_saveexec_b64 s[12:13], s[12:13]
	s_cbranch_execz .LBB19_153
; %bb.152:                              ;   in Loop: Header=BB19_14 Depth=1
	v_mad_u64_u32 v[2:3], s[14:15], v2, s11, v[108:109]
	v_ashrrev_i32_e32 v3, 31, v2
	v_lshl_add_u64 v[2:3], v[2:3], 3, s[92:93]
	global_load_dwordx2 v[2:3], v[2:3], off
	s_waitcnt vmcnt(0)
	v_cvt_pk_f16_f32 v2, v2, v3
	v_pk_mul_f16 v2, v2, v178
	v_add_u32_e32 v3, v177, v182
	ds_write_b32 v3, v2 offset:5760
.LBB19_153:                             ;   in Loop: Header=BB19_14 Depth=1
	s_or_b64 exec, exec, s[12:13]
	v_or_b32_e32 v2, s10, v150
	v_cmp_gt_i32_e32 vcc, s3, v2
	v_cmp_le_i32_e64 s[12:13], s3, v2
	v_add_u32_e32 v2, s72, v151
	v_cmp_le_i32_e64 s[14:15], s20, v2
	s_or_b64 s[12:13], s[14:15], s[12:13]
	s_and_saveexec_b64 s[14:15], s[12:13]
	s_xor_b64 s[12:13], exec, s[14:15]
; %bb.154:                              ;   in Loop: Header=BB19_14 Depth=1
	ds_write_b32 v153, v49 offset:128
                                        ; implicit-def: $vgpr2
; %bb.155:                              ;   in Loop: Header=BB19_14 Depth=1
	s_andn2_saveexec_b64 s[12:13], s[12:13]
	s_cbranch_execz .LBB19_157
; %bb.156:                              ;   in Loop: Header=BB19_14 Depth=1
	v_mad_u64_u32 v[2:3], s[14:15], v2, s11, v[90:91]
	v_ashrrev_i32_e32 v3, 31, v2
	v_lshl_add_u64 v[2:3], v[2:3], 3, s[92:93]
	global_load_dwordx2 v[2:3], v[2:3], off
	s_waitcnt vmcnt(0)
	v_cvt_pk_f16_f32 v2, v2, v3
	v_pk_mul_f16 v2, v2, v178
	v_add_u32_e32 v3, v149, v152
	ds_write_b32 v3, v2 offset:128
.LBB19_157:                             ;   in Loop: Header=BB19_14 Depth=1
	s_or_b64 exec, exec, s[12:13]
	v_add_u32_e32 v2, s72, v154
	v_cmp_le_i32_e64 s[12:13], s20, v2
	s_xor_b64 s[14:15], vcc, -1
	s_or_b64 s[12:13], s[12:13], s[14:15]
	s_and_saveexec_b64 s[14:15], s[12:13]
	s_xor_b64 s[12:13], exec, s[14:15]
; %bb.158:                              ;   in Loop: Header=BB19_14 Depth=1
	ds_write_b32 v183, v49 offset:128
                                        ; implicit-def: $vgpr2
; %bb.159:                              ;   in Loop: Header=BB19_14 Depth=1
	s_andn2_saveexec_b64 s[12:13], s[12:13]
	s_cbranch_execz .LBB19_161
; %bb.160:                              ;   in Loop: Header=BB19_14 Depth=1
	v_mad_u64_u32 v[2:3], s[14:15], v2, s11, v[90:91]
	v_ashrrev_i32_e32 v3, 31, v2
	v_lshl_add_u64 v[2:3], v[2:3], 3, s[92:93]
	global_load_dwordx2 v[2:3], v[2:3], off
	s_waitcnt vmcnt(0)
	v_cvt_pk_f16_f32 v2, v2, v3
	v_pk_mul_f16 v2, v2, v178
	v_add_u32_e32 v3, v149, v152
	ds_write_b32 v3, v2 offset:3968
.LBB19_161:                             ;   in Loop: Header=BB19_14 Depth=1
	s_or_b64 exec, exec, s[12:13]
	v_add_u32_e32 v2, s72, v142
	v_or_b32_e32 v3, s10, v92
	v_cmp_le_i32_e32 vcc, s20, v2
	v_cmp_le_i32_e64 s[14:15], s3, v3
	v_cmp_gt_i32_e64 s[12:13], s3, v3
	s_or_b64 s[14:15], vcc, s[14:15]
	s_and_saveexec_b64 s[18:19], s[14:15]
	s_xor_b64 s[14:15], exec, s[18:19]
; %bb.162:                              ;   in Loop: Header=BB19_14 Depth=1
	ds_write_b32 v137, v49 offset:192
                                        ; implicit-def: $vgpr2
; %bb.163:                              ;   in Loop: Header=BB19_14 Depth=1
	s_andn2_saveexec_b64 s[14:15], s[14:15]
	s_cbranch_execz .LBB19_165
; %bb.164:                              ;   in Loop: Header=BB19_14 Depth=1
	v_mad_u64_u32 v[2:3], s[18:19], v2, s11, v[94:95]
	v_ashrrev_i32_e32 v3, 31, v2
	v_lshl_add_u64 v[2:3], v[2:3], 3, s[92:93]
	global_load_dwordx2 v[2:3], v[2:3], off
	s_waitcnt vmcnt(0)
	v_cvt_pk_f16_f32 v2, v2, v3
	v_pk_mul_f16 v2, v2, v178
	ds_write_b32 v137, v2 offset:192
.LBB19_165:                             ;   in Loop: Header=BB19_14 Depth=1
	s_or_b64 exec, exec, s[14:15]
	s_waitcnt lgkmcnt(0)
	s_barrier
	ds_read2_b64 v[10:13], v136 offset1:4
	ds_read2_b64 v[6:9], v136 offset0:8 offset1:12
	ds_read2_b64 v[2:5], v136 offset0:16 offset1:20
	ds_read_b64 v[110:111], v136 offset:192
	s_cmp_lt_i32 s9, 2
	s_waitcnt lgkmcnt(0)
	s_barrier
	s_cbranch_scc1 .LBB19_174
; %bb.166:                              ;   in Loop: Header=BB19_14 Depth=1
	v_add_u32_e32 v14, s72, v43
	v_mul_hi_u32 v15, s30, v14
	v_add_u32_e32 v15, v14, v15
	v_lshrrev_b32_e32 v15, s31, v15
	v_mul_lo_u32 v15, v15, s20
	v_sub_u32_e32 v16, v14, v15
	v_and_b32_e32 v14, 64, v190
	v_add_u32_e32 v14, 64, v14
	v_xor_b32_e32 v15, 32, v190
	v_cmp_lt_i32_e32 vcc, v15, v14
	v_readlane_b32 s14, v204, 32
	v_readlane_b32 s15, v204, 33
	v_cndmask_b32_e32 v15, v190, v15, vcc
	v_lshlrev_b32_e32 v48, 2, v15
	v_xor_b32_e32 v15, 16, v190
	v_cmp_lt_i32_e32 vcc, v15, v14
	s_add_i32 s9, s9, -1
	v_lshl_add_u64 v[114:115], v[74:75], 0, s[96:97]
	v_cndmask_b32_e32 v14, v190, v15, vcc
	v_lshlrev_b32_e32 v193, 2, v14
	v_mov_b64_e32 v[14:15], s[94:95]
	v_mad_i64_i32 v[14:15], s[14:15], s14, v16, v[14:15]
	v_lshl_add_u64 v[112:113], v[72:73], 0, v[14:15]
	v_lshl_add_u64 v[116:117], v[76:77], 0, s[96:97]
	;; [unrolled: 1-line block ×8, first 2 shown]
	v_mov_b32_e32 v35, 0
	v_mov_b32_e32 v15, 0xfeffffff
	;; [unrolled: 1-line block ×3, first 2 shown]
	s_mov_b32 s18, s9
	v_mov_b32_e32 v34, 0
	v_mov_b32_e32 v31, 0
	;; [unrolled: 1-line block ×13, first 2 shown]
	s_and_saveexec_b64 s[14:15], s[4:5]
	s_cbranch_execz .LBB19_168
.LBB19_167:                             ;   in Loop: Header=BB19_14 Depth=1
	global_load_dword v22, v[112:113], off
	s_waitcnt vmcnt(0)
	ds_write_b32 v97, v22 offset:15360
.LBB19_168:                             ;   Parent Loop BB19_14 Depth=1
                                        ; =>  This Inner Loop Header: Depth=2
	s_or_b64 exec, exec, s[14:15]
	s_and_saveexec_b64 s[14:15], s[6:7]
	s_cbranch_execz .LBB19_170
; %bb.169:                              ;   in Loop: Header=BB19_168 Depth=2
	v_lshl_add_u64 v[22:23], v[128:129], 0, s[86:87]
	global_load_dwordx4 v[130:133], v[22:23], off
	s_waitcnt vmcnt(0)
	ds_write_b128 v101, v[130:133]
.LBB19_170:                             ;   in Loop: Header=BB19_168 Depth=2
	s_or_b64 exec, exec, s[14:15]
	v_lshl_add_u64 v[22:23], v[122:123], 0, s[86:87]
	global_load_dwordx4 v[130:133], v[22:23], off
	v_lshl_add_u64 v[36:37], v[124:125], 0, s[86:87]
	v_lshl_add_u64 v[194:195], v[126:127], 0, s[86:87]
	v_add_u32_e32 v25, v95, v139
	s_waitcnt vmcnt(0)
	ds_write_b128 v99, v[130:133]
	global_load_dwordx4 v[130:133], v[36:37], off
	s_waitcnt vmcnt(0)
	ds_write_b128 v138, v[130:133]
	global_load_dwordx4 v[130:133], v[194:195], off
	s_waitcnt vmcnt(0)
	ds_write_b128 v179, v[130:133]
	s_waitcnt lgkmcnt(0)
	s_barrier
	ds_read2_b64 v[130:133], v25 offset1:4
	ds_read_b64 v[22:23], v25 offset:192
	s_waitcnt lgkmcnt(1)
	v_mfma_f32_16x16x16_f16 v[194:197], v[130:131], v[10:11], 0
	v_mfma_f32_16x16x16_f16 v[130:133], v[132:133], v[12:13], v[194:197]
	s_nop 6
	ds_read2_b64 v[194:197], v25 offset0:8 offset1:12
	s_waitcnt lgkmcnt(0)
	v_mfma_f32_16x16x16_f16 v[130:133], v[194:195], v[6:7], v[130:133]
	v_mfma_f32_16x16x16_f16 v[130:133], v[196:197], v[8:9], v[130:133]
	ds_read2_b64 v[194:197], v25 offset0:16 offset1:20
	s_waitcnt lgkmcnt(0)
	v_mfma_f32_16x16x16_f16 v[130:133], v[194:195], v[2:3], v[130:133]
	v_mfma_f32_16x16x16_f16 v[130:133], v[196:197], v[4:5], v[130:133]
	;; [unrolled: 1-line block ×3, first 2 shown]
	v_add_u32_e32 v22, 0x1800, v25
	ds_read2_b64 v[194:197], v22 offset0:192 offset1:196
	s_waitcnt lgkmcnt(0)
	v_mfma_f32_16x16x16_f16 v[198:201], v[194:195], v[10:11], 0
	v_mfma_f32_16x16x16_f16 v[194:197], v[196:197], v[12:13], v[198:201]
	s_nop 6
	ds_read2_b64 v[198:201], v22 offset0:200 offset1:204
	s_waitcnt lgkmcnt(0)
	v_mfma_f32_16x16x16_f16 v[194:197], v[198:199], v[6:7], v[194:197]
	v_mfma_f32_16x16x16_f16 v[194:197], v[200:201], v[8:9], v[194:197]
	ds_read2_b64 v[198:201], v22 offset0:208 offset1:212
	ds_read_b64 v[22:23], v25 offset:7872
	s_waitcnt lgkmcnt(0)
	v_mfma_f32_16x16x16_f16 v[194:197], v[198:199], v[2:3], v[194:197]
	s_barrier
	ds_read_b32 v36, v141 offset:15360
	v_mfma_f32_16x16x16_f16 v[194:197], v[200:201], v[4:5], v[194:197]
	s_waitcnt lgkmcnt(0)
	v_cvt_f32_f16_e32 v37, v36
	v_mfma_f32_16x16x16_f16 v[194:197], v[22:23], v[110:111], v[194:197]
	v_add_u32_e32 v22, 0x3c00, v103
	ds_read2_b32 v[22:23], v22 offset1:1
	v_cvt_f32_f16_sdwa v36, v36 dst_sel:DWORD dst_unused:UNUSED_PAD src0_sel:WORD_1
	s_waitcnt lgkmcnt(0)
	v_cvt_f32_f16_e32 v25, v22
	v_cvt_f32_f16_sdwa v26, v22 dst_sel:DWORD dst_unused:UNUSED_PAD src0_sel:WORD_1
	v_add_f32_e32 v22, v130, v25
	v_cvt_f32_f16_e32 v25, v23
	v_cvt_f32_f16_sdwa v23, v23 dst_sel:DWORD dst_unused:UNUSED_PAD src0_sel:WORD_1
	v_add_f32_e32 v29, v131, v26
	v_add_f32_e32 v131, v196, v37
	;; [unrolled: 1-line block ×4, first 2 shown]
	ds_read_b32 v23, v140 offset:15360
	v_add_f32_e32 v132, v197, v36
	v_add_f32_e32 v36, 0x40051340, v22
	;; [unrolled: 1-line block ×3, first 2 shown]
	v_max3_f32 v36, v15, v36, v37
	s_waitcnt lgkmcnt(0)
	v_cvt_f32_f16_e32 v25, v23
	v_cvt_f32_f16_sdwa v23, v23 dst_sel:DWORD dst_unused:UNUSED_PAD src0_sel:WORD_1
	v_add_f32_e32 v37, 0x40051340, v33
	v_add_f32_e32 v109, 0x40051340, v26
	v_add_f32_e32 v25, v194, v25
	v_add_f32_e32 v23, v195, v23
	v_max3_f32 v36, v36, v37, v109
	v_add_f32_e32 v37, 0x40051340, v25
	v_add_f32_e32 v109, 0x40051340, v23
	v_max3_f32 v36, v36, v37, v109
	v_add_f32_e32 v37, 0x40051340, v131
	v_add_f32_e32 v109, 0x40051340, v132
	v_max3_f32 v36, v36, v37, v109
	ds_bpermute_b32 v37, v48, v36
	s_waitcnt lgkmcnt(0)
	v_max_f32_e32 v37, v37, v37
	v_max_f32_e32 v36, v36, v37
	ds_bpermute_b32 v37, v193, v36
	s_and_saveexec_b64 s[14:15], s[6:7]
	s_cbranch_execz .LBB19_172
; %bb.171:                              ;   in Loop: Header=BB19_168 Depth=2
	v_lshl_add_u64 v[194:195], v[114:115], 0, s[88:89]
	global_load_dwordx4 v[194:197], v[194:195], off
	s_waitcnt vmcnt(0)
	ds_write_b128 v101, v[194:197]
.LBB19_172:                             ;   in Loop: Header=BB19_168 Depth=2
	s_or_b64 exec, exec, s[14:15]
	s_waitcnt lgkmcnt(0)
	v_max_f32_e32 v37, v37, v37
	v_max_f32_e32 v36, v36, v36
	;; [unrolled: 1-line block ×3, first 2 shown]
	v_sub_f32_e32 v22, v22, v109
	v_mul_f32_e32 v36, 0x3fb8aa3b, v22
	v_fma_f32 v37, v22, s71, -v36
	v_rndne_f32_e32 v130, v36
	v_fmac_f32_e32 v37, 0x32a5705f, v22
	v_sub_f32_e32 v36, v36, v130
	v_add_f32_e32 v36, v36, v37
	v_exp_f32_e32 v36, v36
	v_cvt_i32_f32_e32 v37, v130
	v_cmp_ngt_f32_e32 vcc, s70, v22
	v_sub_f32_e32 v29, v29, v109
	v_sub_f32_e32 v33, v33, v109
	v_ldexp_f32 v36, v36, v37
	v_cndmask_b32_e32 v36, 0, v36, vcc
	v_cmp_nlt_f32_e32 vcc, s26, v22
	v_sub_f32_e32 v26, v26, v109
	v_sub_f32_e32 v25, v25, v109
	v_cndmask_b32_e32 v22, v191, v36, vcc
	v_mul_f32_e32 v36, 0x3fb8aa3b, v29
	v_fma_f32 v37, v29, s71, -v36
	v_rndne_f32_e32 v130, v36
	v_fmac_f32_e32 v37, 0x32a5705f, v29
	v_sub_f32_e32 v36, v36, v130
	v_add_f32_e32 v36, v36, v37
	v_exp_f32_e32 v36, v36
	v_cvt_i32_f32_e32 v37, v130
	v_cmp_ngt_f32_e32 vcc, s70, v29
	v_sub_f32_e32 v23, v23, v109
	v_sub_f32_e32 v15, v15, v109
	v_ldexp_f32 v36, v36, v37
	v_mul_f32_e32 v37, 0x3fb8aa3b, v33
	v_fma_f32 v130, v33, s71, -v37
	v_rndne_f32_e32 v133, v37
	v_fmac_f32_e32 v130, 0x32a5705f, v33
	v_sub_f32_e32 v37, v37, v133
	v_add_f32_e32 v37, v37, v130
	v_exp_f32_e32 v37, v37
	v_cvt_i32_f32_e32 v130, v133
	v_cndmask_b32_e32 v36, 0, v36, vcc
	v_cmp_nlt_f32_e32 vcc, s26, v29
	s_add_i32 s18, s18, -1
	v_ldexp_f32 v37, v37, v130
	v_cndmask_b32_e32 v29, v191, v36, vcc
	v_cmp_ngt_f32_e32 vcc, s70, v33
	v_add_f32_e32 v36, v22, v29
	v_lshl_add_u64 v[112:113], v[112:113], 0, s[76:77]
	v_cndmask_b32_e32 v37, 0, v37, vcc
	v_cmp_nlt_f32_e32 vcc, s26, v33
	v_lshl_add_u64 v[114:115], v[114:115], 0, s[74:75]
	v_lshl_add_u64 v[122:123], v[122:123], 0, s[78:79]
	v_cndmask_b32_e32 v33, v191, v37, vcc
	v_add_f32_e32 v37, v33, v36
	v_mul_f32_e32 v36, 0x3fb8aa3b, v26
	v_fma_f32 v130, v26, s71, -v36
	v_rndne_f32_e32 v133, v36
	v_fmac_f32_e32 v130, 0x32a5705f, v26
	v_sub_f32_e32 v36, v36, v133
	v_add_f32_e32 v36, v36, v130
	v_exp_f32_e32 v36, v36
	v_cvt_i32_f32_e32 v130, v133
	v_cmp_ngt_f32_e32 vcc, s70, v26
	v_lshl_add_u64 v[124:125], v[124:125], 0, s[78:79]
	v_lshl_add_u64 v[126:127], v[126:127], 0, s[78:79]
	v_ldexp_f32 v36, v36, v130
	v_cndmask_b32_e32 v36, 0, v36, vcc
	v_cmp_nlt_f32_e32 vcc, s26, v26
	v_lshl_add_u64 v[128:129], v[128:129], 0, s[78:79]
	s_cmp_lg_u32 s18, 0
	v_cndmask_b32_e32 v36, v191, v36, vcc
	v_add_f32_e32 v26, v36, v37
	v_mul_f32_e32 v37, 0x3fb8aa3b, v25
	v_fma_f32 v130, v25, s71, -v37
	v_rndne_f32_e32 v133, v37
	v_fmac_f32_e32 v130, 0x32a5705f, v25
	v_sub_f32_e32 v37, v37, v133
	v_add_f32_e32 v37, v37, v130
	v_exp_f32_e32 v37, v37
	v_cvt_i32_f32_e32 v130, v133
	v_cmp_ngt_f32_e32 vcc, s70, v25
	v_ldexp_f32 v37, v37, v130
	s_nop 0
	v_cndmask_b32_e32 v37, 0, v37, vcc
	v_cmp_nlt_f32_e32 vcc, s26, v25
	s_nop 1
	v_cndmask_b32_e32 v37, v191, v37, vcc
	v_add_f32_e32 v25, v37, v26
	v_mul_f32_e32 v26, 0x3fb8aa3b, v23
	v_fma_f32 v130, v23, s71, -v26
	v_rndne_f32_e32 v133, v26
	v_fmac_f32_e32 v130, 0x32a5705f, v23
	v_sub_f32_e32 v26, v26, v133
	v_add_f32_e32 v26, v26, v130
	v_exp_f32_e32 v26, v26
	v_cvt_i32_f32_e32 v130, v133
	v_cmp_ngt_f32_e32 vcc, s70, v23
	v_ldexp_f32 v26, v26, v130
	s_nop 0
	v_cndmask_b32_e32 v26, 0, v26, vcc
	v_cmp_nlt_f32_e32 vcc, s26, v23
	s_nop 1
	v_cndmask_b32_e32 v130, v191, v26, vcc
	v_add_f32_e32 v23, v130, v25
	v_sub_f32_e32 v25, v131, v109
	v_mul_f32_e32 v26, 0x3fb8aa3b, v25
	v_fma_f32 v131, v25, s71, -v26
	v_rndne_f32_e32 v133, v26
	v_fmac_f32_e32 v131, 0x32a5705f, v25
	v_sub_f32_e32 v26, v26, v133
	v_add_f32_e32 v26, v26, v131
	v_exp_f32_e32 v26, v26
	v_cvt_i32_f32_e32 v131, v133
	v_cmp_ngt_f32_e32 vcc, s70, v25
	v_cvt_pk_f16_f32 v130, v37, v130
	v_ldexp_f32 v26, v26, v131
	v_cndmask_b32_e32 v26, 0, v26, vcc
	v_cmp_nlt_f32_e32 vcc, s26, v25
	v_sub_f32_e32 v25, v132, v109
	s_nop 0
	v_cndmask_b32_e32 v131, v191, v26, vcc
	v_mul_f32_e32 v26, 0x3fb8aa3b, v25
	v_fma_f32 v132, v25, s71, -v26
	v_rndne_f32_e32 v133, v26
	v_fmac_f32_e32 v132, 0x32a5705f, v25
	v_sub_f32_e32 v26, v26, v133
	v_add_f32_e32 v26, v26, v132
	v_exp_f32_e32 v26, v26
	v_cvt_i32_f32_e32 v132, v133
	v_cmp_ngt_f32_e32 vcc, s70, v25
	v_add_f32_e32 v23, v131, v23
	v_cvt_pk_f16_f32 v133, v33, v36
	v_ldexp_f32 v26, v26, v132
	v_cndmask_b32_e32 v26, 0, v26, vcc
	v_cmp_nlt_f32_e32 vcc, s26, v25
	v_cvt_pk_f16_f32 v132, v22, v29
	s_nop 0
	v_cndmask_b32_e32 v196, v191, v26, vcc
	v_add_f32_e32 v192, v196, v23
	v_mul_f32_e32 v23, 0x3fb8aa3b, v15
	v_fma_f32 v25, v15, s71, -v23
	v_rndne_f32_e32 v26, v23
	v_fmac_f32_e32 v25, 0x32a5705f, v15
	v_sub_f32_e32 v23, v23, v26
	v_add_f32_e32 v23, v23, v25
	v_exp_f32_e32 v23, v23
	v_cvt_i32_f32_e32 v25, v26
	v_cmp_ngt_f32_e32 vcc, s70, v15
	v_cvt_pk_f16_f32 v131, v131, v196
	v_ldexp_f32 v23, v23, v25
	v_cndmask_b32_e32 v23, 0, v23, vcc
	v_cmp_nlt_f32_e32 vcc, s26, v15
	s_nop 1
	v_cndmask_b32_e32 v23, v191, v23, vcc
	v_cmp_le_f32_e32 vcc, s57, v15
	s_nop 1
	v_cndmask_b32_e32 v15, 0, v23, vcc
	v_fmac_f32_e32 v192, v14, v15
	v_cvt_f16_f32_e32 v14, v15
	v_mul_u32_u24_e32 v14, 0x10001, v14
	v_pk_mul_f16 v21, v21, v14
	v_pk_mul_f16 v20, v20, v14
	;; [unrolled: 1-line block ×14, first 2 shown]
	v_lshl_add_u64 v[14:15], v[116:117], 0, s[88:89]
	global_load_dwordx4 v[14:17], v[14:15], off
	v_cvt_f32_f16_e32 v196, v19
	v_cvt_f32_f16_sdwa v197, v19 dst_sel:DWORD dst_unused:UNUSED_PAD src0_sel:WORD_1
	v_cvt_f32_f16_e32 v198, v18
	v_cvt_f32_f16_sdwa v199, v18 dst_sel:DWORD dst_unused:UNUSED_PAD src0_sel:WORD_1
	v_lshl_add_u64 v[116:117], v[116:117], 0, s[74:75]
	s_waitcnt vmcnt(0)
	ds_write_b128 v99, v[14:17]
	v_lshl_add_u64 v[14:15], v[118:119], 0, s[88:89]
	global_load_dwordx4 v[14:17], v[14:15], off
	v_lshl_add_u64 v[118:119], v[118:119], 0, s[74:75]
	s_waitcnt vmcnt(0)
	ds_write_b128 v138, v[14:17]
	v_lshl_add_u64 v[14:15], v[120:121], 0, s[88:89]
	global_load_dwordx4 v[14:17], v[14:15], off
	v_lshl_add_u64 v[120:121], v[120:121], 0, s[74:75]
	s_waitcnt vmcnt(0)
	ds_write_b128 v179, v[14:17]
	s_waitcnt lgkmcnt(0)
	s_barrier
	ds_read_u16 v24, v105 offset:240
	v_cvt_f32_f16_e32 v14, v21
	v_cvt_f32_f16_sdwa v15, v21 dst_sel:DWORD dst_unused:UNUSED_PAD src0_sel:WORD_1
	v_cvt_f32_f16_e32 v16, v20
	v_cvt_f32_f16_sdwa v17, v20 dst_sel:DWORD dst_unused:UNUSED_PAD src0_sel:WORD_1
	ds_read_u16 v20, v107
	ds_read_u16 v27, v107 offset:32
	ds_read_u16 v21, v134
	ds_read_u16 v32, v134 offset:32
	s_waitcnt lgkmcnt(1)
	v_perm_b32 v21, v21, v20, s16
	ds_read_u16 v20, v105
	ds_read_u16 v200, v105 offset:32
	s_waitcnt lgkmcnt(2)
	v_perm_b32 v19, v32, v27, s16
	s_waitcnt lgkmcnt(1)
	v_perm_b32 v20, v24, v20, s16
	s_nop 1
	v_mfma_f32_16x16x16_f16 v[14:17], v[20:21], v[132:133], v[14:17]
	ds_read_u16 v20, v105 offset:7680
	ds_read_u16 v22, v105 offset:7920
	;; [unrolled: 1-line block ×4, first 2 shown]
	s_nop 3
	v_cvt_f16_f32_e32 v14, v14
	v_cvt_f16_f32_e32 v15, v15
	v_cvt_f16_f32_e32 v16, v16
	v_cvt_f16_f32_e32 v17, v17
	s_waitcnt lgkmcnt(0)
	v_perm_b32 v21, v24, v21, s16
	v_perm_b32 v20, v22, v20, s16
	v_cvt_f32_f16_e32 v14, v14
	v_cvt_f32_f16_e32 v15, v15
	;; [unrolled: 1-line block ×4, first 2 shown]
	s_nop 1
	v_mfma_f32_16x16x16_f16 v[14:17], v[20:21], v[130:131], v[14:17]
	ds_read_u16 v20, v105 offset:272
	ds_read_u16 v22, v105 offset:7712
	;; [unrolled: 1-line block ×5, first 2 shown]
	s_waitcnt lgkmcnt(2)
	v_perm_b32 v32, v24, v22, s16
	v_perm_b32 v18, v20, v200, s16
	s_waitcnt lgkmcnt(0)
	v_perm_b32 v33, v29, v27, s16
	ds_read_u16 v22, v105 offset:64
	ds_read_u16 v24, v105 offset:304
	;; [unrolled: 1-line block ×4, first 2 shown]
	v_mfma_f32_16x16x16_f16 v[18:21], v[18:19], v[132:133], v[196:199]
	s_waitcnt lgkmcnt(2)
	v_perm_b32 v22, v24, v22, s16
	s_nop 0
	v_cvt_f32_f16_e32 v198, v23
	v_cvt_f32_f16_sdwa v199, v23 dst_sel:DWORD dst_unused:UNUSED_PAD src0_sel:WORD_1
	s_nop 2
	v_cvt_f16_f32_e32 v18, v18
	v_cvt_f16_f32_e32 v19, v19
	;; [unrolled: 1-line block ×4, first 2 shown]
	s_waitcnt lgkmcnt(0)
	v_perm_b32 v23, v29, v27, s16
	v_cvt_f32_f16_e32 v196, v25
	v_cvt_f32_f16_sdwa v197, v25 dst_sel:DWORD dst_unused:UNUSED_PAD src0_sel:WORD_1
	v_cvt_f32_f16_e32 v18, v18
	v_cvt_f32_f16_e32 v19, v19
	;; [unrolled: 1-line block ×4, first 2 shown]
	v_mfma_f32_16x16x16_f16 v[22:25], v[22:23], v[132:133], v[196:199]
	s_nop 0
	v_mfma_f32_16x16x16_f16 v[18:21], v[32:33], v[130:131], v[18:21]
	ds_read_u16 v27, v105 offset:7744
	ds_read_u16 v29, v105 offset:7984
	;; [unrolled: 1-line block ×4, first 2 shown]
	s_nop 1
	v_cvt_f16_f32_e32 v22, v22
	v_cvt_f16_f32_e32 v23, v23
	v_cvt_f16_f32_e32 v24, v24
	v_cvt_f16_f32_e32 v25, v25
	s_waitcnt lgkmcnt(0)
	v_perm_b32 v33, v33, v32, s16
	v_perm_b32 v32, v29, v27, s16
	v_cvt_f32_f16_e32 v22, v22
	v_cvt_f32_f16_e32 v23, v23
	;; [unrolled: 1-line block ×5, first 2 shown]
	v_cvt_f32_f16_sdwa v199, v26 dst_sel:DWORD dst_unused:UNUSED_PAD src0_sel:WORD_1
	v_mfma_f32_16x16x16_f16 v[22:25], v[32:33], v[130:131], v[22:25]
	ds_read_u16 v29, v105 offset:96
	ds_read_u16 v32, v105 offset:336
	;; [unrolled: 1-line block ×4, first 2 shown]
	v_cvt_f32_f16_e32 v196, v28
	v_cvt_f32_f16_sdwa v197, v28 dst_sel:DWORD dst_unused:UNUSED_PAD src0_sel:WORD_1
	s_waitcnt lgkmcnt(2)
	v_perm_b32 v26, v32, v29, s16
	v_cvt_pk_f16_f32 v24, v24, v25
	s_waitcnt lgkmcnt(0)
	v_perm_b32 v27, v33, v27, s16
	ds_read_u16 v32, v105 offset:7776
	ds_read_u16 v36, v105 offset:8016
	;; [unrolled: 1-line block ×4, first 2 shown]
	v_mfma_f32_16x16x16_f16 v[26:29], v[26:27], v[132:133], v[196:199]
	s_waitcnt lgkmcnt(0)
	v_perm_b32 v33, v37, v33, s16
	v_perm_b32 v32, v36, v32, s16
	v_cvt_f32_f16_e32 v196, v31
	s_nop 3
	v_cvt_f16_f32_e32 v26, v26
	v_cvt_f16_f32_e32 v27, v27
	;; [unrolled: 1-line block ×4, first 2 shown]
	v_cvt_f32_f16_e32 v26, v26
	v_cvt_f32_f16_e32 v27, v27
	v_cvt_f32_f16_e32 v28, v28
	v_cvt_f32_f16_e32 v29, v29
	v_cvt_f32_f16_sdwa v197, v31 dst_sel:DWORD dst_unused:UNUSED_PAD src0_sel:WORD_1
	v_cvt_f32_f16_e32 v198, v30
	v_mfma_f32_16x16x16_f16 v[26:29], v[32:33], v[130:131], v[26:29]
	ds_read_u16 v32, v105 offset:128
	ds_read_u16 v33, v105 offset:368
	;; [unrolled: 1-line block ×4, first 2 shown]
	v_cvt_f32_f16_sdwa v199, v30 dst_sel:DWORD dst_unused:UNUSED_PAD src0_sel:WORD_1
	v_cvt_pk_f16_f32 v19, v18, v19
	s_waitcnt lgkmcnt(2)
	v_perm_b32 v30, v33, v32, s16
	v_cvt_pk_f16_f32 v18, v20, v21
	s_waitcnt lgkmcnt(0)
	v_perm_b32 v31, v37, v36, s16
	v_cvt_pk_f16_f32 v21, v14, v15
	v_cvt_pk_f16_f32 v20, v16, v17
	v_mfma_f32_16x16x16_f16 v[30:33], v[30:31], v[132:133], v[196:199]
	ds_read_u16 v36, v105 offset:7808
	s_nop 1
	ds_read_u16 v196, v105 offset:8048
	ds_read_u16 v37, v107 offset:7808
	;; [unrolled: 1-line block ×3, first 2 shown]
	v_cvt_f32_f16_e32 v198, v34
	v_cvt_f32_f16_sdwa v199, v34 dst_sel:DWORD dst_unused:UNUSED_PAD src0_sel:WORD_1
	v_cvt_f16_f32_e32 v30, v30
	v_cvt_f16_f32_e32 v31, v31
	;; [unrolled: 1-line block ×4, first 2 shown]
	s_waitcnt lgkmcnt(0)
	v_perm_b32 v37, v197, v37, s16
	v_perm_b32 v36, v196, v36, s16
	v_cvt_f32_f16_e32 v30, v30
	v_cvt_f32_f16_e32 v31, v31
	;; [unrolled: 1-line block ×5, first 2 shown]
	v_cvt_f32_f16_sdwa v197, v35 dst_sel:DWORD dst_unused:UNUSED_PAD src0_sel:WORD_1
	v_mfma_f32_16x16x16_f16 v[30:33], v[36:37], v[130:131], v[30:33]
	ds_read_u16 v36, v105 offset:160
	ds_read_u16 v37, v105 offset:400
	;; [unrolled: 1-line block ×4, first 2 shown]
	s_waitcnt lgkmcnt(2)
	v_perm_b32 v34, v37, v36, s16
	s_nop 1
	v_cvt_pk_f16_f32 v31, v30, v31
	s_waitcnt lgkmcnt(0)
	v_perm_b32 v35, v201, v200, s16
	v_cvt_pk_f16_f32 v30, v32, v33
	v_cvt_pk_f16_f32 v32, v26, v27
	v_mfma_f32_16x16x16_f16 v[34:37], v[34:35], v[132:133], v[196:199]
	s_nop 2
	ds_read_u16 v196, v105 offset:7840
	ds_read_u16 v198, v105 offset:8080
	;; [unrolled: 1-line block ×8, first 2 shown]
	v_cvt_pk_f16_f32 v27, v28, v29
	v_cvt_f16_f32_e32 v34, v34
	v_cvt_f16_f32_e32 v35, v35
	;; [unrolled: 1-line block ×4, first 2 shown]
	s_waitcnt lgkmcnt(4)
	v_perm_b32 v197, v199, v197, s16
	v_perm_b32 v196, v198, v196, s16
	v_cvt_f32_f16_e32 v34, v34
	v_cvt_f32_f16_e32 v35, v35
	;; [unrolled: 1-line block ×5, first 2 shown]
	v_cvt_f32_f16_sdwa v199, v194 dst_sel:DWORD dst_unused:UNUSED_PAD src0_sel:WORD_1
	v_mfma_f32_16x16x16_f16 v[34:37], v[196:197], v[130:131], v[34:37]
	v_cvt_f32_f16_e32 v196, v195
	v_cvt_f32_f16_sdwa v197, v195 dst_sel:DWORD dst_unused:UNUSED_PAD src0_sel:WORD_1
	s_waitcnt lgkmcnt(0)
	v_perm_b32 v195, v203, v202, s16
	v_perm_b32 v194, v201, v200, s16
	s_nop 2
	v_cvt_pk_f16_f32 v35, v34, v35
	v_cvt_pk_f16_f32 v34, v36, v37
	v_mfma_f32_16x16x16_f16 v[194:197], v[194:195], v[132:133], v[196:199]
	v_cvt_pk_f16_f32 v28, v22, v23
	s_nop 6
	v_cvt_f16_f32_e32 v133, v194
	v_cvt_f16_f32_e32 v194, v195
	;; [unrolled: 1-line block ×4, first 2 shown]
	ds_read_u16 v132, v105 offset:7872
	ds_read_u16 v197, v105 offset:8112
	;; [unrolled: 1-line block ×4, first 2 shown]
	v_cvt_f32_f16_e32 v200, v133
	v_cvt_f32_f16_e32 v201, v194
	s_waitcnt lgkmcnt(2)
	v_perm_b32 v132, v197, v132, s16
	v_cvt_f32_f16_e32 v202, v195
	s_waitcnt lgkmcnt(0)
	v_perm_b32 v133, v199, v198, s16
	v_cvt_f32_f16_e32 v203, v196
	s_barrier
	s_nop 0
	v_mfma_f32_16x16x16_f16 v[130:133], v[132:133], v[130:131], v[200:203]
	s_nop 7
	v_cvt_pk_f16_f32 v17, v130, v131
	v_cvt_pk_f16_f32 v16, v132, v133
	s_cbranch_scc0 .LBB19_175
; %bb.173:                              ;   in Loop: Header=BB19_168 Depth=2
	v_mov_b32_e32 v14, v192
	v_mov_b32_e32 v15, v109
	s_and_saveexec_b64 s[14:15], s[4:5]
	s_cbranch_execnz .LBB19_167
	s_branch .LBB19_168
.LBB19_174:                             ;   in Loop: Header=BB19_14 Depth=1
	v_mov_b32_e32 v109, 0xfeffffff
	v_mov_b32_e32 v192, 0
	s_mov_b64 s[14:15], 0
	v_mov_b32_e32 v16, 0
	v_mov_b32_e32 v17, 0
	;; [unrolled: 1-line block ×14, first 2 shown]
	s_and_saveexec_b64 s[18:19], s[4:5]
	s_cbranch_execnz .LBB19_176
	s_branch .LBB19_177
.LBB19_175:                             ;   in Loop: Header=BB19_14 Depth=1
	s_lshl_b32 s66, s9, 6
	s_mov_b64 s[14:15], s[66:67]
	s_movk_i32 s66, 0x47
	s_and_saveexec_b64 s[18:19], s[4:5]
	s_cbranch_execz .LBB19_177
.LBB19_176:                             ;   in Loop: Header=BB19_14 Depth=1
	v_or_b32_e32 v14, s72, v43
	v_mul_hi_u32 v15, s30, v14
	v_add_u32_e32 v15, v14, v15
	v_lshrrev_b32_e32 v15, s31, v15
	s_lshl_b64 s[58:59], s[14:15], 1
	v_mul_lo_u32 v15, v15, s20
	v_readlane_b32 s62, v204, 30
	s_add_u32 s58, s84, s58
	v_sub_u32_e32 v14, v14, v15
	v_readlane_b32 s63, v204, 31
	s_addc_u32 s59, s85, s59
	v_mad_i64_i32 v[14:15], s[62:63], v14, s62, 0
	v_lshl_add_u64 v[14:15], v[14:15], 1, s[58:59]
	v_lshlrev_b32_e32 v48, 1, v42
	v_lshl_add_u64 v[14:15], v[14:15], 0, v[48:49]
	global_load_dword v14, v[14:15], off
	s_waitcnt vmcnt(0)
	ds_write_b32 v97, v14 offset:15360
.LBB19_177:                             ;   in Loop: Header=BB19_14 Depth=1
	s_or_b64 exec, exec, s[18:19]
	s_mul_i32 s9, s14, s29
	s_mul_hi_u32 s15, s14, s28
	s_add_i32 s19, s15, s9
	s_mul_i32 s18, s14, s28
	s_lshl_b64 s[18:19], s[18:19], 2
	s_add_u32 s18, s17, s18
	s_addc_u32 s19, s8, s19
	s_and_saveexec_b64 s[62:63], s[6:7]
	s_cbranch_execz .LBB19_179
; %bb.178:                              ;   in Loop: Header=BB19_14 Depth=1
	v_lshl_add_u64 v[14:15], v[62:63], 2, s[18:19]
	v_lshlrev_b32_e32 v48, 2, v46
	v_lshl_add_u64 v[14:15], v[14:15], 0, v[48:49]
	global_load_dwordx4 v[112:115], v[14:15], off offset:192
	s_waitcnt vmcnt(0)
	ds_write_b128 v101, v[112:115]
.LBB19_179:                             ;   in Loop: Header=BB19_14 Depth=1
	s_or_b64 exec, exec, s[62:63]
	v_lshl_add_u64 v[14:15], v[52:53], 2, s[18:19]
	v_lshlrev_b32_e32 v48, 2, v44
	v_lshl_add_u64 v[22:23], v[14:15], 0, v[48:49]
	v_lshlrev_b32_e32 v14, 2, v56
	v_mov_b32_e32 v15, v49
	v_lshl_add_u64 v[112:113], v[60:61], 2, s[18:19]
	v_lshl_add_u64 v[116:117], v[112:113], 0, v[14:15]
	global_load_dwordx4 v[112:115], v[22:23], off offset:128
	v_lshl_add_u64 v[36:37], v[58:59], 2, s[18:19]
	v_lshl_add_u64 v[36:37], v[36:37], 0, v[14:15]
	v_add_u32_e32 v25, v95, v139
	s_mul_i32 s8, s14, s23
	s_mul_hi_u32 s9, s14, s22
	s_add_i32 s9, s9, s8
	s_mul_i32 s8, s14, s22
	s_lshl_b64 s[8:9], s[8:9], 2
	s_add_u32 s14, s33, s8
	s_addc_u32 s15, s2, s9
	s_waitcnt vmcnt(0)
	ds_write_b128 v99, v[112:115]
	global_load_dwordx4 v[112:115], v[36:37], off
	s_waitcnt vmcnt(0)
	ds_write_b128 v138, v[112:115]
	global_load_dwordx4 v[112:115], v[116:117], off
	s_waitcnt vmcnt(0)
	ds_write_b128 v179, v[112:115]
	s_waitcnt lgkmcnt(0)
	s_barrier
	ds_read2_b64 v[112:115], v25 offset1:4
	s_waitcnt lgkmcnt(0)
	v_mfma_f32_16x16x16_f16 v[116:119], v[112:113], v[10:11], 0
	ds_read_b64 v[22:23], v25 offset:192
	v_mfma_f32_16x16x16_f16 v[112:115], v[114:115], v[12:13], v[116:119]
	s_nop 5
	ds_read2_b64 v[116:119], v25 offset0:8 offset1:12
	s_waitcnt lgkmcnt(0)
	v_mfma_f32_16x16x16_f16 v[112:115], v[116:117], v[6:7], v[112:115]
	v_mfma_f32_16x16x16_f16 v[112:115], v[118:119], v[8:9], v[112:115]
	ds_read2_b64 v[116:119], v25 offset0:16 offset1:20
	s_waitcnt lgkmcnt(0)
	v_mfma_f32_16x16x16_f16 v[112:115], v[116:117], v[2:3], v[112:115]
	v_mfma_f32_16x16x16_f16 v[112:115], v[118:119], v[4:5], v[112:115]
	;; [unrolled: 1-line block ×3, first 2 shown]
	v_add_u32_e32 v22, 0x1800, v25
	ds_read2_b64 v[116:119], v22 offset0:192 offset1:196
	s_waitcnt lgkmcnt(0)
	v_mfma_f32_16x16x16_f16 v[120:123], v[116:117], v[10:11], 0
	v_mfma_f32_16x16x16_f16 v[10:13], v[118:119], v[12:13], v[120:123]
	ds_read2_b64 v[116:119], v22 offset0:200 offset1:204
	s_waitcnt lgkmcnt(0)
	v_mfma_f32_16x16x16_f16 v[10:13], v[116:117], v[6:7], v[10:13]
	v_mfma_f32_16x16x16_f16 v[6:9], v[118:119], v[8:9], v[10:13]
	s_nop 6
	ds_read2_b64 v[10:13], v22 offset0:208 offset1:212
	s_waitcnt lgkmcnt(0)
	v_mfma_f32_16x16x16_f16 v[6:9], v[10:11], v[2:3], v[6:9]
	v_mfma_f32_16x16x16_f16 v[2:5], v[12:13], v[4:5], v[6:9]
	s_nop 6
	ds_read_b64 v[6:7], v25 offset:7872
	s_waitcnt lgkmcnt(0)
	v_mfma_f32_16x16x16_f16 v[10:13], v[6:7], v[110:111], v[2:5]
	s_nop 2
	v_add_u32_e32 v2, 0x3c00, v103
	s_barrier
	ds_read2_b32 v[2:3], v2 offset1:1
	s_waitcnt lgkmcnt(0)
	v_cvt_f32_f16_e32 v4, v2
	v_cvt_f32_f16_sdwa v2, v2 dst_sel:DWORD dst_unused:UNUSED_PAD src0_sel:WORD_1
	v_add_f32_e32 v9, v112, v4
	v_add_f32_e32 v8, v113, v2
	v_cvt_f32_f16_e32 v2, v3
	v_cvt_f32_f16_sdwa v3, v3 dst_sel:DWORD dst_unused:UNUSED_PAD src0_sel:WORD_1
	v_add_f32_e32 v7, v114, v2
	ds_read_b32 v2, v140 offset:15360
	v_add_f32_e32 v6, v115, v3
	s_waitcnt lgkmcnt(0)
	v_cvt_f32_f16_e32 v3, v2
	v_cvt_f32_f16_sdwa v2, v2 dst_sel:DWORD dst_unused:UNUSED_PAD src0_sel:WORD_1
	v_add_f32_e32 v5, v10, v3
	v_add_f32_e32 v4, v11, v2
	ds_read_b32 v2, v141 offset:15360
	v_add_f32_e32 v10, 0x40051340, v9
	v_add_f32_e32 v11, 0x40051340, v8
	v_max3_f32 v10, v109, v10, v11
	v_add_f32_e32 v11, 0x40051340, v7
	s_waitcnt lgkmcnt(0)
	v_cvt_f32_f16_e32 v3, v2
	v_cvt_f32_f16_sdwa v2, v2 dst_sel:DWORD dst_unused:UNUSED_PAD src0_sel:WORD_1
	v_add_f32_e32 v3, v12, v3
	v_add_f32_e32 v12, 0x40051340, v6
	;; [unrolled: 1-line block ×3, first 2 shown]
	v_max3_f32 v10, v10, v11, v12
	v_add_f32_e32 v11, 0x40051340, v5
	v_add_f32_e32 v12, 0x40051340, v4
	v_max3_f32 v10, v10, v11, v12
	v_add_f32_e32 v11, 0x40051340, v3
	v_add_f32_e32 v12, 0x40051340, v2
	v_max3_f32 v10, v10, v11, v12
	v_and_b32_e32 v11, 64, v190
	v_add_u32_e32 v11, 64, v11
	v_xor_b32_e32 v12, 32, v190
	v_cmp_lt_i32_e32 vcc, v12, v11
	s_nop 1
	v_cndmask_b32_e32 v12, v190, v12, vcc
	v_lshlrev_b32_e32 v23, 2, v12
	ds_bpermute_b32 v12, v23, v10
	s_waitcnt lgkmcnt(0)
	v_max_f32_e32 v12, v12, v12
	v_max_f32_e32 v10, v10, v12
	v_xor_b32_e32 v12, 16, v190
	v_cmp_lt_i32_e32 vcc, v12, v11
	s_nop 1
	v_cndmask_b32_e32 v11, v190, v12, vcc
	v_lshlrev_b32_e32 v26, 2, v11
	ds_bpermute_b32 v11, v26, v10
	s_and_saveexec_b64 s[18:19], s[6:7]
	s_cbranch_execz .LBB19_181
; %bb.180:                              ;   in Loop: Header=BB19_14 Depth=1
	v_lshl_add_u64 v[12:13], v[64:65], 2, s[14:15]
	v_lshlrev_b32_e32 v36, 2, v46
	v_mov_b32_e32 v37, v49
	v_lshl_add_u64 v[12:13], v[12:13], 0, v[36:37]
	global_load_dwordx4 v[110:113], v[12:13], off offset:192
	s_waitcnt vmcnt(0)
	ds_write_b128 v101, v[110:113]
.LBB19_181:                             ;   in Loop: Header=BB19_14 Depth=1
	s_or_b64 exec, exec, s[18:19]
	s_waitcnt lgkmcnt(0)
	v_max_f32_e32 v11, v11, v11
	v_max_f32_e32 v10, v10, v10
	;; [unrolled: 1-line block ×3, first 2 shown]
	v_sub_f32_e32 v9, v9, v22
	v_mul_f32_e32 v10, 0x3fb8aa3b, v9
	v_fma_f32 v11, v9, s71, -v10
	v_rndne_f32_e32 v12, v10
	v_fmac_f32_e32 v11, 0x32a5705f, v9
	v_sub_f32_e32 v10, v10, v12
	v_add_f32_e32 v10, v10, v11
	v_exp_f32_e32 v10, v10
	v_cvt_i32_f32_e32 v11, v12
	v_sub_f32_e32 v8, v8, v22
	v_cmp_ngt_f32_e32 vcc, s70, v9
	v_sub_f32_e32 v7, v7, v22
	v_ldexp_f32 v10, v10, v11
	v_mul_f32_e32 v11, 0x3fb8aa3b, v8
	v_fma_f32 v12, v8, s71, -v11
	v_rndne_f32_e32 v13, v11
	v_fmac_f32_e32 v12, 0x32a5705f, v8
	v_sub_f32_e32 v11, v11, v13
	v_add_f32_e32 v11, v11, v12
	v_exp_f32_e32 v11, v11
	v_cvt_i32_f32_e32 v12, v13
	v_cndmask_b32_e32 v10, 0, v10, vcc
	v_cmp_nlt_f32_e32 vcc, s26, v9
	v_sub_f32_e32 v6, v6, v22
	v_ldexp_f32 v9, v11, v12
	v_cndmask_b32_e32 v33, v191, v10, vcc
	v_mul_f32_e32 v10, 0x3fb8aa3b, v7
	v_fma_f32 v11, v7, s71, -v10
	v_rndne_f32_e32 v12, v10
	v_fmac_f32_e32 v11, 0x32a5705f, v7
	v_sub_f32_e32 v10, v10, v12
	v_add_f32_e32 v10, v10, v11
	v_exp_f32_e32 v10, v10
	v_cvt_i32_f32_e32 v11, v12
	v_cmp_ngt_f32_e32 vcc, s70, v8
	v_sub_f32_e32 v5, v5, v22
	v_lshl_add_u64 v[36:37], v[66:67], 2, s[14:15]
	v_cndmask_b32_e32 v9, 0, v9, vcc
	v_cmp_nlt_f32_e32 vcc, s26, v8
	v_sub_f32_e32 v4, v4, v22
	v_sub_f32_e32 v3, v3, v22
	v_cndmask_b32_e32 v114, v191, v9, vcc
	v_ldexp_f32 v9, v10, v11
	v_mul_f32_e32 v10, 0x3fb8aa3b, v6
	v_fma_f32 v11, v6, s71, -v10
	v_rndne_f32_e32 v12, v10
	v_fmac_f32_e32 v11, 0x32a5705f, v6
	v_sub_f32_e32 v10, v10, v12
	v_add_f32_e32 v10, v10, v11
	v_exp_f32_e32 v10, v10
	v_cvt_i32_f32_e32 v11, v12
	v_cmp_ngt_f32_e32 vcc, s70, v7
	v_add_f32_e32 v8, v33, v114
	v_sub_f32_e32 v2, v2, v22
	v_cndmask_b32_e32 v9, 0, v9, vcc
	v_cmp_nlt_f32_e32 vcc, s26, v7
	s_cmp_lg_u64 s[82:83], 0
	s_cselect_b64 s[8:9], -1, 0
	v_cndmask_b32_e32 v25, v191, v9, vcc
	v_mul_f32_e32 v9, 0x3fb8aa3b, v5
	v_add_f32_e32 v7, v25, v8
	v_ldexp_f32 v8, v10, v11
	v_fma_f32 v10, v5, s71, -v9
	v_rndne_f32_e32 v11, v9
	v_fmac_f32_e32 v10, 0x32a5705f, v5
	v_sub_f32_e32 v9, v9, v11
	v_add_f32_e32 v9, v9, v10
	v_cmp_ngt_f32_e32 vcc, s70, v6
	v_exp_f32_e32 v9, v9
	v_cvt_i32_f32_e32 v10, v11
	v_cndmask_b32_e32 v8, 0, v8, vcc
	v_cmp_nlt_f32_e32 vcc, s26, v6
	s_and_b64 s[8:9], s[0:1], s[8:9]
	v_ldexp_f32 v116, v9, v10
	v_cndmask_b32_e32 v115, v191, v8, vcc
	v_add_f32_e32 v29, v115, v7
	v_lshl_add_u64 v[6:7], v[70:71], 2, s[14:15]
	v_lshl_add_u64 v[6:7], v[6:7], 0, v[48:49]
	;; [unrolled: 1-line block ×3, first 2 shown]
	global_load_dwordx4 v[6:9], v[6:7], off offset:128
	v_lshl_add_u64 v[10:11], v[10:11], 0, v[14:15]
	global_load_dwordx4 v[10:13], v[10:11], off
	v_lshl_add_u64 v[14:15], v[36:37], 0, v[14:15]
	global_load_dwordx4 v[110:113], v[14:15], off
	v_mul_f32_e32 v15, 0x3fb8aa3b, v4
	v_fma_f32 v36, v4, s71, -v15
	v_rndne_f32_e32 v37, v15
	v_fmac_f32_e32 v36, 0x32a5705f, v4
	v_sub_f32_e32 v15, v15, v37
	v_add_f32_e32 v15, v15, v36
	v_exp_f32_e32 v15, v15
	v_cvt_i32_f32_e32 v36, v37
	v_cmp_ngt_f32_e32 vcc, s70, v5
	v_cvt_pk_f16_f32 v25, v25, v115
	s_waitcnt vmcnt(2)
	ds_write_b128 v99, v[6:9]
	s_waitcnt vmcnt(1)
	ds_write_b128 v138, v[10:13]
	;; [unrolled: 2-line block ×3, first 2 shown]
	v_cndmask_b32_e32 v14, 0, v116, vcc
	v_cmp_nlt_f32_e32 vcc, s26, v5
	s_waitcnt lgkmcnt(0)
	s_barrier
	v_cndmask_b32_e32 v37, v191, v14, vcc
	v_ldexp_f32 v14, v15, v36
	v_mul_f32_e32 v15, 0x3fb8aa3b, v3
	v_add_f32_e32 v5, v37, v29
	v_fma_f32 v29, v3, s71, -v15
	v_rndne_f32_e32 v36, v15
	v_fmac_f32_e32 v29, 0x32a5705f, v3
	v_sub_f32_e32 v15, v15, v36
	v_add_f32_e32 v15, v15, v29
	v_exp_f32_e32 v15, v15
	v_cvt_i32_f32_e32 v29, v36
	v_cmp_ngt_f32_e32 vcc, s70, v4
	ds_read_u16 v6, v105 offset:240
	s_nop 0
	v_cndmask_b32_e32 v14, 0, v14, vcc
	v_cmp_nlt_f32_e32 vcc, s26, v4
	ds_read_u16 v7, v107
	ds_read_u16 v8, v134
	;; [unrolled: 1-line block ×3, first 2 shown]
	v_cndmask_b32_e32 v36, v191, v14, vcc
	v_mul_f32_e32 v14, 0x3fb8aa3b, v2
	v_add_f32_e32 v4, v36, v5
	v_ldexp_f32 v5, v15, v29
	v_fma_f32 v15, v2, s71, -v14
	v_rndne_f32_e32 v29, v14
	v_fmac_f32_e32 v15, 0x32a5705f, v2
	v_sub_f32_e32 v14, v14, v29
	v_add_f32_e32 v14, v14, v15
	v_exp_f32_e32 v14, v14
	v_cvt_i32_f32_e32 v15, v29
	v_cmp_ngt_f32_e32 vcc, s70, v3
	s_waitcnt lgkmcnt(1)
	v_perm_b32 v7, v8, v7, s16
	s_waitcnt lgkmcnt(0)
	v_perm_b32 v6, v6, v9, s16
	v_cndmask_b32_e32 v5, 0, v5, vcc
	v_cmp_nlt_f32_e32 vcc, s26, v3
	ds_read_u16 v9, v107 offset:32
	ds_read_u16 v10, v134 offset:32
	v_cndmask_b32_e32 v48, v191, v5, vcc
	v_sub_f32_e32 v5, v109, v22
	v_add_f32_e32 v3, v48, v4
	v_ldexp_f32 v4, v14, v15
	v_mul_f32_e32 v14, 0x3fb8aa3b, v5
	v_fma_f32 v15, v5, s71, -v14
	v_rndne_f32_e32 v29, v14
	v_fmac_f32_e32 v15, 0x32a5705f, v5
	v_sub_f32_e32 v14, v14, v29
	v_add_f32_e32 v14, v14, v15
	v_exp_f32_e32 v14, v14
	v_cvt_i32_f32_e32 v15, v29
	v_cmp_ngt_f32_e32 vcc, s70, v2
	v_cmp_ngt_f32_e64 s[14:15], s70, v5
	s_nop 0
	v_cndmask_b32_e32 v4, 0, v4, vcc
	v_cmp_nlt_f32_e32 vcc, s26, v2
	v_ldexp_f32 v2, v14, v15
	v_cndmask_b32_e64 v2, 0, v2, s[14:15]
	v_cmp_nlt_f32_e64 s[14:15], s26, v5
	v_cndmask_b32_e32 v109, v191, v4, vcc
	v_add_f32_e32 v29, v109, v3
	v_cndmask_b32_e64 v2, v191, v2, s[14:15]
	v_cmp_le_f32_e64 s[14:15], s57, v5
	s_nop 1
	v_cndmask_b32_e64 v2, 0, v2, s[14:15]
	v_cvt_f16_f32_e32 v5, v2
	v_fmac_f32_e32 v29, v192, v2
	ds_bpermute_b32 v23, v23, v29
	v_mul_u32_u24_e32 v116, 0x10001, v5
	v_pk_mul_f16 v3, v21, v116
	v_pk_mul_f16 v5, v20, v116
	v_cvt_f32_f16_e32 v2, v3
	v_cvt_f32_f16_sdwa v3, v3 dst_sel:DWORD dst_unused:UNUSED_PAD src0_sel:WORD_1
	v_cvt_f32_f16_e32 v4, v5
	v_cvt_f32_f16_sdwa v5, v5 dst_sel:DWORD dst_unused:UNUSED_PAD src0_sel:WORD_1
	v_pk_mul_f16 v117, v24, v116
	v_cvt_pk_f16_f32 v24, v33, v114
	v_pk_mul_f16 v19, v19, v116
	v_pk_mul_f16 v18, v18, v116
	v_mfma_f32_16x16x16_f16 v[2:5], v[6:7], v[24:25], v[2:5]
	ds_read_u16 v6, v105 offset:7680
	ds_read_u16 v7, v107 offset:7680
	;; [unrolled: 1-line block ×6, first 2 shown]
	s_nop 1
	v_cvt_f16_f32_e32 v2, v2
	v_cvt_f16_f32_e32 v3, v3
	;; [unrolled: 1-line block ×4, first 2 shown]
	s_waitcnt lgkmcnt(3)
	v_perm_b32 v7, v8, v7, s16
	s_waitcnt lgkmcnt(2)
	v_perm_b32 v6, v11, v6, s16
	v_cvt_f32_f16_e32 v2, v2
	v_cvt_f32_f16_e32 v3, v3
	;; [unrolled: 1-line block ×4, first 2 shown]
	v_cvt_pk_f16_f32 v21, v48, v109
	v_cvt_pk_f16_f32 v20, v37, v36
	v_perm_b32 v11, v10, v9, s16
	s_waitcnt lgkmcnt(0)
	v_perm_b32 v10, v13, v12, s16
	v_mfma_f32_16x16x16_f16 v[2:5], v[6:7], v[20:21], v[2:5]
	v_cvt_f32_f16_e32 v6, v19
	v_cvt_f32_f16_sdwa v7, v19 dst_sel:DWORD dst_unused:UNUSED_PAD src0_sel:WORD_1
	v_cvt_f32_f16_e32 v8, v18
	v_cvt_f32_f16_sdwa v9, v18 dst_sel:DWORD dst_unused:UNUSED_PAD src0_sel:WORD_1
	v_pk_mul_f16 v14, v27, v116
	v_pk_mul_f16 v48, v30, v116
	v_mfma_f32_16x16x16_f16 v[6:9], v[10:11], v[24:25], v[6:9]
	ds_read_u16 v10, v105 offset:7712
	ds_read_u16 v11, v107 offset:7712
	;; [unrolled: 1-line block ×4, first 2 shown]
	v_pk_mul_f16 v109, v17, v116
	v_pk_mul_f16 v27, v16, v116
	s_nop 1
	v_cvt_f16_f32_e32 v6, v6
	v_cvt_f16_f32_e32 v7, v7
	;; [unrolled: 1-line block ×4, first 2 shown]
	s_waitcnt lgkmcnt(0)
	v_perm_b32 v10, v13, v10, s16
	ds_read_u16 v13, v105 offset:64
	ds_read_u16 v16, v107 offset:64
	;; [unrolled: 1-line block ×4, first 2 shown]
	v_perm_b32 v11, v12, v11, s16
	v_cvt_f32_f16_e32 v6, v6
	v_cvt_f32_f16_e32 v7, v7
	;; [unrolled: 1-line block ×4, first 2 shown]
	v_pk_mul_f16 v28, v28, v116
	s_waitcnt lgkmcnt(1)
	v_perm_b32 v17, v17, v16, s16
	s_waitcnt lgkmcnt(0)
	v_perm_b32 v16, v30, v13, s16
	v_mfma_f32_16x16x16_f16 v[6:9], v[10:11], v[20:21], v[6:9]
	v_cvt_f32_f16_e32 v10, v28
	v_cvt_f32_f16_sdwa v11, v28 dst_sel:DWORD dst_unused:UNUSED_PAD src0_sel:WORD_1
	v_cvt_f32_f16_e32 v12, v117
	v_cvt_f32_f16_sdwa v13, v117 dst_sel:DWORD dst_unused:UNUSED_PAD src0_sel:WORD_1
	v_pk_mul_f16 v33, v31, v116
	v_cvt_f16_f32_e32 v4, v4
	v_mfma_f32_16x16x16_f16 v[10:13], v[16:17], v[24:25], v[10:13]
	ds_read_u16 v16, v105 offset:7744
	ds_read_u16 v17, v107 offset:7744
	;; [unrolled: 1-line block ×4, first 2 shown]
	v_cvt_f16_f32_e32 v5, v5
	v_pk_mul_f16 v15, v32, v116
	s_nop 1
	v_cvt_f16_f32_e32 v10, v10
	v_cvt_f16_f32_e32 v11, v11
	;; [unrolled: 1-line block ×4, first 2 shown]
	s_waitcnt lgkmcnt(1)
	v_perm_b32 v17, v30, v17, s16
	s_waitcnt lgkmcnt(0)
	v_perm_b32 v16, v31, v16, s16
	v_cvt_f32_f16_e32 v10, v10
	v_cvt_f32_f16_e32 v11, v11
	;; [unrolled: 1-line block ×4, first 2 shown]
	v_perm_b32 v4, v5, v4, s16
	v_pk_mul_f16 v18, v35, v116
	v_mfma_f32_16x16x16_f16 v[10:13], v[16:17], v[20:21], v[10:13]
	ds_read_u16 v5, v105 offset:96
	ds_read_u16 v16, v107 offset:96
	;; [unrolled: 1-line block ×4, first 2 shown]
	v_pk_mul_f16 v19, v34, v116
	v_cvt_f32_f16_e32 v34, v15
	v_cvt_f32_f16_sdwa v35, v15 dst_sel:DWORD dst_unused:UNUSED_PAD src0_sel:WORD_1
	s_waitcnt lgkmcnt(1)
	v_perm_b32 v17, v17, v16, s16
	s_waitcnt lgkmcnt(0)
	v_perm_b32 v16, v32, v5, s16
	v_cvt_f32_f16_e32 v36, v14
	v_cvt_f32_f16_sdwa v37, v14 dst_sel:DWORD dst_unused:UNUSED_PAD src0_sel:WORD_1
	v_cvt_f16_f32_e32 v5, v8
	v_cvt_f16_f32_e32 v110, v9
	v_mfma_f32_16x16x16_f16 v[14:17], v[16:17], v[24:25], v[34:37]
	s_nop 2
	ds_read_u16 v34, v105 offset:7776
	ds_read_u16 v35, v107 offset:7776
	;; [unrolled: 1-line block ×4, first 2 shown]
	v_perm_b32 v5, v110, v5, s16
	v_cvt_f32_f16_e32 v110, v33
	v_cvt_f16_f32_e32 v8, v14
	v_cvt_f16_f32_e32 v9, v15
	v_cvt_f16_f32_e32 v16, v16
	v_cvt_f16_f32_e32 v17, v17
	v_cvt_f32_f16_e32 v14, v8
	v_cvt_f32_f16_e32 v15, v9
	s_waitcnt lgkmcnt(1)
	v_perm_b32 v9, v36, v35, s16
	s_waitcnt lgkmcnt(0)
	v_perm_b32 v8, v37, v34, s16
	v_cvt_f32_f16_e32 v16, v16
	v_cvt_f32_f16_e32 v17, v17
	v_cvt_f16_f32_e32 v35, v12
	v_cvt_f16_f32_e32 v36, v13
	v_mfma_f32_16x16x16_f16 v[12:15], v[8:9], v[20:21], v[14:17]
	ds_read_u16 v8, v105 offset:128
	ds_read_u16 v9, v107 offset:128
	s_nop 0
	ds_read_u16 v16, v134 offset:128
	ds_read_u16 v34, v105 offset:368
	v_cvt_f32_f16_sdwa v111, v33 dst_sel:DWORD dst_unused:UNUSED_PAD src0_sel:WORD_1
	v_cvt_f32_f16_e32 v112, v48
	v_cvt_f32_f16_sdwa v113, v48 dst_sel:DWORD dst_unused:UNUSED_PAD src0_sel:WORD_1
	s_waitcnt lgkmcnt(1)
	v_perm_b32 v17, v16, v9, s16
	s_waitcnt lgkmcnt(0)
	v_perm_b32 v16, v34, v8, s16
	v_perm_b32 v8, v36, v35, s16
	v_add_f32_e32 v23, v29, v23
	v_mfma_f32_16x16x16_f16 v[110:113], v[16:17], v[24:25], v[110:113]
	ds_bpermute_b32 v29, v26, v23
	v_cvt_f16_f32_e32 v28, v2
	v_cvt_f16_f32_e32 v30, v3
	s_nop 4
	v_cvt_f16_f32_e32 v35, v113
	ds_read_u16 v36, v105 offset:7808
	ds_read_u16 v37, v107 offset:7808
	;; [unrolled: 1-line block ×4, first 2 shown]
	v_cvt_f16_f32_e32 v16, v111
	v_cvt_f16_f32_e32 v17, v112
	;; [unrolled: 1-line block ×4, first 2 shown]
	v_cvt_f32_f16_e32 v111, v16
	v_cvt_f32_f16_e32 v112, v17
	s_waitcnt lgkmcnt(1)
	v_perm_b32 v17, v48, v37, s16
	s_waitcnt lgkmcnt(0)
	v_perm_b32 v16, v113, v36, s16
	v_cvt_f32_f16_e32 v110, v9
	v_cvt_f32_f16_e32 v113, v35
	v_cvt_f16_f32_e32 v9, v14
	v_cvt_f16_f32_e32 v37, v15
	v_mfma_f32_16x16x16_f16 v[14:17], v[16:17], v[20:21], v[110:113]
	ds_read_u16 v36, v105 offset:160
	ds_read_u16 v48, v107 offset:160
	s_nop 0
	ds_read_u16 v113, v134 offset:160
	ds_read_u16 v114, v105 offset:400
	v_cvt_f32_f16_e32 v110, v18
	v_cvt_f32_f16_sdwa v111, v18 dst_sel:DWORD dst_unused:UNUSED_PAD src0_sel:WORD_1
	v_cvt_f32_f16_e32 v112, v19
	s_waitcnt lgkmcnt(1)
	v_perm_b32 v115, v113, v48, s16
	s_waitcnt lgkmcnt(0)
	v_perm_b32 v114, v114, v36, s16
	v_cvt_f32_f16_sdwa v113, v19 dst_sel:DWORD dst_unused:UNUSED_PAD src0_sel:WORD_1
	v_cvt_f16_f32_e32 v32, v7
	v_cvt_f16_f32_e32 v33, v10
	v_mfma_f32_16x16x16_f16 v[110:113], v[114:115], v[24:25], v[110:113]
	ds_read_u16 v114, v105 offset:7840
	ds_read_u16 v115, v107 offset:7840
	;; [unrolled: 1-line block ×4, first 2 shown]
	v_cvt_f16_f32_e32 v34, v11
	v_cvt_f16_f32_e32 v35, v12
	s_nop 1
	v_cvt_f16_f32_e32 v18, v110
	v_cvt_f16_f32_e32 v19, v111
	;; [unrolled: 1-line block ×4, first 2 shown]
	v_cvt_f32_f16_e32 v110, v18
	v_cvt_f32_f16_e32 v111, v19
	s_waitcnt lgkmcnt(1)
	v_perm_b32 v19, v116, v115, s16
	s_waitcnt lgkmcnt(0)
	v_perm_b32 v18, v117, v114, s16
	v_cvt_f32_f16_e32 v112, v48
	v_cvt_f32_f16_e32 v113, v113
	v_cvt_f16_f32_e32 v116, v16
	v_cvt_f16_f32_e32 v117, v17
	v_mfma_f32_16x16x16_f16 v[16:19], v[18:19], v[20:21], v[110:113]
	s_nop 2
	ds_read_u16 v113, v105 offset:192
	ds_read_u16 v114, v107 offset:192
	;; [unrolled: 1-line block ×4, first 2 shown]
	v_cvt_f32_f16_e32 v110, v109
	v_cvt_f32_f16_sdwa v111, v109 dst_sel:DWORD dst_unused:UNUSED_PAD src0_sel:WORD_1
	v_cvt_f32_f16_e32 v112, v27
	s_waitcnt lgkmcnt(1)
	v_perm_b32 v115, v115, v114, s16
	s_waitcnt lgkmcnt(0)
	v_perm_b32 v114, v118, v113, s16
	v_cvt_f32_f16_sdwa v113, v27 dst_sel:DWORD dst_unused:UNUSED_PAD src0_sel:WORD_1
	v_perm_b32 v27, v117, v116, s16
	v_cvt_f16_f32_e32 v18, v18
	v_mfma_f32_16x16x16_f16 v[110:113], v[114:115], v[24:25], v[110:113]
	v_cvt_f16_f32_e32 v19, v19
	v_cvt_f16_f32_e32 v36, v13
	v_perm_b32 v9, v37, v9, s16
	v_cvt_f16_f32_e32 v37, v14
	s_nop 3
	v_cvt_f16_f32_e32 v109, v110
	v_cvt_f16_f32_e32 v110, v111
	;; [unrolled: 1-line block ×4, first 2 shown]
	ds_read_u16 v25, v105 offset:7872
	ds_read_u16 v112, v107 offset:7872
	;; [unrolled: 1-line block ×4, first 2 shown]
	v_cvt_f32_f16_e32 v117, v110
	v_cvt_f32_f16_e32 v118, v111
	;; [unrolled: 1-line block ×3, first 2 shown]
	s_waitcnt lgkmcnt(1)
	v_perm_b32 v111, v113, v112, s16
	s_waitcnt lgkmcnt(0)
	v_perm_b32 v110, v114, v25, s16
	v_cvt_f32_f16_e32 v119, v24
	v_perm_b32 v24, v19, v18, s16
	v_cvt_f16_f32_e32 v48, v15
	v_mfma_f32_16x16x16_f16 v[18:21], v[110:111], v[20:21], v[116:119]
	v_cvt_f16_f32_e32 v25, v16
	v_cvt_f16_f32_e32 v109, v17
	v_add_f32_e32 v23, v23, v29
	v_perm_b32 v29, v36, v35, s16
	s_nop 3
	v_cvt_f16_f32_e32 v110, v18
	v_cvt_f16_f32_e32 v20, v20
	;; [unrolled: 1-line block ×4, first 2 shown]
	v_perm_b32 v33, v34, v33, s16
	v_perm_b32 v31, v32, v31, s16
	;; [unrolled: 1-line block ×7, first 2 shown]
	s_barrier
	s_and_saveexec_b64 s[14:15], s[8:9]
	s_cbranch_execz .LBB19_183
; %bb.182:                              ;   in Loop: Header=BB19_14 Depth=1
	v_cvt_pk_f16_f32 v3, v2, v3
	v_lshlrev_b32_e32 v2, 2, v54
	v_cvt_pk_f16_f32 v6, v6, v7
	v_cvt_pk_f16_f32 v7, v10, v11
	;; [unrolled: 1-line block ×3, first 2 shown]
	global_load_dword v14, v2, s[82:83]
	v_max_f32_e32 v15, v22, v22
	v_cvt_pk_f16_f32 v10, v12, v13
	v_cvt_pk_f16_f32 v12, v16, v17
	;; [unrolled: 1-line block ×3, first 2 shown]
	s_waitcnt vmcnt(0)
	v_max_f32_e32 v2, v14, v14
	v_max_f32_e32 v2, v15, v2
	v_sub_f32_e32 v15, v22, v2
	v_mul_f32_e32 v16, 0x3fb8aa3b, v15
	v_fma_f32 v17, v15, s71, -v16
	v_rndne_f32_e32 v18, v16
	v_fmac_f32_e32 v17, 0x32a5705f, v15
	v_sub_f32_e32 v16, v16, v18
	v_add_f32_e32 v16, v16, v17
	v_exp_f32_e32 v16, v16
	v_cvt_i32_f32_e32 v17, v18
	v_cmp_ngt_f32_e32 vcc, s70, v15
	v_sub_f32_e32 v14, v14, v2
	v_ldexp_f32 v16, v16, v17
	v_cndmask_b32_e32 v16, 0, v16, vcc
	v_cmp_nlt_f32_e32 vcc, s26, v15
	s_nop 1
	v_cndmask_b32_e32 v16, v191, v16, vcc
	v_cmp_le_f32_e32 vcc, s57, v15
	s_nop 1
	v_cndmask_b32_e32 v15, 0, v16, vcc
	v_cvt_f16_f32_e32 v16, v15
	v_cmp_ngt_f32_e32 vcc, s70, v14
	v_mul_u32_u24_e32 v16, 0x10001, v16
	v_pk_mul_f16 v28, v3, v16
	v_mul_f32_e32 v3, 0x3fb8aa3b, v14
	v_pk_mul_f16 v31, v6, v16
	v_pk_mul_f16 v33, v7, v16
	v_fma_f32 v6, v14, s71, -v3
	v_rndne_f32_e32 v7, v3
	v_fmac_f32_e32 v6, 0x32a5705f, v14
	v_sub_f32_e32 v3, v3, v7
	v_add_f32_e32 v3, v3, v6
	v_exp_f32_e32 v3, v3
	v_cvt_i32_f32_e32 v6, v7
	v_pk_mul_f16 v4, v4, v16
	v_pk_mul_f16 v5, v5, v16
	;; [unrolled: 1-line block ×3, first 2 shown]
	v_ldexp_f32 v3, v3, v6
	v_cndmask_b32_e32 v3, 0, v3, vcc
	v_cmp_nlt_f32_e32 vcc, s26, v14
	v_pk_mul_f16 v29, v10, v16
	v_pk_mul_f16 v9, v9, v16
	v_cndmask_b32_e32 v3, v191, v3, vcc
	v_fmac_f32_e32 v3, v23, v15
	v_pk_mul_f16 v25, v11, v16
	v_pk_mul_f16 v27, v27, v16
	;; [unrolled: 1-line block ×6, first 2 shown]
	v_mov_b64_e32 v[22:23], v[2:3]
.LBB19_183:                             ;   in Loop: Header=BB19_14 Depth=1
	s_or_b64 exec, exec, s[14:15]
	s_mov_b64 s[14:15], exec
	v_readlane_b32 s8, v204, 19
	v_readlane_b32 s9, v204, 20
	s_and_b64 s[8:9], s[14:15], s[8:9]
	s_mov_b64 exec, s[8:9]
; %bb.184:                              ;   in Loop: Header=BB19_14 Depth=1
	v_add_u32_e32 v2, 0, v143
	ds_write2_b32 v2, v22, v23 offset0:56 offset1:57
; %bb.185:                              ;   in Loop: Header=BB19_14 Depth=1
	s_or_b64 exec, exec, s[14:15]
	v_readlane_b32 s14, v204, 10
	v_readlane_b32 s15, v204, 11
	s_waitcnt lgkmcnt(0)
	s_barrier
	s_and_saveexec_b64 s[8:9], s[14:15]
	s_xor_b64 s[14:15], exec, s[8:9]
	s_cbranch_execz .LBB19_187
; %bb.186:                              ;   in Loop: Header=BB19_14 Depth=1
	s_barrier
                                        ; implicit-def: $vgpr26
.LBB19_187:                             ;   in Loop: Header=BB19_14 Depth=1
	s_andn2_saveexec_b64 s[14:15], s[14:15]
	s_cbranch_execz .LBB19_191
; %bb.188:                              ;   in Loop: Header=BB19_14 Depth=1
	v_add_u32_e32 v6, 0, v144
	ds_read_b64 v[2:3], v6 offset:224
	s_waitcnt lgkmcnt(0)
	s_barrier
	ds_bpermute_b32 v7, v26, v2
	v_max_f32_e32 v10, v2, v2
	s_waitcnt lgkmcnt(0)
	v_max_f32_e32 v7, v7, v7
	v_max_f32_e32 v7, v10, v7
	v_sub_f32_e32 v2, v2, v7
	v_mul_f32_e32 v7, 0x3fb8aa3b, v2
	v_fma_f32 v10, v2, s71, -v7
	v_rndne_f32_e32 v11, v7
	v_fmac_f32_e32 v10, 0x32a5705f, v2
	v_sub_f32_e32 v7, v7, v11
	v_add_f32_e32 v7, v7, v10
	v_cvt_i32_f32_e32 v11, v11
	v_exp_f32_e32 v7, v7
	v_cmp_ngt_f32_e32 vcc, s70, v2
	v_ldexp_f32 v7, v7, v11
	s_nop 0
	v_cndmask_b32_e32 v7, 0, v7, vcc
	v_cmp_nlt_f32_e32 vcc, s26, v2
	s_nop 1
	v_cndmask_b32_e32 v2, v191, v7, vcc
	v_mul_f32_e32 v3, v3, v2
	ds_bpermute_b32 v7, v26, v3
	s_mov_b64 s[18:19], exec
	v_readlane_b32 s8, v204, 21
	v_readlane_b32 s9, v204, 22
	s_and_b64 s[8:9], s[18:19], s[8:9]
	s_mov_b64 exec, s[8:9]
	s_cbranch_execz .LBB19_190
; %bb.189:                              ;   in Loop: Header=BB19_14 Depth=1
	s_waitcnt lgkmcnt(0)
	v_add_f32_e32 v3, v3, v7
	ds_write_b64 v6, v[2:3] offset:224
.LBB19_190:                             ;   in Loop: Header=BB19_14 Depth=1
	s_or_b64 exec, exec, s[18:19]
.LBB19_191:                             ;   in Loop: Header=BB19_14 Depth=1
	s_or_b64 exec, exec, s[14:15]
	ds_write2_b32 v135, v28, v4 offset1:1
	ds_write2_b32 v135, v31, v5 offset0:8 offset1:9
	ds_write2_b32 v135, v33, v8 offset0:16 offset1:17
	;; [unrolled: 1-line block ×6, first 2 shown]
	s_waitcnt lgkmcnt(0)
	s_barrier
	s_and_saveexec_b64 s[82:83], s[0:1]
	s_cbranch_execz .LBB19_12
; %bb.192:                              ;   in Loop: Header=BB19_14 Depth=1
	v_add_u32_e32 v3, s72, v184
	v_or_b32_e32 v2, s10, v96
	v_cmp_gt_i32_e32 vcc, s20, v3
	v_cmp_gt_i32_e64 s[14:15], s3, v2
	s_and_b64 s[8:9], vcc, s[14:15]
	v_mov_b32_e32 v2, 0x47
	s_and_saveexec_b64 s[18:19], s[8:9]
	s_cbranch_execz .LBB19_194
; %bb.193:                              ;   in Loop: Header=BB19_14 Depth=1
	v_mad_u64_u32 v[2:3], s[8:9], v3, s21, v[96:97]
	v_add_u32_e32 v8, 0, v155
	v_add_u32_e32 v3, v177, v155
	ds_read2_b32 v[4:5], v8 offset0:56 offset1:57
	ds_read2st64_b32 v[6:7], v3 offset1:15
	ds_read_b32 v8, v8 offset:4064
	v_mad_u64_u32 v[2:3], s[8:9], v2, 56, v[38:39]
	v_ashrrev_i32_e32 v3, 31, v2
	s_waitcnt lgkmcnt(1)
	v_cvt_f32_f16_e32 v10, v6
	v_cvt_f32_f16_sdwa v11, v6 dst_sel:DWORD dst_unused:UNUSED_PAD src0_sel:WORD_1
	v_cvt_f32_f16_e32 v6, v7
	v_cvt_f32_f16_sdwa v7, v7 dst_sel:DWORD dst_unused:UNUSED_PAD src0_sel:WORD_1
	v_lshl_add_u64 v[2:3], v[2:3], 3, s[80:81]
	v_pk_fma_f32 v[10:11], v[4:5], v[10:11], 0 op_sel_hi:[0,1,0]
	s_waitcnt lgkmcnt(0)
	v_pk_fma_f32 v[6:7], v[8:9], v[6:7], v[10:11] op_sel_hi:[0,1,1]
	v_div_scale_f32 v4, s[8:9], v5, v5, v7
	v_rcp_f32_e32 v8, v4
	s_nop 0
	v_fma_f32 v9, -v4, v8, 1.0
	v_fmac_f32_e32 v8, v9, v8
	v_div_scale_f32 v9, vcc, v7, v5, v7
	v_mul_f32_e32 v10, v9, v8
	v_fma_f32 v11, -v4, v10, v9
	v_fmac_f32_e32 v10, v11, v8
	v_fma_f32 v4, -v4, v10, v9
	v_div_fmas_f32 v4, v4, v8, v10
	v_div_fixup_f32 v7, v4, v5, v7
	v_div_scale_f32 v4, s[8:9], v5, v5, v6
	v_rcp_f32_e32 v8, v4
	s_nop 0
	v_fma_f32 v9, -v4, v8, 1.0
	v_fmac_f32_e32 v8, v9, v8
	v_div_scale_f32 v9, vcc, v6, v5, v6
	v_mul_f32_e32 v10, v9, v8
	v_fma_f32 v11, -v4, v10, v9
	v_fmac_f32_e32 v10, v11, v8
	v_fma_f32 v4, -v4, v10, v9
	v_div_fmas_f32 v4, v4, v8, v10
	v_div_fixup_f32 v6, v4, v5, v6
	global_store_dwordx2 v[2:3], v[6:7], off
	v_mov_b32_e32 v2, 0
.LBB19_194:                             ;   in Loop: Header=BB19_14 Depth=1
	s_or_b64 exec, exec, s[18:19]
	v_cmp_gt_i32_e32 vcc, s66, v2
	s_mov_b64 s[18:19], -1
	s_and_saveexec_b64 s[62:63], vcc
; %bb.195:                              ;   in Loop: Header=BB19_14 Depth=1
	v_cmp_eq_u32_e32 vcc, 0, v2
	s_orn2_b64 s[18:19], vcc, exec
; %bb.196:                              ;   in Loop: Header=BB19_14 Depth=1
	s_or_b64 exec, exec, s[62:63]
	s_and_saveexec_b64 s[84:85], s[18:19]
	s_cbranch_execz .LBB19_229
; %bb.197:                              ;   in Loop: Header=BB19_14 Depth=1
	v_add_u32_e32 v3, s72, v185
	v_or_b32_e32 v2, s10, v98
	v_cmp_gt_i32_e32 vcc, s20, v3
	v_cmp_gt_i32_e64 s[18:19], s3, v2
	s_and_b64 s[8:9], vcc, s[18:19]
	v_mov_b32_e32 v2, 0x47
	s_and_saveexec_b64 s[18:19], s[8:9]
	s_cbranch_execz .LBB19_199
; %bb.198:                              ;   in Loop: Header=BB19_14 Depth=1
	v_mad_u64_u32 v[2:3], s[8:9], v3, s21, v[98:99]
	v_add_u32_e32 v8, 0, v156
	v_add_u32_e32 v3, v177, v156
	ds_read2_b32 v[4:5], v8 offset0:56 offset1:57
	ds_read2st64_b32 v[6:7], v3 offset1:15
	ds_read_b32 v8, v8 offset:4064
	v_mad_u64_u32 v[2:3], s[8:9], v2, 56, v[38:39]
	v_ashrrev_i32_e32 v3, 31, v2
	s_waitcnt lgkmcnt(1)
	v_cvt_f32_f16_e32 v10, v6
	v_cvt_f32_f16_sdwa v11, v6 dst_sel:DWORD dst_unused:UNUSED_PAD src0_sel:WORD_1
	v_cvt_f32_f16_e32 v6, v7
	v_cvt_f32_f16_sdwa v7, v7 dst_sel:DWORD dst_unused:UNUSED_PAD src0_sel:WORD_1
	v_lshl_add_u64 v[2:3], v[2:3], 3, s[80:81]
	v_pk_fma_f32 v[10:11], v[4:5], v[10:11], 0 op_sel_hi:[0,1,0]
	s_waitcnt lgkmcnt(0)
	v_pk_fma_f32 v[6:7], v[8:9], v[6:7], v[10:11] op_sel_hi:[0,1,1]
	v_div_scale_f32 v4, s[8:9], v5, v5, v7
	v_rcp_f32_e32 v8, v4
	s_nop 0
	v_fma_f32 v9, -v4, v8, 1.0
	v_fmac_f32_e32 v8, v9, v8
	v_div_scale_f32 v9, vcc, v7, v5, v7
	v_mul_f32_e32 v10, v9, v8
	v_fma_f32 v11, -v4, v10, v9
	v_fmac_f32_e32 v10, v11, v8
	v_fma_f32 v4, -v4, v10, v9
	v_div_fmas_f32 v4, v4, v8, v10
	v_div_fixup_f32 v7, v4, v5, v7
	v_div_scale_f32 v4, s[8:9], v5, v5, v6
	v_rcp_f32_e32 v8, v4
	s_nop 0
	v_fma_f32 v9, -v4, v8, 1.0
	v_fmac_f32_e32 v8, v9, v8
	v_div_scale_f32 v9, vcc, v6, v5, v6
	v_mul_f32_e32 v10, v9, v8
	v_fma_f32 v11, -v4, v10, v9
	v_fmac_f32_e32 v10, v11, v8
	v_fma_f32 v4, -v4, v10, v9
	v_div_fmas_f32 v4, v4, v8, v10
	v_div_fixup_f32 v6, v4, v5, v6
	global_store_dwordx2 v[2:3], v[6:7], off
	v_mov_b32_e32 v2, 0
.LBB19_199:                             ;   in Loop: Header=BB19_14 Depth=1
	s_or_b64 exec, exec, s[18:19]
	v_cmp_gt_i32_e32 vcc, s66, v2
	s_mov_b64 s[18:19], -1
	s_and_saveexec_b64 s[62:63], vcc
; %bb.200:                              ;   in Loop: Header=BB19_14 Depth=1
	v_cmp_eq_u32_e32 vcc, 0, v2
	s_orn2_b64 s[18:19], vcc, exec
; %bb.201:                              ;   in Loop: Header=BB19_14 Depth=1
	s_or_b64 exec, exec, s[62:63]
	s_and_b64 exec, exec, s[18:19]
	s_cbranch_execz .LBB19_229
; %bb.202:                              ;   in Loop: Header=BB19_14 Depth=1
	v_add_u32_e32 v3, s72, v157
	v_cmp_gt_i32_e32 vcc, s20, v3
	s_and_b64 s[8:9], vcc, s[14:15]
	v_mov_b32_e32 v2, 0x47
	s_and_saveexec_b64 s[18:19], s[8:9]
	s_cbranch_execz .LBB19_204
; %bb.203:                              ;   in Loop: Header=BB19_14 Depth=1
	v_mad_u64_u32 v[2:3], s[8:9], v3, s21, v[96:97]
	v_add_u32_e32 v8, 0, v158
	v_add_u32_e32 v3, v177, v158
	ds_read2_b32 v[4:5], v8 offset0:56 offset1:57
	ds_read2st64_b32 v[6:7], v3 offset1:15
	ds_read_b32 v8, v8 offset:4064
	v_mad_u64_u32 v[2:3], s[8:9], v2, 56, v[38:39]
	v_ashrrev_i32_e32 v3, 31, v2
	s_waitcnt lgkmcnt(1)
	v_cvt_f32_f16_e32 v10, v6
	v_cvt_f32_f16_sdwa v11, v6 dst_sel:DWORD dst_unused:UNUSED_PAD src0_sel:WORD_1
	v_cvt_f32_f16_e32 v6, v7
	v_cvt_f32_f16_sdwa v7, v7 dst_sel:DWORD dst_unused:UNUSED_PAD src0_sel:WORD_1
	v_lshl_add_u64 v[2:3], v[2:3], 3, s[80:81]
	v_pk_fma_f32 v[10:11], v[4:5], v[10:11], 0 op_sel_hi:[0,1,0]
	s_waitcnt lgkmcnt(0)
	v_pk_fma_f32 v[6:7], v[8:9], v[6:7], v[10:11] op_sel_hi:[0,1,1]
	v_div_scale_f32 v4, s[8:9], v5, v5, v7
	v_rcp_f32_e32 v8, v4
	s_nop 0
	v_fma_f32 v9, -v4, v8, 1.0
	v_fmac_f32_e32 v8, v9, v8
	v_div_scale_f32 v9, vcc, v7, v5, v7
	v_mul_f32_e32 v10, v9, v8
	v_fma_f32 v11, -v4, v10, v9
	v_fmac_f32_e32 v10, v11, v8
	v_fma_f32 v4, -v4, v10, v9
	v_div_fmas_f32 v4, v4, v8, v10
	v_div_fixup_f32 v7, v4, v5, v7
	v_div_scale_f32 v4, s[8:9], v5, v5, v6
	v_rcp_f32_e32 v8, v4
	s_nop 0
	v_fma_f32 v9, -v4, v8, 1.0
	v_fmac_f32_e32 v8, v9, v8
	v_div_scale_f32 v9, vcc, v6, v5, v6
	v_mul_f32_e32 v10, v9, v8
	v_fma_f32 v11, -v4, v10, v9
	v_fmac_f32_e32 v10, v11, v8
	v_fma_f32 v4, -v4, v10, v9
	v_div_fmas_f32 v4, v4, v8, v10
	v_div_fixup_f32 v6, v4, v5, v6
	global_store_dwordx2 v[2:3], v[6:7], off
	v_mov_b32_e32 v2, 0
.LBB19_204:                             ;   in Loop: Header=BB19_14 Depth=1
	s_or_b64 exec, exec, s[18:19]
	v_cmp_gt_i32_e32 vcc, s66, v2
	s_mov_b64 s[18:19], -1
	s_and_saveexec_b64 s[62:63], vcc
; %bb.205:                              ;   in Loop: Header=BB19_14 Depth=1
	v_cmp_eq_u32_e32 vcc, 0, v2
	s_orn2_b64 s[18:19], vcc, exec
; %bb.206:                              ;   in Loop: Header=BB19_14 Depth=1
	s_or_b64 exec, exec, s[62:63]
	s_and_b64 exec, exec, s[18:19]
	s_cbranch_execz .LBB19_229
; %bb.207:                              ;   in Loop: Header=BB19_14 Depth=1
	v_add_u32_e32 v3, s72, v186
	v_or_b32_e32 v2, s10, v100
	v_cmp_gt_i32_e32 vcc, s20, v3
	v_cmp_gt_i32_e64 s[18:19], s3, v2
	s_and_b64 s[8:9], vcc, s[18:19]
	v_mov_b32_e32 v2, 0x47
	s_and_saveexec_b64 s[18:19], s[8:9]
	s_cbranch_execz .LBB19_209
; %bb.208:                              ;   in Loop: Header=BB19_14 Depth=1
	v_mad_u64_u32 v[2:3], s[8:9], v3, s21, v[100:101]
	v_add_u32_e32 v8, 0, v159
	v_add_u32_e32 v3, v177, v159
	ds_read2_b32 v[4:5], v8 offset0:56 offset1:57
	ds_read2st64_b32 v[6:7], v3 offset1:15
	ds_read_b32 v8, v8 offset:4064
	v_mad_u64_u32 v[2:3], s[8:9], v2, 56, v[38:39]
	v_ashrrev_i32_e32 v3, 31, v2
	s_waitcnt lgkmcnt(1)
	v_cvt_f32_f16_e32 v10, v6
	v_cvt_f32_f16_sdwa v11, v6 dst_sel:DWORD dst_unused:UNUSED_PAD src0_sel:WORD_1
	v_cvt_f32_f16_e32 v6, v7
	v_cvt_f32_f16_sdwa v7, v7 dst_sel:DWORD dst_unused:UNUSED_PAD src0_sel:WORD_1
	v_lshl_add_u64 v[2:3], v[2:3], 3, s[80:81]
	v_pk_fma_f32 v[10:11], v[4:5], v[10:11], 0 op_sel_hi:[0,1,0]
	s_waitcnt lgkmcnt(0)
	v_pk_fma_f32 v[6:7], v[8:9], v[6:7], v[10:11] op_sel_hi:[0,1,1]
	v_div_scale_f32 v4, s[8:9], v5, v5, v7
	v_rcp_f32_e32 v8, v4
	s_nop 0
	v_fma_f32 v9, -v4, v8, 1.0
	v_fmac_f32_e32 v8, v9, v8
	v_div_scale_f32 v9, vcc, v7, v5, v7
	v_mul_f32_e32 v10, v9, v8
	v_fma_f32 v11, -v4, v10, v9
	v_fmac_f32_e32 v10, v11, v8
	v_fma_f32 v4, -v4, v10, v9
	v_div_fmas_f32 v4, v4, v8, v10
	v_div_fixup_f32 v7, v4, v5, v7
	v_div_scale_f32 v4, s[8:9], v5, v5, v6
	v_rcp_f32_e32 v8, v4
	s_nop 0
	v_fma_f32 v9, -v4, v8, 1.0
	v_fmac_f32_e32 v8, v9, v8
	v_div_scale_f32 v9, vcc, v6, v5, v6
	v_mul_f32_e32 v10, v9, v8
	v_fma_f32 v11, -v4, v10, v9
	v_fmac_f32_e32 v10, v11, v8
	v_fma_f32 v4, -v4, v10, v9
	v_div_fmas_f32 v4, v4, v8, v10
	v_div_fixup_f32 v6, v4, v5, v6
	global_store_dwordx2 v[2:3], v[6:7], off
	v_mov_b32_e32 v2, 0
.LBB19_209:                             ;   in Loop: Header=BB19_14 Depth=1
	s_or_b64 exec, exec, s[18:19]
	v_cmp_gt_i32_e32 vcc, s66, v2
	s_mov_b64 s[18:19], -1
	s_and_saveexec_b64 s[62:63], vcc
; %bb.210:                              ;   in Loop: Header=BB19_14 Depth=1
	v_cmp_eq_u32_e32 vcc, 0, v2
	s_orn2_b64 s[18:19], vcc, exec
; %bb.211:                              ;   in Loop: Header=BB19_14 Depth=1
	s_or_b64 exec, exec, s[62:63]
	s_and_b64 exec, exec, s[18:19]
	s_cbranch_execz .LBB19_229
; %bb.212:                              ;   in Loop: Header=BB19_14 Depth=1
	v_add_u32_e32 v3, s72, v160
	v_cmp_gt_i32_e32 vcc, s20, v3
	s_and_b64 s[8:9], vcc, s[14:15]
	v_mov_b32_e32 v2, 0x47
	s_and_saveexec_b64 s[18:19], s[8:9]
	s_cbranch_execz .LBB19_214
; %bb.213:                              ;   in Loop: Header=BB19_14 Depth=1
	v_mad_u64_u32 v[2:3], s[8:9], v3, s21, v[96:97]
	v_add_u32_e32 v8, 0, v161
	v_add_u32_e32 v3, v177, v161
	ds_read2_b32 v[4:5], v8 offset0:56 offset1:57
	ds_read2st64_b32 v[6:7], v3 offset1:15
	ds_read_b32 v8, v8 offset:4064
	v_mad_u64_u32 v[2:3], s[8:9], v2, 56, v[38:39]
	v_ashrrev_i32_e32 v3, 31, v2
	s_waitcnt lgkmcnt(1)
	v_cvt_f32_f16_e32 v10, v6
	v_cvt_f32_f16_sdwa v11, v6 dst_sel:DWORD dst_unused:UNUSED_PAD src0_sel:WORD_1
	v_cvt_f32_f16_e32 v6, v7
	v_cvt_f32_f16_sdwa v7, v7 dst_sel:DWORD dst_unused:UNUSED_PAD src0_sel:WORD_1
	v_lshl_add_u64 v[2:3], v[2:3], 3, s[80:81]
	v_pk_fma_f32 v[10:11], v[4:5], v[10:11], 0 op_sel_hi:[0,1,0]
	s_waitcnt lgkmcnt(0)
	v_pk_fma_f32 v[6:7], v[8:9], v[6:7], v[10:11] op_sel_hi:[0,1,1]
	v_div_scale_f32 v4, s[8:9], v5, v5, v7
	v_rcp_f32_e32 v8, v4
	s_nop 0
	v_fma_f32 v9, -v4, v8, 1.0
	v_fmac_f32_e32 v8, v9, v8
	v_div_scale_f32 v9, vcc, v7, v5, v7
	v_mul_f32_e32 v10, v9, v8
	v_fma_f32 v11, -v4, v10, v9
	v_fmac_f32_e32 v10, v11, v8
	v_fma_f32 v4, -v4, v10, v9
	v_div_fmas_f32 v4, v4, v8, v10
	v_div_fixup_f32 v7, v4, v5, v7
	v_div_scale_f32 v4, s[8:9], v5, v5, v6
	v_rcp_f32_e32 v8, v4
	s_nop 0
	v_fma_f32 v9, -v4, v8, 1.0
	v_fmac_f32_e32 v8, v9, v8
	v_div_scale_f32 v9, vcc, v6, v5, v6
	v_mul_f32_e32 v10, v9, v8
	v_fma_f32 v11, -v4, v10, v9
	v_fmac_f32_e32 v10, v11, v8
	v_fma_f32 v4, -v4, v10, v9
	v_div_fmas_f32 v4, v4, v8, v10
	v_div_fixup_f32 v6, v4, v5, v6
	global_store_dwordx2 v[2:3], v[6:7], off
	v_mov_b32_e32 v2, 0
.LBB19_214:                             ;   in Loop: Header=BB19_14 Depth=1
	s_or_b64 exec, exec, s[18:19]
	v_cmp_gt_i32_e32 vcc, s66, v2
	s_mov_b64 s[18:19], -1
	s_and_saveexec_b64 s[62:63], vcc
; %bb.215:                              ;   in Loop: Header=BB19_14 Depth=1
	v_cmp_eq_u32_e32 vcc, 0, v2
	s_orn2_b64 s[18:19], vcc, exec
; %bb.216:                              ;   in Loop: Header=BB19_14 Depth=1
	s_or_b64 exec, exec, s[62:63]
	s_and_b64 exec, exec, s[18:19]
	s_cbranch_execz .LBB19_229
; %bb.217:                              ;   in Loop: Header=BB19_14 Depth=1
	v_add_u32_e32 v3, s72, v187
	v_or_b32_e32 v2, s10, v102
	v_cmp_gt_i32_e32 vcc, s20, v3
	v_cmp_gt_i32_e64 s[18:19], s3, v2
	s_and_b64 s[8:9], vcc, s[18:19]
	v_mov_b32_e32 v2, 0x47
	s_and_saveexec_b64 s[18:19], s[8:9]
	s_cbranch_execz .LBB19_219
; %bb.218:                              ;   in Loop: Header=BB19_14 Depth=1
	v_mad_u64_u32 v[2:3], s[8:9], v3, s21, v[102:103]
	v_add_u32_e32 v8, 0, v162
	v_add_u32_e32 v3, v177, v162
	ds_read2_b32 v[4:5], v8 offset0:56 offset1:57
	ds_read2st64_b32 v[6:7], v3 offset1:15
	ds_read_b32 v8, v8 offset:4064
	v_mad_u64_u32 v[2:3], s[8:9], v2, 56, v[38:39]
	v_ashrrev_i32_e32 v3, 31, v2
	s_waitcnt lgkmcnt(1)
	v_cvt_f32_f16_e32 v10, v6
	v_cvt_f32_f16_sdwa v11, v6 dst_sel:DWORD dst_unused:UNUSED_PAD src0_sel:WORD_1
	v_cvt_f32_f16_e32 v6, v7
	v_cvt_f32_f16_sdwa v7, v7 dst_sel:DWORD dst_unused:UNUSED_PAD src0_sel:WORD_1
	v_lshl_add_u64 v[2:3], v[2:3], 3, s[80:81]
	v_pk_fma_f32 v[10:11], v[4:5], v[10:11], 0 op_sel_hi:[0,1,0]
	s_waitcnt lgkmcnt(0)
	v_pk_fma_f32 v[6:7], v[8:9], v[6:7], v[10:11] op_sel_hi:[0,1,1]
	v_div_scale_f32 v4, s[8:9], v5, v5, v7
	v_rcp_f32_e32 v8, v4
	s_nop 0
	v_fma_f32 v9, -v4, v8, 1.0
	v_fmac_f32_e32 v8, v9, v8
	v_div_scale_f32 v9, vcc, v7, v5, v7
	v_mul_f32_e32 v10, v9, v8
	v_fma_f32 v11, -v4, v10, v9
	v_fmac_f32_e32 v10, v11, v8
	v_fma_f32 v4, -v4, v10, v9
	v_div_fmas_f32 v4, v4, v8, v10
	v_div_fixup_f32 v7, v4, v5, v7
	v_div_scale_f32 v4, s[8:9], v5, v5, v6
	v_rcp_f32_e32 v8, v4
	s_nop 0
	v_fma_f32 v9, -v4, v8, 1.0
	v_fmac_f32_e32 v8, v9, v8
	v_div_scale_f32 v9, vcc, v6, v5, v6
	v_mul_f32_e32 v10, v9, v8
	v_fma_f32 v11, -v4, v10, v9
	v_fmac_f32_e32 v10, v11, v8
	v_fma_f32 v4, -v4, v10, v9
	v_div_fmas_f32 v4, v4, v8, v10
	v_div_fixup_f32 v6, v4, v5, v6
	global_store_dwordx2 v[2:3], v[6:7], off
	v_mov_b32_e32 v2, 0
.LBB19_219:                             ;   in Loop: Header=BB19_14 Depth=1
	s_or_b64 exec, exec, s[18:19]
	v_cmp_gt_i32_e32 vcc, s66, v2
	s_mov_b64 s[18:19], -1
	s_and_saveexec_b64 s[62:63], vcc
; %bb.220:                              ;   in Loop: Header=BB19_14 Depth=1
	v_cmp_eq_u32_e32 vcc, 0, v2
	s_orn2_b64 s[18:19], vcc, exec
; %bb.221:                              ;   in Loop: Header=BB19_14 Depth=1
	s_or_b64 exec, exec, s[62:63]
	s_and_b64 exec, exec, s[18:19]
	s_cbranch_execz .LBB19_229
; %bb.222:                              ;   in Loop: Header=BB19_14 Depth=1
	v_add_u32_e32 v3, s72, v163
	v_cmp_gt_i32_e32 vcc, s20, v3
	s_and_b64 s[8:9], vcc, s[14:15]
	v_mov_b32_e32 v2, 0x47
	s_and_saveexec_b64 s[14:15], s[8:9]
	s_cbranch_execz .LBB19_224
; %bb.223:                              ;   in Loop: Header=BB19_14 Depth=1
	v_mad_u64_u32 v[2:3], s[8:9], v3, s21, v[96:97]
	v_add_u32_e32 v8, 0, v164
	v_add_u32_e32 v3, v177, v164
	ds_read2_b32 v[4:5], v8 offset0:56 offset1:57
	ds_read2st64_b32 v[6:7], v3 offset1:15
	ds_read_b32 v8, v8 offset:4064
	v_mad_u64_u32 v[2:3], s[8:9], v2, 56, v[38:39]
	v_ashrrev_i32_e32 v3, 31, v2
	s_waitcnt lgkmcnt(1)
	v_cvt_f32_f16_e32 v10, v6
	v_cvt_f32_f16_sdwa v11, v6 dst_sel:DWORD dst_unused:UNUSED_PAD src0_sel:WORD_1
	v_cvt_f32_f16_e32 v6, v7
	v_cvt_f32_f16_sdwa v7, v7 dst_sel:DWORD dst_unused:UNUSED_PAD src0_sel:WORD_1
	v_lshl_add_u64 v[2:3], v[2:3], 3, s[80:81]
	v_pk_fma_f32 v[10:11], v[4:5], v[10:11], 0 op_sel_hi:[0,1,0]
	s_waitcnt lgkmcnt(0)
	v_pk_fma_f32 v[6:7], v[8:9], v[6:7], v[10:11] op_sel_hi:[0,1,1]
	v_div_scale_f32 v4, s[8:9], v5, v5, v7
	v_rcp_f32_e32 v8, v4
	s_nop 0
	v_fma_f32 v9, -v4, v8, 1.0
	v_fmac_f32_e32 v8, v9, v8
	v_div_scale_f32 v9, vcc, v7, v5, v7
	v_mul_f32_e32 v10, v9, v8
	v_fma_f32 v11, -v4, v10, v9
	v_fmac_f32_e32 v10, v11, v8
	v_fma_f32 v4, -v4, v10, v9
	v_div_fmas_f32 v4, v4, v8, v10
	v_div_fixup_f32 v7, v4, v5, v7
	v_div_scale_f32 v4, s[8:9], v5, v5, v6
	v_rcp_f32_e32 v8, v4
	s_nop 0
	v_fma_f32 v9, -v4, v8, 1.0
	v_fmac_f32_e32 v8, v9, v8
	v_div_scale_f32 v9, vcc, v6, v5, v6
	v_mul_f32_e32 v10, v9, v8
	v_fma_f32 v11, -v4, v10, v9
	v_fmac_f32_e32 v10, v11, v8
	v_fma_f32 v4, -v4, v10, v9
	v_div_fmas_f32 v4, v4, v8, v10
	v_div_fixup_f32 v6, v4, v5, v6
	global_store_dwordx2 v[2:3], v[6:7], off
	v_mov_b32_e32 v2, 0
.LBB19_224:                             ;   in Loop: Header=BB19_14 Depth=1
	s_or_b64 exec, exec, s[14:15]
	v_cmp_gt_i32_e32 vcc, s66, v2
	s_mov_b64 s[14:15], -1
	s_and_saveexec_b64 s[18:19], vcc
; %bb.225:                              ;   in Loop: Header=BB19_14 Depth=1
	v_cmp_eq_u32_e32 vcc, 0, v2
	s_orn2_b64 s[14:15], vcc, exec
; %bb.226:                              ;   in Loop: Header=BB19_14 Depth=1
	s_or_b64 exec, exec, s[18:19]
	s_and_b64 exec, exec, s[14:15]
	s_cbranch_execz .LBB19_229
; %bb.227:                              ;   in Loop: Header=BB19_14 Depth=1
	v_add_u32_e32 v2, s72, v188
	v_or_b32_e32 v3, s10, v104
	v_cmp_gt_i32_e32 vcc, s20, v2
	v_cmp_gt_i32_e64 s[14:15], s3, v3
	s_and_b64 s[8:9], vcc, s[14:15]
	s_and_b64 exec, exec, s[8:9]
	s_cbranch_execz .LBB19_229
; %bb.228:                              ;   in Loop: Header=BB19_14 Depth=1
	v_mad_u64_u32 v[2:3], s[8:9], v2, s21, v[104:105]
	v_add_u32_e32 v8, 0, v165
	v_add_u32_e32 v3, v177, v165
	ds_read2_b32 v[4:5], v8 offset0:56 offset1:57
	ds_read2st64_b32 v[6:7], v3 offset1:15
	ds_read_b32 v8, v8 offset:4064
	v_mad_u64_u32 v[2:3], s[8:9], v2, 56, v[38:39]
	v_ashrrev_i32_e32 v3, 31, v2
	s_waitcnt lgkmcnt(1)
	v_cvt_f32_f16_e32 v10, v6
	v_cvt_f32_f16_sdwa v11, v6 dst_sel:DWORD dst_unused:UNUSED_PAD src0_sel:WORD_1
	v_cvt_f32_f16_e32 v6, v7
	v_cvt_f32_f16_sdwa v7, v7 dst_sel:DWORD dst_unused:UNUSED_PAD src0_sel:WORD_1
	v_lshl_add_u64 v[2:3], v[2:3], 3, s[80:81]
	v_pk_fma_f32 v[10:11], v[4:5], v[10:11], 0 op_sel_hi:[0,1,0]
	s_waitcnt lgkmcnt(0)
	v_pk_fma_f32 v[6:7], v[8:9], v[6:7], v[10:11] op_sel_hi:[0,1,1]
	v_div_scale_f32 v4, s[8:9], v5, v5, v7
	v_rcp_f32_e32 v8, v4
	s_nop 0
	v_fma_f32 v9, -v4, v8, 1.0
	v_fmac_f32_e32 v8, v9, v8
	v_div_scale_f32 v9, vcc, v7, v5, v7
	v_mul_f32_e32 v10, v9, v8
	v_fma_f32 v11, -v4, v10, v9
	v_fmac_f32_e32 v10, v11, v8
	v_fma_f32 v4, -v4, v10, v9
	v_div_fmas_f32 v4, v4, v8, v10
	v_div_fixup_f32 v7, v4, v5, v7
	v_div_scale_f32 v4, s[8:9], v5, v5, v6
	v_rcp_f32_e32 v8, v4
	s_nop 0
	v_fma_f32 v9, -v4, v8, 1.0
	v_fmac_f32_e32 v8, v9, v8
	v_div_scale_f32 v9, vcc, v6, v5, v6
	v_mul_f32_e32 v10, v9, v8
	v_fma_f32 v11, -v4, v10, v9
	v_fmac_f32_e32 v10, v11, v8
	v_fma_f32 v4, -v4, v10, v9
	v_div_fmas_f32 v4, v4, v8, v10
	v_div_fixup_f32 v6, v4, v5, v6
	global_store_dwordx2 v[2:3], v[6:7], off
.LBB19_229:                             ;   in Loop: Header=BB19_14 Depth=1
	s_or_b64 exec, exec, s[84:85]
	v_add_u32_e32 v3, s72, v189
	v_or_b32_e32 v2, s10, v106
	v_cmp_gt_i32_e32 vcc, s20, v3
	v_cmp_gt_i32_e64 s[14:15], s3, v2
	s_and_b64 s[8:9], vcc, s[14:15]
	v_mov_b32_e32 v2, 0x47
	s_and_saveexec_b64 s[18:19], s[8:9]
	s_cbranch_execz .LBB19_231
; %bb.230:                              ;   in Loop: Header=BB19_14 Depth=1
	v_mad_u64_u32 v[2:3], s[8:9], v3, s21, v[106:107]
	v_add_u32_e32 v3, v149, v166
	v_add_u32_e32 v8, 0, v166
	;; [unrolled: 1-line block ×3, first 2 shown]
	ds_read2_b32 v[4:5], v8 offset0:56 offset1:57
	ds_read2st64_b32 v[6:7], v3 offset1:15
	ds_read_b32 v8, v8 offset:4064
	v_mul_lo_u32 v2, v2, 56
	v_ashrrev_i32_e32 v3, 31, v2
	v_lshl_add_u64 v[2:3], v[2:3], 0, v[40:41]
	s_waitcnt lgkmcnt(1)
	v_cvt_f32_f16_e32 v10, v6
	v_cvt_f32_f16_sdwa v11, v6 dst_sel:DWORD dst_unused:UNUSED_PAD src0_sel:WORD_1
	v_cvt_f32_f16_e32 v6, v7
	v_cvt_f32_f16_sdwa v7, v7 dst_sel:DWORD dst_unused:UNUSED_PAD src0_sel:WORD_1
	v_lshl_add_u64 v[2:3], v[2:3], 3, s[80:81]
	v_pk_fma_f32 v[10:11], v[4:5], v[10:11], 0 op_sel_hi:[0,1,0]
	s_waitcnt lgkmcnt(0)
	v_pk_fma_f32 v[6:7], v[8:9], v[6:7], v[10:11] op_sel_hi:[0,1,1]
	v_div_scale_f32 v4, s[8:9], v5, v5, v7
	v_rcp_f32_e32 v8, v4
	s_nop 0
	v_fma_f32 v9, -v4, v8, 1.0
	v_fmac_f32_e32 v8, v9, v8
	v_div_scale_f32 v9, vcc, v7, v5, v7
	v_mul_f32_e32 v10, v9, v8
	v_fma_f32 v11, -v4, v10, v9
	v_fmac_f32_e32 v10, v11, v8
	v_fma_f32 v4, -v4, v10, v9
	v_div_fmas_f32 v4, v4, v8, v10
	v_div_fixup_f32 v7, v4, v5, v7
	v_div_scale_f32 v4, s[8:9], v5, v5, v6
	v_rcp_f32_e32 v8, v4
	s_nop 0
	v_fma_f32 v9, -v4, v8, 1.0
	v_fmac_f32_e32 v8, v9, v8
	v_div_scale_f32 v9, vcc, v6, v5, v6
	v_mul_f32_e32 v10, v9, v8
	v_fma_f32 v11, -v4, v10, v9
	v_fmac_f32_e32 v10, v11, v8
	v_fma_f32 v4, -v4, v10, v9
	v_div_fmas_f32 v4, v4, v8, v10
	v_div_fixup_f32 v6, v4, v5, v6
	global_store_dwordx2 v[2:3], v[6:7], off offset:256
	v_mov_b32_e32 v2, 0
.LBB19_231:                             ;   in Loop: Header=BB19_14 Depth=1
	s_or_b64 exec, exec, s[18:19]
	v_cmp_gt_i32_e32 vcc, s66, v2
	s_mov_b64 s[62:63], -1
	s_and_saveexec_b64 s[18:19], vcc
; %bb.232:                              ;   in Loop: Header=BB19_14 Depth=1
	v_cmp_eq_u32_e32 vcc, 0, v2
	s_orn2_b64 s[62:63], vcc, exec
; %bb.233:                              ;   in Loop: Header=BB19_14 Depth=1
	s_or_b64 exec, exec, s[18:19]
	s_and_saveexec_b64 s[18:19], s[62:63]
	s_cbranch_execz .LBB19_246
; %bb.234:                              ;   in Loop: Header=BB19_14 Depth=1
	v_add_u32_e32 v3, s72, v167
	v_cmp_gt_i32_e32 vcc, s20, v3
	s_and_b64 s[8:9], vcc, s[14:15]
	v_mov_b32_e32 v2, 0x47
	s_and_saveexec_b64 s[62:63], s[8:9]
	s_cbranch_execz .LBB19_236
; %bb.235:                              ;   in Loop: Header=BB19_14 Depth=1
	v_mad_u64_u32 v[2:3], s[8:9], v3, s21, v[106:107]
	v_add_u32_e32 v3, v149, v168
	v_add_u32_e32 v8, 0, v168
	;; [unrolled: 1-line block ×3, first 2 shown]
	ds_read2_b32 v[4:5], v8 offset0:56 offset1:57
	ds_read2st64_b32 v[6:7], v3 offset1:15
	ds_read_b32 v8, v8 offset:4064
	v_mul_lo_u32 v2, v2, 56
	v_ashrrev_i32_e32 v3, 31, v2
	v_lshl_add_u64 v[2:3], v[2:3], 0, v[40:41]
	s_waitcnt lgkmcnt(1)
	v_cvt_f32_f16_e32 v10, v6
	v_cvt_f32_f16_sdwa v11, v6 dst_sel:DWORD dst_unused:UNUSED_PAD src0_sel:WORD_1
	v_cvt_f32_f16_e32 v6, v7
	v_cvt_f32_f16_sdwa v7, v7 dst_sel:DWORD dst_unused:UNUSED_PAD src0_sel:WORD_1
	v_lshl_add_u64 v[2:3], v[2:3], 3, s[80:81]
	v_pk_fma_f32 v[10:11], v[4:5], v[10:11], 0 op_sel_hi:[0,1,0]
	s_waitcnt lgkmcnt(0)
	v_pk_fma_f32 v[6:7], v[8:9], v[6:7], v[10:11] op_sel_hi:[0,1,1]
	v_div_scale_f32 v4, s[8:9], v5, v5, v7
	v_rcp_f32_e32 v8, v4
	s_nop 0
	v_fma_f32 v9, -v4, v8, 1.0
	v_fmac_f32_e32 v8, v9, v8
	v_div_scale_f32 v9, vcc, v7, v5, v7
	v_mul_f32_e32 v10, v9, v8
	v_fma_f32 v11, -v4, v10, v9
	v_fmac_f32_e32 v10, v11, v8
	v_fma_f32 v4, -v4, v10, v9
	v_div_fmas_f32 v4, v4, v8, v10
	v_div_fixup_f32 v7, v4, v5, v7
	v_div_scale_f32 v4, s[8:9], v5, v5, v6
	v_rcp_f32_e32 v8, v4
	s_nop 0
	v_fma_f32 v9, -v4, v8, 1.0
	v_fmac_f32_e32 v8, v9, v8
	v_div_scale_f32 v9, vcc, v6, v5, v6
	v_mul_f32_e32 v10, v9, v8
	v_fma_f32 v11, -v4, v10, v9
	v_fmac_f32_e32 v10, v11, v8
	v_fma_f32 v4, -v4, v10, v9
	v_div_fmas_f32 v4, v4, v8, v10
	v_div_fixup_f32 v6, v4, v5, v6
	global_store_dwordx2 v[2:3], v[6:7], off offset:256
	v_mov_b32_e32 v2, 0
.LBB19_236:                             ;   in Loop: Header=BB19_14 Depth=1
	s_or_b64 exec, exec, s[62:63]
	v_cmp_gt_i32_e32 vcc, s66, v2
	s_mov_b64 s[62:63], -1
	s_and_saveexec_b64 s[84:85], vcc
; %bb.237:                              ;   in Loop: Header=BB19_14 Depth=1
	v_cmp_eq_u32_e32 vcc, 0, v2
	s_orn2_b64 s[62:63], vcc, exec
; %bb.238:                              ;   in Loop: Header=BB19_14 Depth=1
	s_or_b64 exec, exec, s[84:85]
	s_and_b64 exec, exec, s[62:63]
	s_cbranch_execz .LBB19_246
; %bb.239:                              ;   in Loop: Header=BB19_14 Depth=1
	v_add_u32_e32 v3, s72, v169
	v_cmp_gt_i32_e32 vcc, s20, v3
	s_and_b64 s[8:9], vcc, s[14:15]
	v_mov_b32_e32 v2, 0x47
	s_and_saveexec_b64 s[62:63], s[8:9]
	s_cbranch_execz .LBB19_241
; %bb.240:                              ;   in Loop: Header=BB19_14 Depth=1
	v_mad_u64_u32 v[2:3], s[8:9], v3, s21, v[106:107]
	v_add_u32_e32 v3, v149, v170
	v_add_u32_e32 v8, 0, v170
	;; [unrolled: 1-line block ×3, first 2 shown]
	ds_read2_b32 v[4:5], v8 offset0:56 offset1:57
	ds_read2st64_b32 v[6:7], v3 offset1:15
	ds_read_b32 v8, v8 offset:4064
	v_mul_lo_u32 v2, v2, 56
	v_ashrrev_i32_e32 v3, 31, v2
	v_lshl_add_u64 v[2:3], v[2:3], 0, v[40:41]
	s_waitcnt lgkmcnt(1)
	v_cvt_f32_f16_e32 v10, v6
	v_cvt_f32_f16_sdwa v11, v6 dst_sel:DWORD dst_unused:UNUSED_PAD src0_sel:WORD_1
	v_cvt_f32_f16_e32 v6, v7
	v_cvt_f32_f16_sdwa v7, v7 dst_sel:DWORD dst_unused:UNUSED_PAD src0_sel:WORD_1
	v_lshl_add_u64 v[2:3], v[2:3], 3, s[80:81]
	v_pk_fma_f32 v[10:11], v[4:5], v[10:11], 0 op_sel_hi:[0,1,0]
	s_waitcnt lgkmcnt(0)
	v_pk_fma_f32 v[6:7], v[8:9], v[6:7], v[10:11] op_sel_hi:[0,1,1]
	v_div_scale_f32 v4, s[8:9], v5, v5, v7
	v_rcp_f32_e32 v8, v4
	s_nop 0
	v_fma_f32 v9, -v4, v8, 1.0
	v_fmac_f32_e32 v8, v9, v8
	v_div_scale_f32 v9, vcc, v7, v5, v7
	v_mul_f32_e32 v10, v9, v8
	v_fma_f32 v11, -v4, v10, v9
	v_fmac_f32_e32 v10, v11, v8
	v_fma_f32 v4, -v4, v10, v9
	v_div_fmas_f32 v4, v4, v8, v10
	v_div_fixup_f32 v7, v4, v5, v7
	v_div_scale_f32 v4, s[8:9], v5, v5, v6
	v_rcp_f32_e32 v8, v4
	s_nop 0
	v_fma_f32 v9, -v4, v8, 1.0
	v_fmac_f32_e32 v8, v9, v8
	v_div_scale_f32 v9, vcc, v6, v5, v6
	v_mul_f32_e32 v10, v9, v8
	v_fma_f32 v11, -v4, v10, v9
	v_fmac_f32_e32 v10, v11, v8
	v_fma_f32 v4, -v4, v10, v9
	v_div_fmas_f32 v4, v4, v8, v10
	v_div_fixup_f32 v6, v4, v5, v6
	global_store_dwordx2 v[2:3], v[6:7], off offset:256
	v_mov_b32_e32 v2, 0
.LBB19_241:                             ;   in Loop: Header=BB19_14 Depth=1
	s_or_b64 exec, exec, s[62:63]
	v_cmp_gt_i32_e32 vcc, s66, v2
	s_mov_b64 s[62:63], -1
	s_and_saveexec_b64 s[84:85], vcc
; %bb.242:                              ;   in Loop: Header=BB19_14 Depth=1
	v_cmp_eq_u32_e32 vcc, 0, v2
	s_orn2_b64 s[62:63], vcc, exec
; %bb.243:                              ;   in Loop: Header=BB19_14 Depth=1
	s_or_b64 exec, exec, s[84:85]
	s_and_b64 exec, exec, s[62:63]
	s_cbranch_execz .LBB19_246
; %bb.244:                              ;   in Loop: Header=BB19_14 Depth=1
	v_add_u32_e32 v2, s72, v171
	v_cmp_gt_i32_e32 vcc, s20, v2
	s_and_b64 s[8:9], vcc, s[14:15]
	s_and_b64 exec, exec, s[8:9]
	s_cbranch_execz .LBB19_246
; %bb.245:                              ;   in Loop: Header=BB19_14 Depth=1
	v_mad_u64_u32 v[2:3], s[8:9], v2, s21, v[106:107]
	v_add_u32_e32 v3, v149, v172
	v_add_u32_e32 v8, 0, v172
	;; [unrolled: 1-line block ×3, first 2 shown]
	ds_read2_b32 v[4:5], v8 offset0:56 offset1:57
	ds_read2st64_b32 v[6:7], v3 offset1:15
	ds_read_b32 v8, v8 offset:4064
	v_mul_lo_u32 v2, v2, 56
	v_ashrrev_i32_e32 v3, 31, v2
	v_lshl_add_u64 v[2:3], v[2:3], 0, v[40:41]
	s_waitcnt lgkmcnt(1)
	v_cvt_f32_f16_e32 v10, v6
	v_cvt_f32_f16_sdwa v11, v6 dst_sel:DWORD dst_unused:UNUSED_PAD src0_sel:WORD_1
	v_cvt_f32_f16_e32 v6, v7
	v_cvt_f32_f16_sdwa v7, v7 dst_sel:DWORD dst_unused:UNUSED_PAD src0_sel:WORD_1
	v_lshl_add_u64 v[2:3], v[2:3], 3, s[80:81]
	v_pk_fma_f32 v[10:11], v[4:5], v[10:11], 0 op_sel_hi:[0,1,0]
	s_waitcnt lgkmcnt(0)
	v_pk_fma_f32 v[6:7], v[8:9], v[6:7], v[10:11] op_sel_hi:[0,1,1]
	v_div_scale_f32 v4, s[8:9], v5, v5, v7
	v_rcp_f32_e32 v8, v4
	s_nop 0
	v_fma_f32 v9, -v4, v8, 1.0
	v_fmac_f32_e32 v8, v9, v8
	v_div_scale_f32 v9, vcc, v7, v5, v7
	v_mul_f32_e32 v10, v9, v8
	v_fma_f32 v11, -v4, v10, v9
	v_fmac_f32_e32 v10, v11, v8
	v_fma_f32 v4, -v4, v10, v9
	v_div_fmas_f32 v4, v4, v8, v10
	v_div_fixup_f32 v7, v4, v5, v7
	v_div_scale_f32 v4, s[8:9], v5, v5, v6
	v_rcp_f32_e32 v8, v4
	s_nop 0
	v_fma_f32 v9, -v4, v8, 1.0
	v_fmac_f32_e32 v8, v9, v8
	v_div_scale_f32 v9, vcc, v6, v5, v6
	v_mul_f32_e32 v10, v9, v8
	v_fma_f32 v11, -v4, v10, v9
	v_fmac_f32_e32 v10, v11, v8
	v_fma_f32 v4, -v4, v10, v9
	v_div_fmas_f32 v4, v4, v8, v10
	v_div_fixup_f32 v6, v4, v5, v6
	global_store_dwordx2 v[2:3], v[6:7], off offset:256
.LBB19_246:                             ;   in Loop: Header=BB19_14 Depth=1
	s_or_b64 exec, exec, s[18:19]
	v_add_u32_e32 v3, s72, v173
	v_cmp_gt_i32_e32 vcc, s20, v3
	s_and_b64 s[8:9], vcc, s[12:13]
	v_mov_b32_e32 v2, 0x47
	s_and_saveexec_b64 s[14:15], s[8:9]
	s_cbranch_execz .LBB19_248
; %bb.247:                              ;   in Loop: Header=BB19_14 Depth=1
	v_mad_u64_u32 v[2:3], s[8:9], v3, s21, v[92:93]
	v_mul_lo_u32 v7, v2, 56
	v_add_u32_e32 v2, v145, v174
	v_add_u32_e32 v6, 0, v174
	;; [unrolled: 1-line block ×3, first 2 shown]
	ds_read2_b32 v[4:5], v6 offset0:56 offset1:57
	ds_read2st64_b32 v[2:3], v2 offset1:15
	ds_read_b32 v6, v6 offset:4064
	v_ashrrev_i32_e32 v9, 31, v7
	v_or_b32_e32 v8, v7, v54
	v_lshl_add_u64 v[8:9], v[8:9], 3, s[80:81]
	s_waitcnt lgkmcnt(1)
	v_cvt_f32_f16_e32 v10, v2
	v_cvt_f32_f16_sdwa v11, v2 dst_sel:DWORD dst_unused:UNUSED_PAD src0_sel:WORD_1
	v_cvt_f32_f16_e32 v2, v3
	v_cvt_f32_f16_sdwa v3, v3 dst_sel:DWORD dst_unused:UNUSED_PAD src0_sel:WORD_1
	v_pk_fma_f32 v[10:11], v[4:5], v[10:11], 0 op_sel_hi:[0,1,0]
	s_waitcnt lgkmcnt(0)
	v_pk_fma_f32 v[2:3], v[6:7], v[2:3], v[10:11] op_sel_hi:[0,1,1]
	v_div_scale_f32 v4, s[8:9], v5, v5, v3
	v_rcp_f32_e32 v6, v4
	s_nop 0
	v_fma_f32 v7, -v4, v6, 1.0
	v_fmac_f32_e32 v6, v7, v6
	v_div_scale_f32 v7, vcc, v3, v5, v3
	v_mul_f32_e32 v10, v7, v6
	v_fma_f32 v11, -v4, v10, v7
	v_fmac_f32_e32 v10, v11, v6
	v_fma_f32 v4, -v4, v10, v7
	v_div_fmas_f32 v4, v4, v6, v10
	v_div_fixup_f32 v3, v4, v5, v3
	v_div_scale_f32 v4, s[8:9], v5, v5, v2
	v_rcp_f32_e32 v6, v4
	s_nop 0
	v_fma_f32 v7, -v4, v6, 1.0
	v_fmac_f32_e32 v6, v7, v6
	v_div_scale_f32 v7, vcc, v2, v5, v2
	v_mul_f32_e32 v10, v7, v6
	v_fma_f32 v11, -v4, v10, v7
	v_fmac_f32_e32 v10, v11, v6
	v_fma_f32 v4, -v4, v10, v7
	v_div_fmas_f32 v4, v4, v6, v10
	v_div_fixup_f32 v2, v4, v5, v2
	global_store_dwordx2 v[8:9], v[2:3], off offset:384
	v_mov_b32_e32 v2, 0
.LBB19_248:                             ;   in Loop: Header=BB19_14 Depth=1
	s_or_b64 exec, exec, s[14:15]
	v_cmp_gt_i32_e32 vcc, s66, v2
	s_mov_b64 s[14:15], -1
	s_and_saveexec_b64 s[18:19], vcc
; %bb.249:                              ;   in Loop: Header=BB19_14 Depth=1
	v_cmp_eq_u32_e32 vcc, 0, v2
	s_orn2_b64 s[14:15], vcc, exec
; %bb.250:                              ;   in Loop: Header=BB19_14 Depth=1
	s_or_b64 exec, exec, s[18:19]
	s_and_b64 exec, exec, s[14:15]
	s_cbranch_execz .LBB19_12
; %bb.251:                              ;   in Loop: Header=BB19_14 Depth=1
	v_add_u32_e32 v2, s72, v175
	v_cmp_gt_i32_e32 vcc, s20, v2
	s_and_b64 s[8:9], vcc, s[12:13]
	s_and_b64 exec, exec, s[8:9]
	s_cbranch_execz .LBB19_12
; %bb.252:                              ;   in Loop: Header=BB19_14 Depth=1
	v_add_u32_e32 v3, v145, v176
	v_add_u32_e32 v3, 0xc0, v3
	ds_read2st64_b32 v[4:5], v3 offset1:15
	v_add_u32_e32 v3, 0, v176
	ds_read2_b32 v[6:7], v3 offset0:56 offset1:57
	ds_read_b32 v8, v3 offset:4064
	v_mad_u64_u32 v[2:3], s[8:9], v2, s21, v[92:93]
	s_waitcnt lgkmcnt(2)
	v_cvt_f32_f16_e32 v10, v4
	v_cvt_f32_f16_sdwa v11, v4 dst_sel:DWORD dst_unused:UNUSED_PAD src0_sel:WORD_1
	v_cvt_f32_f16_e32 v4, v5
	v_cvt_f32_f16_sdwa v5, v5 dst_sel:DWORD dst_unused:UNUSED_PAD src0_sel:WORD_1
	v_mul_lo_u32 v9, v2, 56
	s_waitcnt lgkmcnt(1)
	v_pk_fma_f32 v[2:3], v[6:7], v[10:11], 0 op_sel_hi:[0,1,0]
	s_waitcnt lgkmcnt(0)
	v_pk_fma_f32 v[2:3], v[8:9], v[4:5], v[2:3] op_sel_hi:[0,1,1]
	v_div_scale_f32 v6, s[8:9], v7, v7, v3
	v_rcp_f32_e32 v8, v6
	v_ashrrev_i32_e32 v5, 31, v9
	v_or_b32_e32 v4, v9, v54
	v_lshl_add_u64 v[4:5], v[4:5], 3, s[80:81]
	v_fma_f32 v9, -v6, v8, 1.0
	v_fmac_f32_e32 v8, v9, v8
	v_div_scale_f32 v9, vcc, v3, v7, v3
	v_mul_f32_e32 v10, v9, v8
	v_fma_f32 v11, -v6, v10, v9
	v_fmac_f32_e32 v10, v11, v8
	v_fma_f32 v6, -v6, v10, v9
	v_div_scale_f32 v9, s[8:9], v7, v7, v2
	v_rcp_f32_e32 v11, v9
	v_div_fmas_f32 v6, v6, v8, v10
	v_div_fixup_f32 v3, v6, v7, v3
	v_fma_f32 v6, -v9, v11, 1.0
	v_fmac_f32_e32 v11, v6, v11
	v_div_scale_f32 v6, vcc, v2, v7, v2
	v_mul_f32_e32 v8, v6, v11
	v_fma_f32 v10, -v9, v8, v6
	v_fmac_f32_e32 v8, v10, v11
	v_fma_f32 v6, -v9, v8, v6
	v_div_fmas_f32 v6, v6, v11, v8
	v_div_fixup_f32 v2, v6, v7, v2
	global_store_dwordx2 v[4:5], v[2:3], off offset:384
	s_branch .LBB19_12
.LBB19_253:
	v_readlane_b32 s33, v204, 16
	v_readlane_b32 s29, v204, 9
	v_readlane_b32 s58, v204, 30
	v_readlane_b32 s18, v204, 34
	v_readlane_b32 s14, v204, 17
	v_readlane_b32 s59, v204, 31
	v_readlane_b32 s15, v204, 18
	s_andn2_b64 vcc, exec, s[12:13]
	s_cbranch_vccnz .LBB19_10
.LBB19_254:
	v_readlane_b32 s7, v204, 3
	s_abs_i32 s0, s7
	v_cvt_f32_u32_e32 v2, s0
	s_sub_i32 s4, 0, s0
	s_abs_i32 s2, s60
	s_xor_b32 s1, s60, s7
	v_rcp_iflag_f32_e32 v2, v2
	s_ashr_i32 s1, s1, 31
	v_readlane_b32 s13, v204, 2
	v_readlane_b32 s12, v204, 1
	v_mul_f32_e32 v2, 0x4f7ffffe, v2
	v_cvt_u32_f32_e32 v2, v2
	v_mov_b32_e32 v12, s9
	v_readfirstlane_b32 s5, v2
	s_mul_i32 s4, s4, s5
	s_mul_hi_u32 s4, s5, s4
	s_add_i32 s5, s5, s4
	s_mul_hi_u32 s4, s2, s5
	s_mul_i32 s5, s4, s0
	s_sub_i32 s2, s2, s5
	s_add_i32 s6, s4, 1
	s_sub_i32 s5, s2, s0
	s_cmp_ge_u32 s2, s0
	s_cselect_b32 s4, s6, s4
	s_cselect_b32 s2, s5, s2
	s_add_i32 s5, s4, 1
	s_cmp_ge_u32 s2, s0
	s_cselect_b32 s0, s5, s4
	s_abs_i32 s2, s13
	v_cvt_f32_u32_e32 v2, s2
	s_xor_b32 s0, s0, s1
	s_sub_i32 s4, 0, s2
	s_sub_i32 s8, s0, s1
	v_rcp_iflag_f32_e32 v2, v2
	s_mul_i32 s0, s8, s7
	s_sub_i32 s0, s60, s0
	s_abs_i32 s5, s0
	v_mul_f32_e32 v2, 0x4f7ffffe, v2
	v_cvt_u32_f32_e32 v2, v2
	s_xor_b32 s1, s0, s13
	s_ashr_i32 s1, s1, 31
	v_readfirstlane_b32 s6, v2
	s_mul_i32 s4, s4, s6
	s_mul_hi_u32 s4, s6, s4
	s_add_i32 s6, s6, s4
	s_mul_hi_u32 s4, s5, s6
	s_mul_i32 s6, s4, s2
	s_sub_i32 s5, s5, s6
	s_add_i32 s7, s4, 1
	s_sub_i32 s6, s5, s2
	s_cmp_ge_u32 s5, s2
	s_cselect_b32 s4, s7, s4
	s_cselect_b32 s5, s6, s5
	s_add_i32 s6, s4, 1
	s_cmp_ge_u32 s5, s2
	s_cselect_b32 s2, s6, s4
	s_abs_i32 s4, s12
	v_cvt_f32_u32_e32 v2, s4
	s_xor_b32 s2, s2, s1
	s_sub_i32 s5, 0, s4
	s_sub_i32 s10, s2, s1
	v_rcp_iflag_f32_e32 v2, v2
	s_mul_i32 s1, s10, s13
	s_sub_i32 s1, s0, s1
	s_abs_i32 s2, s1
	v_mul_f32_e32 v2, 0x4f7ffffe, v2
	v_cvt_u32_f32_e32 v2, v2
	s_xor_b32 s0, s1, s12
	s_ashr_i32 s0, s0, 31
	v_readfirstlane_b32 s6, v2
	s_mul_i32 s5, s5, s6
	s_mul_hi_u32 s5, s6, s5
	s_add_i32 s6, s6, s5
	s_mul_hi_u32 s5, s2, s6
	s_mul_i32 s6, s5, s4
	s_sub_i32 s2, s2, s6
	s_add_i32 s7, s5, 1
	s_sub_i32 s6, s2, s4
	s_cmp_ge_u32 s2, s4
	s_cselect_b32 s5, s7, s5
	s_cselect_b32 s2, s6, s2
	s_add_i32 s6, s5, 1
	s_cmp_ge_u32 s2, s4
	s_cselect_b32 s2, s6, s5
	s_xor_b32 s2, s2, s0
	s_sub_i32 s0, s2, s0
	s_mul_i32 s2, s0, s12
	s_sub_i32 s1, s1, s2
	s_ashr_i32 s2, s1, 31
	v_readlane_b32 s4, v204, 8
	s_abs_i32 s1, s1
	s_xor_b32 s2, s2, s4
	s_mul_hi_u32 s4, s1, s56
	s_mul_i32 s5, s4, s35
	s_sub_i32 s1, s1, s5
	s_add_i32 s5, s4, 1
	s_sub_i32 s6, s1, s35
	s_cmp_ge_u32 s1, s35
	s_cselect_b32 s4, s5, s4
	s_cselect_b32 s1, s6, s1
	s_add_i32 s5, s4, 1
	s_cmp_ge_u32 s1, s35
	s_cselect_b32 s1, s5, s4
	s_abs_i32 s12, s14
	v_cvt_f32_u32_e32 v2, s12
	s_xor_b32 s1, s1, s2
	s_sub_i32 s1, s1, s2
	s_cmp_eq_u64 s[46:47], 0
	v_rcp_iflag_f32_e32 v2, v2
	s_nop 0
	v_mul_f32_e32 v2, 0x4f7ffffe, v2
	v_cvt_u32_f32_e32 v2, v2
	s_nop 0
	v_readfirstlane_b32 s13, v2
	s_cbranch_scc1 .LBB19_256
; %bb.255:
	v_readlane_b32 s2, v204, 0
	s_mul_i32 s2, s8, s2
	s_add_i32 s4, s1, s2
	s_ashr_i32 s5, s4, 31
	s_lshl_b64 s[4:5], s[4:5], 2
	s_add_u32 s4, s46, s4
	s_addc_u32 s5, s47, s5
	v_mov_b32_e32 v2, 0
	global_load_dword v2, v2, s[4:5]
	s_waitcnt vmcnt(0)
	v_ashrrev_i32_e32 v3, 31, v2
	v_lshrrev_b32_e32 v3, 26, v3
	v_add_u32_e32 v2, v2, v3
	v_ashrrev_i32_e32 v2, 6, v2
	v_min_i32_e32 v12, s9, v2
.LBB19_256:
	v_readlane_b32 s6, v204, 4
	s_mul_i32 s2, s10, s3
	s_lshl_b32 s9, s0, 3
	v_readlane_b32 s7, v204, 5
	s_add_i32 s0, s9, s2
	s_mul_i32 s2, s8, s7
	s_ashr_i32 s4, s2, 31
	s_add_u32 s2, s36, s2
	s_mul_i32 s0, s0, s6
	s_addc_u32 s4, s37, s4
	s_ashr_i32 s5, s0, 31
	s_add_u32 s6, s2, s0
	v_add_u32_e32 v70, v45, v55
	s_addc_u32 s7, s4, s5
	s_lshl_b32 s2, s1, 2
	v_lshrrev_b32_e32 v3, 3, v70
	v_and_b32_e32 v2, 7, v70
	v_add_u32_e32 v3, s2, v3
	v_or_b32_e32 v4, s9, v2
	v_cmp_le_i32_e64 s[0:1], s20, v3
	v_cmp_le_i32_e64 s[4:5], s3, v4
	s_mov_b32 s14, 0x10001
	v_lshl_add_u32 v44, v38, 2, 0
	v_cmp_gt_i32_e32 vcc, s3, v4
	s_or_b64 s[0:1], s[0:1], s[4:5]
	s_and_saveexec_b64 s[4:5], s[0:1]
	s_xor_b64 s[0:1], exec, s[4:5]
; %bb.257:
	s_movk_i32 s4, 0xf0
	v_mad_u32_u24 v3, v70, s4, v44
	v_mov_b32_e32 v4, 0
	ds_write_b32 v3, v4
                                        ; implicit-def: $vgpr3
; %bb.258:
	s_or_saveexec_b64 s[0:1], s[0:1]
	v_mul_lo_u32 v1, v1, s14
	s_xor_b64 exec, exec, s[0:1]
	s_cbranch_execz .LBB19_260
; %bb.259:
	v_mul_lo_u32 v3, v3, s11
	v_mul_lo_u32 v4, v2, s18
	v_add3_u32 v4, v4, v38, v3
	v_ashrrev_i32_e32 v5, 31, v4
	v_lshl_add_u64 v[4:5], v[4:5], 3, s[6:7]
	global_load_dwordx2 v[4:5], v[4:5], off
	s_movk_i32 s4, 0xf0
	s_waitcnt vmcnt(0)
	v_cvt_pk_f16_f32 v3, v4, v5
	v_pk_mul_f16 v3, v3, v1
	v_mad_u32_u24 v4, v70, s4, v44
	ds_write_b32 v4, v3
.LBB19_260:
	s_or_b64 exec, exec, s[0:1]
	v_add_u32_e32 v3, 8, v70
	v_lshrrev_b32_e32 v4, 3, v3
	v_add_u32_e32 v4, s2, v4
	v_cmp_le_i32_e64 s[0:1], s20, v4
	s_xor_b64 s[4:5], vcc, -1
	s_or_b64 s[0:1], s[0:1], s[4:5]
	s_and_saveexec_b64 s[14:15], s[0:1]
	s_xor_b64 s[0:1], exec, s[14:15]
; %bb.261:
	s_movk_i32 s14, 0xf0
	v_mad_u32_u24 v3, v3, s14, v44
	v_mov_b32_e32 v4, 0
	ds_write_b32 v3, v4
                                        ; implicit-def: $vgpr4
                                        ; implicit-def: $vgpr3
; %bb.262:
	s_andn2_saveexec_b64 s[0:1], s[0:1]
	s_cbranch_execz .LBB19_264
; %bb.263:
	v_mul_lo_u32 v4, v4, s11
	v_mul_lo_u32 v5, v2, s18
	v_add3_u32 v4, v5, v38, v4
	v_ashrrev_i32_e32 v5, 31, v4
	v_lshl_add_u64 v[4:5], v[4:5], 3, s[6:7]
	global_load_dwordx2 v[4:5], v[4:5], off
	s_movk_i32 s14, 0xf0
	v_mad_u32_u24 v3, v3, s14, v44
	s_waitcnt vmcnt(0)
	v_cvt_pk_f16_f32 v4, v4, v5
	v_pk_mul_f16 v4, v4, v1
	ds_write_b32 v3, v4
.LBB19_264:
	s_or_b64 exec, exec, s[0:1]
	v_add_u32_e32 v3, 16, v70
	v_lshrrev_b32_e32 v4, 3, v3
	v_add_u32_e32 v4, s2, v4
	v_cmp_le_i32_e32 vcc, s20, v4
	s_or_b64 s[0:1], vcc, s[4:5]
	s_and_saveexec_b64 s[14:15], s[0:1]
	s_xor_b64 s[0:1], exec, s[14:15]
; %bb.265:
	s_movk_i32 s14, 0xf0
	v_mad_u32_u24 v3, v3, s14, v44
	v_mov_b32_e32 v4, 0
	ds_write_b32 v3, v4
                                        ; implicit-def: $vgpr4
                                        ; implicit-def: $vgpr3
; %bb.266:
	s_andn2_saveexec_b64 s[0:1], s[0:1]
	s_cbranch_execz .LBB19_268
; %bb.267:
	v_mul_lo_u32 v4, v4, s11
	v_mul_lo_u32 v5, v2, s18
	v_add3_u32 v4, v5, v38, v4
	v_ashrrev_i32_e32 v5, 31, v4
	v_lshl_add_u64 v[4:5], v[4:5], 3, s[6:7]
	global_load_dwordx2 v[4:5], v[4:5], off
	s_movk_i32 s14, 0xf0
	v_mad_u32_u24 v3, v3, s14, v44
	s_waitcnt vmcnt(0)
	v_cvt_pk_f16_f32 v4, v4, v5
	v_pk_mul_f16 v4, v4, v1
	ds_write_b32 v3, v4
.LBB19_268:
	s_or_b64 exec, exec, s[0:1]
	v_add_u32_e32 v3, 24, v70
	v_lshrrev_b32_e32 v4, 3, v3
	v_add_u32_e32 v4, s2, v4
	v_cmp_le_i32_e32 vcc, s20, v4
	s_or_b64 s[0:1], vcc, s[4:5]
	s_and_saveexec_b64 s[4:5], s[0:1]
	s_xor_b64 s[0:1], exec, s[4:5]
; %bb.269:
	s_movk_i32 s4, 0xf0
	v_mad_u32_u24 v2, v3, s4, v44
	v_mov_b32_e32 v3, 0
	ds_write_b32 v2, v3
                                        ; implicit-def: $vgpr4
                                        ; implicit-def: $vgpr2
                                        ; implicit-def: $vgpr3
; %bb.270:
	s_or_saveexec_b64 s[0:1], s[0:1]
	v_and_b32_e32 v46, 0x3ff, v0
	s_xor_b64 exec, exec, s[0:1]
	s_cbranch_execz .LBB19_272
; %bb.271:
	v_mul_lo_u32 v0, v4, s11
	v_mul_lo_u32 v2, v2, s18
	v_add3_u32 v4, v2, v38, v0
	v_ashrrev_i32_e32 v5, 31, v4
	v_lshl_add_u64 v[4:5], v[4:5], 3, s[6:7]
	global_load_dwordx2 v[4:5], v[4:5], off
	s_movk_i32 s4, 0xf0
	v_mad_u32_u24 v2, v3, s4, v44
	s_waitcnt vmcnt(0)
	v_cvt_pk_f16_f32 v0, v4, v5
	v_pk_mul_f16 v0, v0, v1
	ds_write_b32 v2, v0
.LBB19_272:
	s_or_b64 exec, exec, s[0:1]
	v_lshrrev_b32_e32 v51, 4, v46
	v_add_u32_e32 v2, v39, v51
	v_and_b32_e32 v0, 7, v2
	v_or_b32_e32 v3, s9, v0
	v_cmp_gt_i32_e32 vcc, s3, v3
	v_cmp_le_i32_e64 s[0:1], s3, v3
	v_lshrrev_b32_e32 v3, 3, v2
	v_add_u32_e32 v3, s2, v3
	v_cmp_le_i32_e64 s[4:5], s20, v3
	s_sub_i32 s14, 0, s12
	v_and_b32_e32 v49, 15, v46
	v_mul_lo_u32 v0, s18, v0
	s_or_b64 s[0:1], s[4:5], s[0:1]
	s_and_saveexec_b64 s[4:5], s[0:1]
	s_xor_b64 s[0:1], exec, s[4:5]
; %bb.273:
	v_mul_u32_u24_e32 v3, 0xf0, v2
	v_lshlrev_b32_e32 v4, 2, v49
	v_add3_u32 v3, 0, v3, v4
	v_mov_b32_e32 v4, 0
	ds_write_b32 v3, v4 offset:128
                                        ; implicit-def: $vgpr3
; %bb.274:
	s_or_saveexec_b64 s[0:1], s[0:1]
	s_mul_i32 s14, s14, s13
	v_lshl_add_u32 v48, v49, 2, 0
	v_add3_u32 v0, v0, v49, 32
	s_xor_b64 exec, exec, s[0:1]
	s_cbranch_execz .LBB19_276
; %bb.275:
	v_mad_u64_u32 v[4:5], s[4:5], v3, s11, v[0:1]
	v_ashrrev_i32_e32 v5, 31, v4
	v_lshl_add_u64 v[4:5], v[4:5], 3, s[6:7]
	global_load_dwordx2 v[4:5], v[4:5], off
	s_movk_i32 s4, 0xf0
	s_waitcnt vmcnt(0)
	v_cvt_pk_f16_f32 v3, v4, v5
	v_pk_mul_f16 v3, v3, v1
	v_mad_u32_u24 v4, v2, s4, v48
	ds_write_b32 v4, v3 offset:128
.LBB19_276:
	s_or_b64 exec, exec, s[0:1]
	v_add_u32_e32 v2, 16, v2
	v_lshrrev_b32_e32 v3, 3, v2
	v_add_u32_e32 v3, s2, v3
	s_mul_hi_u32 s5, s13, s14
	v_cmp_le_i32_e64 s[0:1], s20, v3
	s_xor_b64 s[14:15], vcc, -1
	s_or_b64 s[0:1], s[0:1], s[14:15]
	s_and_saveexec_b64 s[14:15], s[0:1]
	s_xor_b64 s[0:1], exec, s[14:15]
; %bb.277:
	v_mul_u32_u24_e32 v0, 0xf0, v2
	v_lshlrev_b32_e32 v2, 2, v49
	v_add3_u32 v0, 0, v0, v2
	v_mov_b32_e32 v2, 0
	ds_write_b32 v0, v2 offset:128
                                        ; implicit-def: $vgpr0
                                        ; implicit-def: $vgpr3
                                        ; implicit-def: $vgpr2
; %bb.278:
	s_or_saveexec_b64 s[0:1], s[0:1]
	s_abs_i32 s4, s8
	s_add_i32 s13, s13, s5
	s_xor_b64 exec, exec, s[0:1]
	s_cbranch_execz .LBB19_280
; %bb.279:
	v_mad_u64_u32 v[4:5], s[14:15], v3, s11, v[0:1]
	v_ashrrev_i32_e32 v5, 31, v4
	v_lshl_add_u64 v[4:5], v[4:5], 3, s[6:7]
	global_load_dwordx2 v[4:5], v[4:5], off
	s_movk_i32 s5, 0xf0
	v_mad_u32_u24 v2, v2, s5, v48
	s_waitcnt vmcnt(0)
	v_cvt_pk_f16_f32 v0, v4, v5
	v_pk_mul_f16 v0, v0, v1
	ds_write_b32 v2, v0 offset:128
.LBB19_280:
	s_or_b64 exec, exec, s[0:1]
	v_lshrrev_b32_e32 v50, 3, v46
	v_add_u32_e32 v71, v91, v50
	v_lshrrev_b32_e32 v2, 3, v71
	v_and_b32_e32 v0, 7, v50
	v_add_u32_e32 v2, s2, v2
	v_or_b32_e32 v3, s9, v0
	v_cmp_le_i32_e32 vcc, s20, v2
	v_cmp_le_i32_e64 s[0:1], s3, v3
	s_mul_hi_u32 s5, s4, s13
	s_or_b64 s[0:1], vcc, s[0:1]
	s_and_saveexec_b64 s[14:15], s[0:1]
	s_xor_b64 s[0:1], exec, s[14:15]
	s_cbranch_execz .LBB19_282
; %bb.281:
	v_and_b32_e32 v1, 7, v46
	v_mul_u32_u24_e32 v0, 0xf0, v71
	v_lshlrev_b32_e32 v1, 2, v1
	v_add3_u32 v0, 0, v0, v1
	v_mov_b32_e32 v1, 0
	ds_write_b32 v0, v1 offset:192
                                        ; implicit-def: $vgpr2
                                        ; implicit-def: $vgpr0
                                        ; implicit-def: $vgpr1
.LBB19_282:
	s_or_saveexec_b64 s[0:1], s[0:1]
	s_ashr_i32 s3, s8, 31
	s_xor_b64 exec, exec, s[0:1]
	s_cbranch_execz .LBB19_284
; %bb.283:
	v_mul_lo_u32 v3, v2, s11
	v_and_b32_e32 v2, 7, v46
	v_mad_u64_u32 v[4:5], s[14:15], s18, v0, v[2:3]
	v_add3_u32 v4, v4, v3, 48
	v_ashrrev_i32_e32 v5, 31, v4
	v_lshl_add_u64 v[4:5], v[4:5], 3, s[6:7]
	global_load_dwordx2 v[4:5], v[4:5], off
	v_mul_u32_u24_e32 v0, 0xf0, v71
	v_lshlrev_b32_e32 v2, 2, v2
	v_add3_u32 v0, 0, v0, v2
	s_waitcnt vmcnt(0)
	v_cvt_pk_f16_f32 v3, v4, v5
	v_pk_mul_f16 v1, v3, v1
	ds_write_b32 v0, v1 offset:192
.LBB19_284:
	s_or_b64 exec, exec, s[0:1]
	s_mul_hi_u32 s0, s24, s8
	s_mul_i32 s1, s24, s3
	s_add_i32 s0, s0, s1
	s_mul_i32 s1, s25, s8
	v_readlane_b32 s6, v204, 6
	s_add_i32 s0, s0, s1
	s_mul_i32 s1, s24, s8
	v_readlane_b32 s7, v204, 7
	s_add_u32 s1, s38, s1
	s_mul_i32 s6, s10, s7
	s_addc_u32 s0, s39, s0
	s_ashr_i32 s7, s6, 31
	s_add_u32 s15, s1, s6
	s_mul_i32 s5, s5, s12
	s_addc_u32 s16, s0, s7
	s_sub_i32 s0, s4, s5
	s_sub_i32 s1, s0, s12
	s_cmp_ge_u32 s0, s12
	s_cselect_b32 s0, s1, s0
	s_sub_i32 s1, s0, s12
	s_cmp_ge_u32 s0, s12
	s_cselect_b32 s0, s1, s0
	s_xor_b32 s0, s0, s3
	s_sub_i32 s0, s0, s3
	s_ashr_i32 s1, s0, 31
	s_mul_i32 s1, s54, s1
	s_mul_hi_u32 s4, s54, s0
	s_add_i32 s1, s4, s1
	s_mul_i32 s4, s55, s0
	s_add_i32 s1, s1, s4
	s_mul_i32 s0, s54, s0
	s_add_u32 s6, s42, s0
	s_addc_u32 s7, s43, s1
	s_mul_hi_u32 s0, s52, s8
	s_mul_i32 s1, s52, s3
	s_add_i32 s0, s0, s1
	s_mul_i32 s1, s53, s8
	s_add_i32 s0, s0, s1
	s_mul_i32 s1, s52, s8
	v_and_b32_e32 v13, 0x1ff0, v91
	s_movk_i32 s8, 0xf0
	v_and_b32_e32 v1, 0x7e, v50
	v_mad_u32_u24 v0, v13, s8, 0
	v_mul_u32_u24_e32 v75, 0xf0, v49
	v_lshlrev_b32_e32 v52, 2, v1
	v_add3_u32 v14, v0, v75, v52
	s_waitcnt lgkmcnt(0)
	s_barrier
	ds_read2_b64 v[8:11], v14 offset1:4
	ds_read2_b64 v[4:7], v14 offset0:8 offset1:12
	ds_read2_b64 v[0:3], v14 offset0:16 offset1:20
	ds_read_b64 v[18:19], v14 offset:192
	s_add_u32 s1, s40, s1
	s_mul_i32 s10, s10, s27
	s_addc_u32 s0, s41, s0
	s_ashr_i32 s4, s10, 31
	v_add_u32_e32 v80, -1, v12
	s_add_u32 s3, s1, s10
	v_cmp_ge_i32_e32 vcc, s62, v80
	v_mul_lo_u32 v20, s28, v71
	v_mul_lo_u32 v16, s22, v71
	s_addc_u32 s14, s0, s4
	s_and_b64 vcc, exec, vcc
	v_cmp_gt_u32_e64 s[0:1], 4, v70
	v_lshlrev_b32_e32 v76, 2, v46
	v_lshrrev_b32_e32 v77, 1, v46
	v_lshrrev_b32_e32 v73, 2, v46
	v_ashrrev_i32_e32 v21, 31, v20
	v_add_u32_e32 v69, 32, v71
	v_lshl_add_u32 v22, s28, 5, v20
	v_and_or_b32 v74, v46, 8, v13
	v_lshlrev_b32_e32 v67, 1, v50
	v_and_b32_e32 v66, 8, v91
	v_ashrrev_i32_e32 v17, 31, v16
	v_lshlrev_b32_e32 v65, 1, v49
	s_waitcnt lgkmcnt(0)
	s_barrier
	s_cbranch_vccnz .LBB19_294
; %bb.285:
	v_add_u32_e32 v12, s2, v70
	v_mul_hi_u32 v13, s30, v12
	v_add_u32_e32 v13, v12, v13
	v_lshrrev_b32_e32 v13, s31, v13
	v_mul_lo_u32 v13, v13, s20
	v_sub_u32_e32 v12, v12, v13
	v_mul_u32_u24_e32 v13, 0x90, v70
	v_and_b32_e32 v24, 0x7c, v76
	v_add3_u32 v81, 0, v13, v24
	v_mad_i64_i32 v[12:13], s[4:5], v12, s58, 0
	v_lshl_add_u64 v[12:13], v[12:13], 1, s[6:7]
	v_mov_b32_e32 v25, 0
	v_lshl_add_u64 v[26:27], v[12:13], 0, v[24:25]
	v_add_u32_e32 v13, v57, v73
	v_and_b32_e32 v14, 12, v76
	v_lshl_add_u32 v12, v47, 5, v77
	v_mad_u32_u24 v15, v13, s8, 0
	v_lshlrev_b32_e32 v23, 2, v14
	s_movk_i32 s10, 0x80
	v_and_b32_e32 v42, 28, v76
	v_and_b32_e32 v30, 4, v76
	v_add3_u32 v82, v15, v23, s10
	v_mul_u32_u24_e32 v15, 0xf0, v71
	v_lshlrev_b32_e32 v23, 2, v42
	v_mad_u32_u24 v24, v12, s8, 0
	v_lshlrev_b32_e32 v34, 2, v30
	s_movk_i32 s8, 0xc0
	s_movk_i32 s9, 0x90
	v_add3_u32 v83, 0, v15, v23
	v_and_b32_e32 v15, 16, v57
	v_add3_u32 v85, v24, v34, s8
	v_and_b32_e32 v24, 0xfc, v73
	v_lshrrev_b32_e32 v35, 3, v74
	v_add_u32_e32 v34, v24, v15
	v_mad_u32_u24 v35, v35, s9, 0
	v_mul_u32_u24_e32 v43, 0xf0, v15
	v_add_u16_e32 v15, v24, v15
	v_lshl_add_u32 v24, v34, 1, v35
	v_add_u32_e32 v86, 64, v24
	v_add_u32_e32 v87, 0x44, v24
	v_mbcnt_hi_u32_b32 v24, -1, v93
	v_lshrrev_b16_e32 v15, 1, v15
	v_and_b32_e32 v34, 64, v24
	v_lshl_add_u32 v15, v15, 2, v35
	v_add_u32_e32 v34, 64, v34
	v_xor_b32_e32 v35, 32, v24
	v_cmp_lt_i32_e32 vcc, v35, v34
	v_cmp_gt_u32_e64 s[4:5], 64, v12
	v_mul_lo_u32 v32, s28, v12
	v_cndmask_b32_e32 v35, v24, v35, vcc
	v_lshlrev_b32_e32 v88, 2, v35
	v_xor_b32_e32 v35, 16, v24
	v_cmp_lt_i32_e32 vcc, v35, v34
	v_mul_lo_u32 v34, s22, v12
	v_or_b32_e32 v12, 3, v67
	v_cndmask_b32_e32 v24, v24, v35, vcc
	v_lshlrev_b32_e32 v89, 2, v24
	v_or_b32_e32 v24, 2, v67
	v_and_b32_e32 v36, 0xfc, v67
	s_movk_i32 s8, 0x1e0
	v_mul_lo_u32 v28, s28, v13
	v_add3_u32 v31, 0, v75, v52
	v_mul_u32_u24_e32 v12, 0xf0, v12
	v_mul_u32_u24_e32 v24, 0xf0, v24
	;; [unrolled: 1-line block ×3, first 2 shown]
	v_mul_lo_u32 v36, s22, v69
	v_mul_lo_u32 v40, s22, v13
	v_mad_u32_u24 v13, v66, s8, 0
	v_ashrrev_i32_e32 v29, 31, v28
	v_add_u32_e32 v84, 0x1e00, v83
	v_ashrrev_i32_e32 v23, 31, v22
	v_ashrrev_i32_e32 v33, 31, v32
	v_ashrrev_i32_e32 v35, 31, v34
	v_ashrrev_i32_e32 v37, 31, v36
	v_ashrrev_i32_e32 v41, 31, v40
	v_add3_u32 v90, v13, v53, v65
	v_add3_u32 v92, v13, v24, v65
	;; [unrolled: 1-line block ×3, first 2 shown]
	s_lshl_b32 s8, s62, 6
	v_mov_b32_e32 v12, 0xfeffffff
	v_lshlrev_b32_e32 v24, 2, v14
	v_lshlrev_b32_e32 v42, 2, v42
	v_add_u32_e32 v95, v31, v43
	v_add_u32_e32 v96, 0x3c00, v15
	s_mov_b32 s17, 0x3fb8aa3b
	s_mov_b32 s18, 0xc2ce8ed0
	;; [unrolled: 1-line block ×5, first 2 shown]
	v_mov_b32_e32 v97, 0x7f800000
	v_mov_b32_e32 v98, v25
	;; [unrolled: 1-line block ×16, first 2 shown]
	s_ashr_i32 s9, s8, 31
	s_and_saveexec_b64 s[10:11], s[0:1]
	s_cbranch_execz .LBB19_287
.LBB19_286:
	v_lshl_add_u64 v[14:15], s[8:9], 1, v[26:27]
	global_load_dword v13, v[14:15], off
	s_waitcnt vmcnt(0)
	ds_write_b32 v81, v13 offset:15360
.LBB19_287:                             ; =>This Inner Loop Header: Depth=1
	s_or_b64 exec, exec, s[10:11]
	s_mul_hi_i32 s11, s8, s28
	s_mul_i32 s10, s8, s28
	s_lshl_b64 s[10:11], s[10:11], 2
	s_add_u32 s10, s15, s10
	s_addc_u32 s11, s16, s11
	s_and_saveexec_b64 s[12:13], s[4:5]
	s_cbranch_execz .LBB19_289
; %bb.288:                              ;   in Loop: Header=BB19_287 Depth=1
	v_lshl_add_u64 v[14:15], v[32:33], 2, s[10:11]
	v_lshlrev_b32_e32 v100, 2, v30
	v_mov_b32_e32 v101, v25
	v_lshl_add_u64 v[14:15], v[14:15], 0, v[100:101]
	global_load_dwordx4 v[100:103], v[14:15], off offset:192
	s_waitcnt vmcnt(0)
	ds_write_b128 v85, v[100:103]
.LBB19_289:                             ;   in Loop: Header=BB19_287 Depth=1
	s_or_b64 exec, exec, s[12:13]
	v_lshl_add_u64 v[14:15], v[28:29], 2, s[10:11]
	v_lshl_add_u64 v[100:101], v[20:21], 2, s[10:11]
	v_mov_b32_e32 v43, v25
	v_lshl_add_u64 v[14:15], v[14:15], 0, v[24:25]
	v_lshl_add_u64 v[112:113], v[100:101], 0, v[42:43]
	;; [unrolled: 1-line block ×4, first 2 shown]
	global_load_dwordx4 v[100:103], v[14:15], off offset:128
	global_load_dwordx4 v[104:107], v[112:113], off
	global_load_dwordx4 v[108:111], v[114:115], off
	v_add_u32_e32 v13, 0x1800, v95
	s_mul_hi_i32 s11, s8, s22
	s_mul_i32 s10, s8, s22
	s_lshl_b64 s[10:11], s[10:11], 2
	s_add_u32 s10, s3, s10
	s_addc_u32 s11, s14, s11
	s_waitcnt vmcnt(2)
	ds_write_b128 v82, v[100:103]
	s_waitcnt vmcnt(1)
	ds_write_b128 v83, v[104:107]
	;; [unrolled: 2-line block ×3, first 2 shown]
	s_waitcnt lgkmcnt(0)
	s_barrier
	ds_read2_b64 v[100:103], v95 offset1:4
	ds_read2_b64 v[108:111], v13 offset0:192 offset1:196
	s_waitcnt lgkmcnt(1)
	v_mfma_f32_16x16x16_f16 v[104:107], v[100:101], v[8:9], 0
	s_waitcnt lgkmcnt(0)
	v_mfma_f32_16x16x16_f16 v[112:115], v[108:109], v[8:9], 0
	v_mfma_f32_16x16x16_f16 v[100:103], v[102:103], v[10:11], v[104:107]
	;; [unrolled: 1-line block ×3, first 2 shown]
	ds_read2_b64 v[108:111], v95 offset0:8 offset1:12
	s_nop 4
	ds_read2_b64 v[112:115], v13 offset0:200 offset1:204
	s_waitcnt lgkmcnt(1)
	v_mfma_f32_16x16x16_f16 v[100:103], v[108:109], v[4:5], v[100:103]
	s_waitcnt lgkmcnt(0)
	v_mfma_f32_16x16x16_f16 v[104:107], v[112:113], v[4:5], v[104:107]
	v_mfma_f32_16x16x16_f16 v[100:103], v[110:111], v[6:7], v[100:103]
	ds_read2_b64 v[108:111], v95 offset0:16 offset1:20
	v_mfma_f32_16x16x16_f16 v[104:107], v[114:115], v[6:7], v[104:107]
	ds_read2_b64 v[112:115], v13 offset0:208 offset1:212
	ds_read_b64 v[14:15], v95 offset:192
	ds_read_b64 v[116:117], v95 offset:7872
	s_waitcnt lgkmcnt(0)
	v_mfma_f32_16x16x16_f16 v[100:103], v[108:109], v[0:1], v[100:103]
	s_barrier
	ds_read2_b32 v[108:109], v96 offset1:1
	v_mfma_f32_16x16x16_f16 v[104:107], v[112:113], v[0:1], v[104:107]
	ds_read_b32 v13, v86 offset:15360
	ds_read_b32 v72, v87 offset:15360
	s_waitcnt lgkmcnt(2)
	v_cvt_f32_f16_e32 v99, v108
	v_mfma_f32_16x16x16_f16 v[100:103], v[110:111], v[2:3], v[100:103]
	v_cvt_f32_f16_sdwa v112, v108 dst_sel:DWORD dst_unused:UNUSED_PAD src0_sel:WORD_1
	v_cvt_f32_f16_e32 v113, v109
	v_mfma_f32_16x16x16_f16 v[104:107], v[114:115], v[2:3], v[104:107]
	v_cvt_f32_f16_sdwa v114, v109 dst_sel:DWORD dst_unused:UNUSED_PAD src0_sel:WORD_1
	s_waitcnt lgkmcnt(1)
	v_cvt_f32_f16_e32 v115, v13
	v_cvt_f32_f16_sdwa v13, v13 dst_sel:DWORD dst_unused:UNUSED_PAD src0_sel:WORD_1
	v_mfma_f32_16x16x16_f16 v[108:111], v[14:15], v[18:19], v[100:103]
	s_waitcnt lgkmcnt(0)
	v_cvt_f32_f16_e32 v14, v72
	v_cvt_f32_f16_sdwa v72, v72 dst_sel:DWORD dst_unused:UNUSED_PAD src0_sel:WORD_1
	v_mfma_f32_16x16x16_f16 v[104:107], v[116:117], v[18:19], v[104:107]
	s_nop 3
	v_add_f32_e32 v103, v108, v99
	v_add_f32_e32 v99, v109, v112
	;; [unrolled: 1-line block ×12, first 2 shown]
	v_max3_f32 v72, v12, v72, v104
	v_add_f32_e32 v107, 0x40051340, v102
	v_add_f32_e32 v108, 0x40051340, v15
	v_max3_f32 v72, v72, v105, v106
	v_add_f32_e32 v109, 0x40051340, v14
	v_add_f32_e32 v110, 0x40051340, v13
	v_max3_f32 v72, v72, v107, v108
	v_max3_f32 v72, v72, v109, v110
	ds_bpermute_b32 v104, v88, v72
	s_waitcnt lgkmcnt(0)
	v_max_f32_e32 v104, v104, v104
	v_max_f32_e32 v72, v72, v104
	ds_bpermute_b32 v104, v89, v72
	s_and_saveexec_b64 s[12:13], s[4:5]
	s_cbranch_execz .LBB19_291
; %bb.290:                              ;   in Loop: Header=BB19_287 Depth=1
	v_lshl_add_u64 v[106:107], v[34:35], 2, s[10:11]
	v_lshlrev_b32_e32 v108, 2, v30
	v_mov_b32_e32 v109, v25
	v_lshl_add_u64 v[106:107], v[106:107], 0, v[108:109]
	global_load_dwordx4 v[106:109], v[106:107], off offset:192
	s_waitcnt vmcnt(0)
	ds_write_b128 v85, v[106:109]
.LBB19_291:                             ;   in Loop: Header=BB19_287 Depth=1
	s_or_b64 exec, exec, s[12:13]
	s_waitcnt lgkmcnt(0)
	v_max_f32_e32 v104, v104, v104
	v_max_f32_e32 v72, v72, v72
	;; [unrolled: 1-line block ×3, first 2 shown]
	v_sub_f32_e32 v103, v103, v72
	v_mul_f32_e32 v104, 0x3fb8aa3b, v103
	v_fma_f32 v105, v103, s17, -v104
	v_rndne_f32_e32 v106, v104
	v_fmac_f32_e32 v105, 0x32a5705f, v103
	v_sub_f32_e32 v104, v104, v106
	v_add_f32_e32 v104, v104, v105
	v_exp_f32_e32 v104, v104
	v_cvt_i32_f32_e32 v105, v106
	v_cmp_ngt_f32_e32 vcc, s18, v103
	v_sub_f32_e32 v114, v101, v72
	v_mul_f32_e32 v101, 0x3fb8aa3b, v114
	v_ldexp_f32 v104, v104, v105
	v_sub_f32_e32 v105, v99, v72
	v_mul_f32_e32 v99, 0x3fb8aa3b, v105
	v_fma_f32 v106, v105, s17, -v99
	v_rndne_f32_e32 v107, v99
	v_fmac_f32_e32 v106, 0x32a5705f, v105
	v_sub_f32_e32 v99, v99, v107
	v_add_f32_e32 v99, v99, v106
	v_exp_f32_e32 v106, v99
	v_cvt_i32_f32_e32 v107, v107
	v_cndmask_b32_e32 v99, 0, v104, vcc
	v_sub_f32_e32 v104, v100, v72
	v_mul_f32_e32 v100, 0x3fb8aa3b, v104
	v_cmp_nlt_f32_e32 vcc, s19, v103
	v_ldexp_f32 v103, v106, v107
	v_fma_f32 v106, v104, s17, -v100
	v_rndne_f32_e32 v107, v100
	v_fmac_f32_e32 v106, 0x32a5705f, v104
	v_sub_f32_e32 v100, v100, v107
	v_add_f32_e32 v100, v100, v106
	v_exp_f32_e32 v106, v100
	v_cvt_i32_f32_e32 v107, v107
	v_cndmask_b32_e32 v99, v97, v99, vcc
	v_cmp_ngt_f32_e32 vcc, s18, v105
	v_sub_f32_e32 v116, v102, v72
	v_mul_f32_e32 v117, 0x3fb8aa3b, v116
	v_cndmask_b32_e32 v100, 0, v103, vcc
	v_cmp_nlt_f32_e32 vcc, s19, v105
	v_ldexp_f32 v103, v106, v107
	v_fma_f32 v105, v114, s17, -v101
	v_rndne_f32_e32 v106, v101
	v_fmac_f32_e32 v105, 0x32a5705f, v114
	v_sub_f32_e32 v101, v101, v106
	v_add_f32_e32 v101, v101, v105
	v_exp_f32_e32 v105, v101
	v_cvt_i32_f32_e32 v106, v106
	v_cndmask_b32_e32 v100, v97, v100, vcc
	v_cmp_ngt_f32_e32 vcc, s18, v104
	v_fma_f32 v118, v116, s17, -v117
	v_ldexp_f32 v115, v105, v106
	v_cndmask_b32_e32 v101, 0, v103, vcc
	v_lshl_add_u64 v[102:103], v[40:41], 2, s[10:11]
	v_lshl_add_u64 v[110:111], v[102:103], 0, v[24:25]
	;; [unrolled: 1-line block ×3, first 2 shown]
	v_cmp_nlt_f32_e32 vcc, s19, v104
	v_lshl_add_u64 v[112:113], v[102:103], 0, v[42:43]
	global_load_dwordx4 v[102:105], v[110:111], off offset:128
	global_load_dwordx4 v[106:109], v[112:113], off
	v_lshl_add_u64 v[110:111], v[36:37], 2, s[10:11]
	v_lshl_add_u64 v[110:111], v[110:111], 0, v[42:43]
	global_load_dwordx4 v[110:113], v[110:111], off
	v_rndne_f32_e32 v43, v117
	v_fmac_f32_e32 v118, 0x32a5705f, v116
	v_sub_f32_e32 v117, v117, v43
	v_add_f32_e32 v117, v117, v118
	v_exp_f32_e32 v117, v117
	v_cvt_i32_f32_e32 v118, v43
	v_cndmask_b32_e32 v101, v97, v101, vcc
	v_cmp_ngt_f32_e32 vcc, s18, v114
	v_sub_f32_e32 v15, v15, v72
	v_sub_f32_e32 v14, v14, v72
	v_cndmask_b32_e32 v43, 0, v115, vcc
	v_mul_f32_e32 v115, 0x3fb8aa3b, v15
	v_cmp_nlt_f32_e32 vcc, s19, v114
	v_ldexp_f32 v114, v117, v118
	v_fma_f32 v117, v15, s17, -v115
	v_rndne_f32_e32 v118, v115
	v_fmac_f32_e32 v117, 0x32a5705f, v15
	v_sub_f32_e32 v115, v115, v118
	v_add_f32_e32 v115, v115, v117
	v_exp_f32_e32 v115, v115
	v_cvt_i32_f32_e32 v117, v118
	v_cndmask_b32_e32 v43, v97, v43, vcc
	v_cmp_ngt_f32_e32 vcc, s18, v116
	v_sub_f32_e32 v13, v13, v72
	v_sub_f32_e32 v12, v12, v72
	v_cndmask_b32_e32 v114, 0, v114, vcc
	v_cmp_nlt_f32_e32 vcc, s19, v116
	v_cvt_pk_f16_f32 v123, v101, v43
	v_cvt_pk_f16_f32 v122, v99, v100
	v_cndmask_b32_e32 v126, v97, v114, vcc
	v_ldexp_f32 v114, v115, v117
	v_mul_f32_e32 v115, 0x3fb8aa3b, v14
	v_fma_f32 v116, v14, s17, -v115
	v_rndne_f32_e32 v117, v115
	v_fmac_f32_e32 v116, 0x32a5705f, v14
	v_sub_f32_e32 v115, v115, v117
	v_add_f32_e32 v115, v115, v116
	v_exp_f32_e32 v115, v115
	v_cvt_i32_f32_e32 v116, v117
	v_cmp_ngt_f32_e32 vcc, s18, v15
	s_add_i32 s62, s62, 1
	s_add_i32 s8, s8, 64
	v_cndmask_b32_e32 v114, 0, v114, vcc
	v_cmp_nlt_f32_e32 vcc, s19, v15
	v_ldexp_f32 v15, v115, v116
	s_waitcnt vmcnt(2)
	ds_write_b128 v82, v[102:105]
	s_waitcnt vmcnt(1)
	ds_write_b128 v83, v[106:109]
	;; [unrolled: 2-line block ×3, first 2 shown]
	v_cndmask_b32_e32 v127, v97, v114, vcc
	v_mul_f32_e32 v114, 0x3fb8aa3b, v13
	v_fma_f32 v115, v13, s17, -v114
	v_rndne_f32_e32 v116, v114
	v_fmac_f32_e32 v115, 0x32a5705f, v13
	v_sub_f32_e32 v114, v114, v116
	v_add_f32_e32 v114, v114, v115
	v_cvt_i32_f32_e32 v115, v116
	v_mul_f32_e32 v116, 0x3fb8aa3b, v12
	v_fma_f32 v117, v12, s17, -v116
	v_rndne_f32_e32 v118, v116
	v_fmac_f32_e32 v117, 0x32a5705f, v12
	v_sub_f32_e32 v116, v116, v118
	v_add_f32_e32 v116, v116, v117
	v_exp_f32_e32 v116, v116
	v_cvt_i32_f32_e32 v117, v118
	v_cmp_ngt_f32_e32 vcc, s18, v14
	v_exp_f32_e32 v114, v114
	s_waitcnt lgkmcnt(0)
	v_cndmask_b32_e32 v15, 0, v15, vcc
	v_cmp_nlt_f32_e32 vcc, s19, v14
	v_ldexp_f32 v14, v114, v115
	s_barrier
	v_cndmask_b32_e32 v128, v97, v15, vcc
	v_ldexp_f32 v15, v116, v117
	v_cmp_ngt_f32_e32 vcc, s18, v12
	v_cvt_pk_f16_f32 v124, v126, v127
	s_nop 0
	v_cndmask_b32_e32 v15, 0, v15, vcc
	v_cmp_nlt_f32_e32 vcc, s19, v12
	s_nop 1
	v_cndmask_b32_e32 v15, v97, v15, vcc
	v_cmp_le_f32_e32 vcc, s21, v12
	s_nop 1
	v_cndmask_b32_e32 v129, 0, v15, vcc
	v_cvt_f16_f32_e32 v12, v129
	v_cmp_ngt_f32_e32 vcc, s18, v13
	v_mul_u32_u24_e32 v118, 0x10001, v12
	s_nop 0
	v_cndmask_b32_e32 v14, 0, v14, vcc
	v_cmp_nlt_f32_e32 vcc, s19, v13
	v_pk_mul_f16 v13, v79, v118
	v_pk_mul_f16 v15, v78, v118
	ds_read_u16 v78, v92
	ds_read_u16 v105, v92 offset:32
	ds_read_u16 v110, v92 offset:64
	;; [unrolled: 1-line block ×4, first 2 shown]
	ds_read_u16 v79, v94
	ds_read_u16 v106, v94 offset:32
	ds_read_u16 v112, v94 offset:64
	;; [unrolled: 1-line block ×6, first 2 shown]
	s_waitcnt lgkmcnt(6)
	v_perm_b32 v79, v79, v78, s23
	ds_read_u16 v78, v90 offset:240
	ds_read_u16 v102, v90
	ds_read_u16 v107, v90 offset:32
	ds_read_u16 v115, v90 offset:64
	;; [unrolled: 1-line block ×6, first 2 shown]
	s_waitcnt lgkmcnt(6)
	v_perm_b32 v78, v78, v102, s23
	v_cndmask_b32_e32 v130, v97, v14, vcc
	v_cvt_f32_f16_e32 v12, v13
	v_cvt_f32_f16_sdwa v13, v13 dst_sel:DWORD dst_unused:UNUSED_PAD src0_sel:WORD_1
	v_cvt_f32_f16_e32 v14, v15
	v_cvt_f32_f16_sdwa v15, v15 dst_sel:DWORD dst_unused:UNUSED_PAD src0_sel:WORD_1
	v_cvt_pk_f16_f32 v125, v128, v130
	v_pk_mul_f16 v68, v68, v118
	v_mfma_f32_16x16x16_f16 v[12:15], v[78:79], v[122:123], v[12:15]
	ds_read_u16 v78, v90 offset:7920
	ds_read_u16 v79, v92 offset:7680
	;; [unrolled: 1-line block ×15, first 2 shown]
	s_waitcnt lgkmcnt(7)
	v_perm_b32 v79, v102, v79, s23
	v_cvt_f16_f32_e32 v12, v12
	v_cvt_f16_f32_e32 v13, v13
	;; [unrolled: 1-line block ×4, first 2 shown]
	ds_read_u16 v102, v90 offset:7680
	ds_read_u16 v143, v90 offset:272
	;; [unrolled: 1-line block ×11, first 2 shown]
	s_waitcnt lgkmcnt(10)
	v_perm_b32 v78, v78, v102, s23
	v_cvt_f32_f16_e32 v12, v12
	v_cvt_f32_f16_e32 v13, v13
	;; [unrolled: 1-line block ×4, first 2 shown]
	v_pk_mul_f16 v64, v64, v118
	v_cvt_f32_f16_e32 v102, v68
	v_mfma_f32_16x16x16_f16 v[12:15], v[78:79], v[124:125], v[12:15]
	v_perm_b32 v79, v106, v105, s23
	s_waitcnt lgkmcnt(9)
	v_perm_b32 v78, v143, v107, s23
	v_cvt_f32_f16_sdwa v103, v68 dst_sel:DWORD dst_unused:UNUSED_PAD src0_sel:WORD_1
	v_cvt_f32_f16_e32 v104, v64
	v_cvt_f32_f16_sdwa v105, v64 dst_sel:DWORD dst_unused:UNUSED_PAD src0_sel:WORD_1
	v_pk_mul_f16 v63, v63, v118
	v_pk_mul_f16 v62, v62, v118
	v_mfma_f32_16x16x16_f16 v[102:105], v[78:79], v[122:123], v[102:105]
	v_perm_b32 v79, v109, v108, s23
	v_cvt_f32_f16_e32 v106, v63
	v_cvt_f32_f16_sdwa v107, v63 dst_sel:DWORD dst_unused:UNUSED_PAD src0_sel:WORD_1
	v_cvt_f32_f16_e32 v108, v62
	v_cvt_f32_f16_sdwa v109, v62 dst_sel:DWORD dst_unused:UNUSED_PAD src0_sel:WORD_1
	v_perm_b32 v63, v112, v110, s23
	s_waitcnt lgkmcnt(7)
	v_perm_b32 v62, v145, v115, s23
	v_cvt_f16_f32_e32 v78, v104
	v_cvt_f16_f32_e32 v64, v102
	;; [unrolled: 1-line block ×4, first 2 shown]
	v_cvt_f32_f16_e32 v104, v78
	s_waitcnt lgkmcnt(2)
	v_perm_b32 v78, v150, v144, s23
	v_mfma_f32_16x16x16_f16 v[106:109], v[62:63], v[122:123], v[106:109]
	v_cvt_f32_f16_e32 v102, v64
	v_cvt_f32_f16_e32 v103, v68
	;; [unrolled: 1-line block ×3, first 2 shown]
	ds_read_u16 v64, v90 offset:7744
	ds_read_u16 v68, v90 offset:7776
	;; [unrolled: 1-line block ×4, first 2 shown]
	s_nop 0
	v_cvt_f16_f32_e32 v62, v106
	v_cvt_f16_f32_e32 v63, v107
	v_mfma_f32_16x16x16_f16 v[102:105], v[78:79], v[124:125], v[102:105]
	v_cvt_f16_f32_e32 v78, v108
	v_cvt_f16_f32_e32 v79, v109
	v_cvt_f32_f16_e32 v106, v62
	v_cvt_f32_f16_e32 v107, v63
	v_perm_b32 v63, v137, v133, s23
	s_waitcnt lgkmcnt(3)
	v_perm_b32 v62, v151, v64, s23
	v_cvt_f32_f16_e32 v108, v78
	v_cvt_f32_f16_e32 v109, v79
	v_pk_mul_f16 v61, v61, v118
	v_pk_mul_f16 v64, v60, v118
	v_perm_b32 v79, v113, v111, s23
	v_perm_b32 v78, v146, v116, s23
	v_mfma_f32_16x16x16_f16 v[106:109], v[62:63], v[124:125], v[106:109]
	v_cvt_f32_f16_e32 v60, v61
	v_cvt_f32_f16_sdwa v61, v61 dst_sel:DWORD dst_unused:UNUSED_PAD src0_sel:WORD_1
	v_cvt_f32_f16_e32 v62, v64
	v_cvt_f32_f16_sdwa v63, v64 dst_sel:DWORD dst_unused:UNUSED_PAD src0_sel:WORD_1
	ds_read_u16 v64, v90 offset:8016
	ds_read_u16 v116, v90 offset:8048
	;; [unrolled: 1-line block ×3, first 2 shown]
	v_mfma_f32_16x16x16_f16 v[60:63], v[78:79], v[122:123], v[60:63]
	s_waitcnt lgkmcnt(2)
	v_perm_b32 v78, v64, v68, s23
	ds_read_u16 v64, v92 offset:128
	ds_read_u16 v68, v92 offset:160
	v_pk_mul_f16 v59, v59, v118
	v_pk_mul_f16 v113, v58, v118
	v_cvt_f32_f16_e32 v110, v59
	v_cvt_f32_f16_sdwa v111, v59 dst_sel:DWORD dst_unused:UNUSED_PAD src0_sel:WORD_1
	s_waitcnt lgkmcnt(1)
	v_perm_b32 v59, v114, v64, s23
	v_perm_b32 v58, v147, v119, s23
	v_cvt_f32_f16_e32 v112, v113
	v_cvt_f32_f16_sdwa v113, v113 dst_sel:DWORD dst_unused:UNUSED_PAD src0_sel:WORD_1
	v_cvt_f16_f32_e32 v60, v60
	v_cvt_f16_f32_e32 v61, v61
	;; [unrolled: 1-line block ×4, first 2 shown]
	v_perm_b32 v79, v138, v134, s23
	v_mfma_f32_16x16x16_f16 v[110:113], v[58:59], v[122:123], v[110:113]
	v_cvt_f32_f16_e32 v60, v60
	v_cvt_f32_f16_e32 v61, v61
	;; [unrolled: 1-line block ×4, first 2 shown]
	v_pk_mul_f16 v56, v56, v118
	s_nop 2
	v_cvt_f16_f32_e32 v58, v110
	v_cvt_f16_f32_e32 v59, v111
	v_mfma_f32_16x16x16_f16 v[60:63], v[78:79], v[124:125], v[60:63]
	v_cvt_f16_f32_e32 v64, v112
	v_cvt_f16_f32_e32 v78, v113
	v_cvt_f32_f16_e32 v110, v58
	v_cvt_f32_f16_e32 v111, v59
	v_perm_b32 v59, v139, v135, s23
	v_perm_b32 v58, v116, v115, s23
	v_cvt_f32_f16_e32 v112, v64
	v_cvt_f32_f16_e32 v113, v78
	v_pk_mul_f16 v54, v54, v118
	v_cvt_f32_f16_e32 v114, v56
	v_mfma_f32_16x16x16_f16 v[110:113], v[58:59], v[124:125], v[110:113]
	s_waitcnt lgkmcnt(0)
	v_perm_b32 v59, v117, v68, s23
	v_perm_b32 v58, v148, v120, s23
	v_cvt_f32_f16_sdwa v115, v56 dst_sel:DWORD dst_unused:UNUSED_PAD src0_sel:WORD_1
	v_cvt_f32_f16_e32 v116, v54
	v_cvt_f32_f16_sdwa v117, v54 dst_sel:DWORD dst_unused:UNUSED_PAD src0_sel:WORD_1
	ds_read_u16 v54, v92 offset:7840
	v_pk_mul_f16 v53, v53, v118
	v_mfma_f32_16x16x16_f16 v[114:117], v[58:59], v[122:123], v[114:117]
	v_pk_mul_f16 v31, v31, v118
	v_cvt_f32_f16_e32 v118, v53
	v_cvt_f32_f16_sdwa v119, v53 dst_sel:DWORD dst_unused:UNUSED_PAD src0_sel:WORD_1
	v_cvt_f32_f16_e32 v120, v31
	s_nop 3
	v_cvt_f16_f32_e32 v58, v114
	v_cvt_f16_f32_e32 v59, v115
	;; [unrolled: 1-line block ×4, first 2 shown]
	v_cvt_f32_f16_e32 v114, v58
	v_cvt_f32_f16_e32 v115, v59
	s_waitcnt lgkmcnt(0)
	v_perm_b32 v59, v140, v54, s23
	v_perm_b32 v58, v133, v143, s23
	v_cvt_f32_f16_e32 v116, v64
	v_cvt_f32_f16_e32 v117, v68
	v_add_f32_e32 v56, v99, v100
	v_add_f32_e32 v54, v101, v56
	v_mfma_f32_16x16x16_f16 v[114:117], v[58:59], v[124:125], v[114:117]
	v_perm_b32 v59, v142, v136, s23
	v_perm_b32 v58, v149, v121, s23
	v_cvt_f32_f16_sdwa v121, v31 dst_sel:DWORD dst_unused:UNUSED_PAD src0_sel:WORD_1
	v_add_f32_e32 v31, v43, v54
	v_add_f32_e32 v31, v126, v31
	v_mfma_f32_16x16x16_f16 v[118:121], v[58:59], v[122:123], v[118:121]
	v_perm_b32 v59, v141, v132, s23
	v_perm_b32 v58, v131, v152, s23
	v_add_f32_e32 v31, v127, v31
	v_add_f32_e32 v31, v128, v31
	s_nop 3
	v_cvt_f16_f32_e32 v43, v118
	v_cvt_f16_f32_e32 v53, v119
	;; [unrolled: 1-line block ×4, first 2 shown]
	v_cvt_f32_f16_e32 v118, v43
	v_cvt_f32_f16_e32 v119, v53
	v_cvt_f32_f16_e32 v120, v54
	v_cvt_f32_f16_e32 v121, v56
	v_add_f32_e32 v43, v130, v31
	v_fmac_f32_e32 v43, v98, v129
	v_mfma_f32_16x16x16_f16 v[98:101], v[58:59], v[124:125], v[118:121]
	v_cmp_lt_i32_e32 vcc, s62, v80
	v_cvt_pk_f16_f32 v56, v114, v115
	v_cvt_pk_f16_f32 v54, v116, v117
	;; [unrolled: 1-line block ×14, first 2 shown]
	s_barrier
	s_cbranch_vccz .LBB19_295
; %bb.292:                              ;   in Loop: Header=BB19_287 Depth=1
	v_mov_b32_e32 v98, v43
	v_mov_b32_e32 v12, v72
	s_ashr_i32 s9, s8, 31
	s_and_saveexec_b64 s[10:11], s[0:1]
	s_cbranch_execnz .LBB19_286
	s_branch .LBB19_287
.LBB19_293:
                                        ; implicit-def: $sgpr64_sgpr65
	s_load_dwordx2 s[30:31], s[0:1], 0x5c
	s_branch .LBB19_7
.LBB19_294:
	v_mov_b32_e32 v72, 0xfeffffff
	v_mov_b32_e32 v43, 0
	v_mov_b32_e32 v31, 0
	v_mov_b32_e32 v53, 0
	v_mov_b32_e32 v78, 0
	v_mov_b32_e32 v79, 0
	v_mov_b32_e32 v64, 0
	v_mov_b32_e32 v68, 0
	v_mov_b32_e32 v62, 0
	v_mov_b32_e32 v63, 0
	v_mov_b32_e32 v60, 0
	v_mov_b32_e32 v61, 0
	v_mov_b32_e32 v58, 0
	v_mov_b32_e32 v59, 0
	v_mov_b32_e32 v54, 0
	v_mov_b32_e32 v56, 0
.LBB19_295:
	s_lshl_b32 s4, s62, 6
	s_ashr_i32 s5, s4, 31
	v_cmp_gt_u32_e32 vcc, 4, v70
	s_and_saveexec_b64 s[0:1], vcc
	s_cbranch_execz .LBB19_297
; %bb.296:
	v_or_b32_e32 v12, s2, v70
	v_mul_hi_u32 v13, s30, v12
	v_add_u32_e32 v13, v12, v13
	v_lshrrev_b32_e32 v13, s31, v13
	s_lshl_b64 s[8:9], s[4:5], 1
	v_mul_lo_u32 v13, v13, s20
	s_add_u32 s6, s6, s8
	v_sub_u32_e32 v13, v12, v13
	s_addc_u32 s7, s7, s9
	v_mad_i64_i32 v[14:15], s[8:9], v13, s58, 0
	v_and_b32_e32 v12, 0x7c, v76
	v_lshl_add_u64 v[14:15], v[14:15], 1, s[6:7]
	v_mov_b32_e32 v13, 0
	v_lshl_add_u64 v[14:15], v[14:15], 0, v[12:13]
	global_load_dword v13, v[14:15], off
	v_mul_u32_u24_e32 v14, 0x90, v70
	v_add3_u32 v12, 0, v14, v12
	s_waitcnt vmcnt(0)
	ds_write_b32 v12, v13 offset:15360
.LBB19_297:
	s_or_b64 exec, exec, s[0:1]
	s_mul_hi_i32 s1, s4, s28
	s_mul_i32 s0, s4, s28
	s_lshl_b64 s[0:1], s[0:1], 2
	s_add_u32 s6, s15, s0
	v_lshl_add_u32 v28, v47, 5, v77
	s_addc_u32 s7, s16, s1
	v_cmp_gt_u32_e32 vcc, 64, v28
	v_cmp_lt_u32_e64 s[0:1], 63, v28
                                        ; implicit-def: $vgpr30
                                        ; implicit-def: $vgpr24
	s_and_saveexec_b64 s[8:9], s[0:1]
	s_xor_b64 s[0:1], exec, s[8:9]
; %bb.298:
	v_mul_u32_u24_e32 v30, 0xf0, v28
	v_and_or_b32 v24, v76, 4, 48
	v_mov_b32_e32 v25, 0
; %bb.299:
	s_andn2_saveexec_b64 s[0:1], s[0:1]
	s_cbranch_execz .LBB19_301
; %bb.300:
	v_mul_lo_u32 v12, s28, v28
	v_ashrrev_i32_e32 v13, 31, v12
	v_and_b32_e32 v23, 4, v76
	v_mov_b32_e32 v25, 0
	v_lshl_add_u64 v[12:13], v[12:13], 2, s[6:7]
	v_lshlrev_b32_e32 v26, 2, v23
	v_mov_b32_e32 v27, v25
	v_lshl_add_u64 v[12:13], v[12:13], 0, v[26:27]
	global_load_dwordx4 v[12:15], v[12:13], off offset:192
	v_mul_u32_u24_e32 v30, 0xf0, v28
	v_or_b32_e32 v24, 48, v23
	v_add3_u32 v23, 0, v30, v26
	s_waitcnt vmcnt(0)
	ds_write_b128 v23, v[12:15] offset:192
.LBB19_301:
	s_or_b64 exec, exec, s[0:1]
	v_add_u32_e32 v27, v57, v73
	v_mul_lo_u32 v12, s28, v27
	v_ashrrev_i32_e32 v13, 31, v12
	v_and_b32_e32 v14, 12, v76
	v_lshl_add_u64 v[12:13], v[12:13], 2, s[6:7]
	v_lshlrev_b32_e32 v14, 2, v14
	v_mov_b32_e32 v15, 0
	v_lshl_add_u64 v[36:37], v[12:13], 0, v[14:15]
	v_and_b32_e32 v12, 28, v76
	v_ashrrev_i32_e32 v23, 31, v22
	v_lshlrev_b32_e32 v12, 2, v12
	v_lshl_add_u64 v[20:21], v[20:21], 2, s[6:7]
	v_mov_b32_e32 v13, v15
	v_lshl_add_u64 v[22:23], v[22:23], 2, s[6:7]
	v_lshl_add_u64 v[20:21], v[20:21], 0, v[12:13]
	;; [unrolled: 1-line block ×3, first 2 shown]
	global_load_dwordx4 v[32:35], v[36:37], off offset:128
	global_load_dwordx4 v[80:83], v[20:21], off
	global_load_dwordx4 v[84:87], v[22:23], off
	v_and_b32_e32 v22, 16, v57
	v_mul_u32_u24_e32 v20, 0xf0, v71
	v_add_u32_e32 v23, 0, v75
	v_mul_u32_u24_e32 v21, 0xf0, v27
	v_mul_u32_u24_e32 v26, 0xf0, v22
	v_add3_u32 v29, 0, v21, v14
	v_add3_u32 v21, 0, v20, v12
	;; [unrolled: 1-line block ×3, first 2 shown]
	v_add_u32_e32 v23, 0x1800, v20
	v_mbcnt_hi_u32_b32 v42, -1, v93
	v_lshrrev_b32_e32 v36, 3, v74
	v_and_b32_e32 v26, 0xfc, v73
	v_add_u32_e32 v37, v26, v22
	v_add_u16_e32 v22, v26, v22
	s_movk_i32 s0, 0x90
	v_lshrrev_b16_e32 v22, 1, v22
	s_movk_i32 s1, 0x3c00
	v_mad_u32_u24 v36, v36, s0, 0
	v_and_b32_e32 v26, 64, v42
	v_xor_b32_e32 v40, 32, v42
	v_lshl_add_u32 v37, v37, 1, v36
	v_add_u32_e32 v71, 64, v26
	v_xor_b32_e32 v70, 16, v42
	s_waitcnt vmcnt(2)
	ds_write_b128 v29, v[32:35] offset:128
	s_waitcnt vmcnt(1)
	ds_write_b128 v21, v[80:83]
	s_waitcnt vmcnt(0)
	ds_write_b128 v21, v[84:87] offset:7680
	s_waitcnt lgkmcnt(0)
	s_barrier
	ds_read2_b64 v[32:35], v20 offset1:4
	ds_read2_b64 v[80:83], v23 offset0:192 offset1:196
	s_waitcnt lgkmcnt(1)
	v_mfma_f32_16x16x16_f16 v[84:87], v[32:33], v[8:9], 0
	ds_read2_b64 v[92:95], v20 offset0:8 offset1:12
	v_mfma_f32_16x16x16_f16 v[32:35], v[34:35], v[10:11], v[84:87]
	s_nop 5
	ds_read2_b64 v[84:87], v23 offset0:200 offset1:204
	s_waitcnt lgkmcnt(2)
	v_mfma_f32_16x16x16_f16 v[74:77], v[80:81], v[8:9], 0
	v_mfma_f32_16x16x16_f16 v[8:11], v[82:83], v[10:11], v[74:77]
	ds_read2_b64 v[80:83], v23 offset0:208 offset1:212
	s_nop 5
	ds_read2_b64 v[74:77], v20 offset0:16 offset1:20
	s_waitcnt lgkmcnt(3)
	v_mfma_f32_16x16x16_f16 v[32:35], v[92:93], v[4:5], v[32:35]
	s_waitcnt lgkmcnt(2)
	v_mfma_f32_16x16x16_f16 v[8:11], v[84:85], v[4:5], v[8:11]
	v_lshlrev_b32_e32 v5, 2, v22
	v_add3_u32 v5, v36, v5, s1
	v_add_u32_e32 v4, 0x80, v29
	v_mfma_f32_16x16x16_f16 v[32:35], v[94:95], v[6:7], v[32:35]
	v_add_u32_e32 v29, 0x3c00, v37
	v_cmp_lt_i32_e64 s[0:1], v40, v71
	v_mfma_f32_16x16x16_f16 v[6:9], v[86:87], v[6:7], v[8:11]
	s_nop 2
	ds_read_b64 v[10:11], v20 offset:192
	ds_read_b64 v[22:23], v20 offset:7872
	s_waitcnt lgkmcnt(0)
	s_barrier
	v_mfma_f32_16x16x16_f16 v[32:35], v[74:75], v[0:1], v[32:35]
	ds_read2_b32 v[36:37], v5 offset1:1
	s_waitcnt lgkmcnt(0)
	v_cvt_f32_f16_e32 v5, v36
	v_mfma_f32_16x16x16_f16 v[6:9], v[80:81], v[0:1], v[6:9]
	v_cndmask_b32_e64 v0, v42, v40, s[0:1]
	ds_read2_b32 v[40:41], v29 offset0:16 offset1:17
	v_lshlrev_b32_e32 v26, 2, v0
	v_mfma_f32_16x16x16_f16 v[32:35], v[76:77], v[2:3], v[32:35]
	v_cvt_f32_f16_sdwa v20, v36 dst_sel:DWORD dst_unused:UNUSED_PAD src0_sel:WORD_1
	v_cvt_f32_f16_sdwa v29, v37 dst_sel:DWORD dst_unused:UNUSED_PAD src0_sel:WORD_1
	s_waitcnt lgkmcnt(0)
	v_cvt_f32_f16_e32 v36, v40
	v_mfma_f32_16x16x16_f16 v[0:3], v[82:83], v[2:3], v[6:9]
	v_cmp_lt_i32_e64 s[0:1], v70, v71
	v_mfma_f32_16x16x16_f16 v[32:35], v[10:11], v[18:19], v[32:35]
	s_nop 0
	v_cvt_f32_f16_e32 v6, v37
	v_cvt_f32_f16_sdwa v10, v40 dst_sel:DWORD dst_unused:UNUSED_PAD src0_sel:WORD_1
	v_cvt_f32_f16_e32 v11, v41
	v_mfma_f32_16x16x16_f16 v[74:77], v[22:23], v[18:19], v[0:3]
	v_cvt_f32_f16_sdwa v37, v41 dst_sel:DWORD dst_unused:UNUSED_PAD src0_sel:WORD_1
	s_nop 1
	v_add_f32_e32 v9, v32, v5
	v_add_f32_e32 v8, v33, v20
	;; [unrolled: 1-line block ×4, first 2 shown]
	s_nop 0
	v_add_f32_e32 v3, v75, v10
	v_add_f32_e32 v0, 0x40051340, v9
	;; [unrolled: 1-line block ×7, first 2 shown]
	v_max3_f32 v0, v72, v0, v10
	v_add_f32_e32 v1, v77, v37
	v_add_f32_e32 v19, 0x40051340, v5
	;; [unrolled: 1-line block ×3, first 2 shown]
	v_max3_f32 v0, v0, v11, v18
	v_add_f32_e32 v22, 0x40051340, v2
	v_add_f32_e32 v23, 0x40051340, v1
	v_max3_f32 v0, v0, v19, v20
	v_max3_f32 v10, v0, v22, v23
	ds_bpermute_b32 v11, v26, v10
	v_cndmask_b32_e64 v18, v42, v70, s[0:1]
	v_lshlrev_b32_e32 v29, 2, v18
	s_mul_hi_i32 s1, s4, s22
	s_mul_i32 s0, s4, s22
	s_waitcnt lgkmcnt(0)
	v_max_f32_e32 v11, v11, v11
	v_max_f32_e32 v10, v10, v11
	ds_bpermute_b32 v11, v29, v10
	s_lshl_b64 s[0:1], s[0:1], 2
	s_add_u32 s0, s3, s0
	v_add_u32_e32 v0, 0x1e00, v21
	s_addc_u32 s1, s14, s1
	s_and_saveexec_b64 s[4:5], vcc
	s_cbranch_execz .LBB19_303
; %bb.302:
	v_mul_lo_u32 v18, s22, v28
	v_ashrrev_i32_e32 v19, 31, v18
	v_lshl_add_u64 v[18:19], v[18:19], 2, s[0:1]
	v_lshl_add_u64 v[18:19], v[24:25], 2, v[18:19]
	global_load_dwordx4 v[32:35], v[18:19], off
	v_lshlrev_b32_e32 v18, 2, v24
	v_add3_u32 v18, 0, v30, v18
	s_waitcnt vmcnt(0)
	ds_write_b128 v18, v[32:35]
.LBB19_303:
	s_or_b64 exec, exec, s[4:5]
	s_waitcnt lgkmcnt(0)
	v_max_f32_e32 v11, v11, v11
	v_max_f32_e32 v10, v10, v10
	v_max_f32_e32 v28, v10, v11
	v_sub_f32_e32 v9, v9, v28
	s_mov_b32 s4, 0x3fb8aa3b
	v_mul_f32_e32 v10, 0x3fb8aa3b, v9
	v_fma_f32 v11, v9, s4, -v10
	v_rndne_f32_e32 v18, v10
	v_fmac_f32_e32 v11, 0x32a5705f, v9
	v_sub_f32_e32 v10, v10, v18
	v_add_f32_e32 v10, v10, v11
	v_exp_f32_e32 v10, v10
	v_cvt_i32_f32_e32 v11, v18
	v_sub_f32_e32 v8, v8, v28
	s_mov_b32 s2, 0xc2ce8ed0
	v_cmp_ngt_f32_e32 vcc, s2, v9
	v_ldexp_f32 v10, v10, v11
	v_mul_f32_e32 v11, 0x3fb8aa3b, v8
	v_fma_f32 v18, v8, s4, -v11
	v_rndne_f32_e32 v19, v11
	v_fmac_f32_e32 v18, 0x32a5705f, v8
	v_sub_f32_e32 v11, v11, v19
	v_add_f32_e32 v11, v11, v18
	v_exp_f32_e32 v11, v11
	v_cvt_i32_f32_e32 v19, v19
	s_mov_b32 s3, 0x42b17218
	v_cndmask_b32_e32 v10, 0, v10, vcc
	v_mov_b32_e32 v30, 0x7f800000
	v_cmp_nlt_f32_e32 vcc, s3, v9
	v_sub_f32_e32 v7, v7, v28
	v_ldexp_f32 v9, v11, v19
	v_cndmask_b32_e32 v18, v30, v10, vcc
	v_mul_f32_e32 v10, 0x3fb8aa3b, v7
	v_fma_f32 v11, v7, s4, -v10
	v_rndne_f32_e32 v19, v10
	v_fmac_f32_e32 v11, 0x32a5705f, v7
	v_sub_f32_e32 v10, v10, v19
	v_add_f32_e32 v10, v10, v11
	v_exp_f32_e32 v10, v10
	v_cvt_i32_f32_e32 v11, v19
	v_cmp_ngt_f32_e32 vcc, s2, v8
	v_sub_f32_e32 v32, v6, v28
	v_mul_f32_e32 v6, 0x3fb8aa3b, v32
	v_cndmask_b32_e32 v9, 0, v9, vcc
	v_cmp_nlt_f32_e32 vcc, s3, v8
	v_ldexp_f32 v8, v10, v11
	v_rndne_f32_e32 v10, v6
	v_cndmask_b32_e32 v19, v30, v9, vcc
	v_fma_f32 v9, v32, s4, -v6
	v_fmac_f32_e32 v9, 0x32a5705f, v32
	v_sub_f32_e32 v6, v6, v10
	v_add_f32_e32 v6, v6, v9
	v_exp_f32_e32 v6, v6
	v_cvt_i32_f32_e32 v9, v10
	v_cmp_ngt_f32_e32 vcc, s2, v7
	v_sub_f32_e32 v5, v5, v28
	v_mul_lo_u32 v10, s22, v69
	v_cndmask_b32_e32 v8, 0, v8, vcc
	v_cmp_nlt_f32_e32 vcc, s3, v7
	v_ldexp_f32 v33, v6, v9
	v_mul_f32_e32 v6, 0x3fb8aa3b, v5
	v_cndmask_b32_e32 v20, v30, v8, vcc
	v_fma_f32 v7, v5, s4, -v6
	v_rndne_f32_e32 v8, v6
	v_fmac_f32_e32 v7, 0x32a5705f, v5
	v_sub_f32_e32 v6, v6, v8
	v_add_f32_e32 v6, v6, v7
	v_exp_f32_e32 v34, v6
	v_mul_lo_u32 v6, s22, v27
	v_ashrrev_i32_e32 v7, 31, v6
	v_lshl_add_u64 v[6:7], v[6:7], 2, s[0:1]
	v_ashrrev_i32_e32 v11, 31, v10
	v_lshl_add_u64 v[22:23], v[6:7], 0, v[14:15]
	v_lshl_add_u64 v[6:7], v[16:17], 2, s[0:1]
	v_cvt_i32_f32_e32 v35, v8
	v_lshl_add_u64 v[24:25], v[6:7], 0, v[12:13]
	global_load_dwordx4 v[6:9], v[22:23], off offset:128
	global_load_dwordx4 v[14:17], v[24:25], off
	v_lshl_add_u64 v[10:11], v[10:11], 2, s[0:1]
	v_lshl_add_u64 v[10:11], v[10:11], 0, v[12:13]
	global_load_dwordx4 v[10:13], v[10:11], off
	v_sub_f32_e32 v3, v3, v28
	v_mul_f32_e32 v23, 0x3fb8aa3b, v3
	v_fma_f32 v24, v3, s4, -v23
	v_rndne_f32_e32 v25, v23
	v_fmac_f32_e32 v24, 0x32a5705f, v3
	v_sub_f32_e32 v23, v23, v25
	v_cmp_ngt_f32_e32 vcc, s2, v32
	v_add_f32_e32 v23, v23, v24
	v_exp_f32_e32 v23, v23
	v_cndmask_b32_e32 v22, 0, v33, vcc
	v_cmp_nlt_f32_e32 vcc, s3, v32
	v_cvt_i32_f32_e32 v24, v25
	v_sub_f32_e32 v2, v2, v28
	v_cndmask_b32_e32 v27, v30, v22, vcc
	v_ldexp_f32 v22, v34, v35
	v_cmp_ngt_f32_e32 vcc, s2, v5
	v_sub_f32_e32 v1, v1, v28
	s_mov_b32 s0, 0xc1a00000
	v_cndmask_b32_e32 v22, 0, v22, vcc
	v_cmp_nlt_f32_e32 vcc, s3, v5
	v_ldexp_f32 v5, v23, v24
	v_cvt_pk_f16_f32 v35, v20, v27
	v_cndmask_b32_e32 v40, v30, v22, vcc
	v_mul_f32_e32 v22, 0x3fb8aa3b, v2
	v_fma_f32 v23, v2, s4, -v22
	v_rndne_f32_e32 v24, v22
	v_fmac_f32_e32 v23, 0x32a5705f, v2
	v_sub_f32_e32 v22, v22, v24
	v_add_f32_e32 v22, v22, v23
	v_exp_f32_e32 v22, v22
	v_cvt_i32_f32_e32 v23, v24
	v_cmp_ngt_f32_e32 vcc, s2, v3
	v_cvt_pk_f16_f32 v34, v18, v19
	s_waitcnt vmcnt(2)
	ds_write_b128 v4, v[6:9]
	s_waitcnt vmcnt(1)
	ds_write_b128 v21, v[14:17]
	;; [unrolled: 2-line block ×3, first 2 shown]
	v_cndmask_b32_e32 v5, 0, v5, vcc
	v_cmp_nlt_f32_e32 vcc, s3, v3
	v_ldexp_f32 v3, v22, v23
	s_waitcnt lgkmcnt(0)
	v_cndmask_b32_e32 v41, v30, v5, vcc
	v_mul_f32_e32 v5, 0x3fb8aa3b, v1
	v_fma_f32 v22, v1, s4, -v5
	v_rndne_f32_e32 v23, v5
	v_fmac_f32_e32 v22, 0x32a5705f, v1
	v_sub_f32_e32 v5, v5, v23
	v_add_f32_e32 v5, v5, v22
	v_cvt_i32_f32_e32 v22, v23
	v_sub_f32_e32 v23, v72, v28
	v_mul_f32_e32 v24, 0x3fb8aa3b, v23
	v_fma_f32 v25, v23, s4, -v24
	v_rndne_f32_e32 v32, v24
	v_fmac_f32_e32 v25, 0x32a5705f, v23
	v_sub_f32_e32 v24, v24, v32
	v_add_f32_e32 v24, v24, v25
	v_exp_f32_e32 v24, v24
	v_cvt_i32_f32_e32 v25, v32
	v_cmp_ngt_f32_e32 vcc, s2, v2
	v_exp_f32_e32 v5, v5
	s_barrier
	v_cndmask_b32_e32 v3, 0, v3, vcc
	v_cmp_nlt_f32_e32 vcc, s3, v2
	v_ldexp_f32 v2, v5, v22
	v_or_b32_e32 v5, 2, v67
	v_cndmask_b32_e32 v42, v30, v3, vcc
	v_ldexp_f32 v3, v24, v25
	v_cmp_ngt_f32_e32 vcc, s2, v23
	v_mul_u32_u24_e32 v5, 0xf0, v5
	v_and_b32_e32 v22, 0xfc, v67
	v_cndmask_b32_e32 v3, 0, v3, vcc
	v_cmp_nlt_f32_e32 vcc, s3, v23
	v_mul_u32_u24_e32 v22, 0xf0, v22
	s_nop 0
	v_cndmask_b32_e32 v3, v30, v3, vcc
	v_cmp_le_f32_e32 vcc, s0, v23
	s_movk_i32 s0, 0x1e0
	v_mad_u32_u24 v0, v66, s0, 0
	v_cndmask_b32_e32 v69, 0, v3, vcc
	v_cmp_ngt_f32_e32 vcc, s2, v1
	v_cvt_f16_f32_e32 v3, v69
	v_add3_u32 v32, v0, v5, v65
	v_cndmask_b32_e32 v2, 0, v2, vcc
	v_cmp_nlt_f32_e32 vcc, s3, v1
	v_add3_u32 v21, v0, v22, v65
	s_mov_b32 s0, 0x5040100
	v_cndmask_b32_e32 v70, v30, v2, vcc
	v_or_b32_e32 v2, 3, v67
	v_mul_u32_u24_e32 v2, 0xf0, v2
	v_add3_u32 v6, v0, v2, v65
	ds_read_u16 v4, v32
	ds_read_u16 v7, v32 offset:32
	ds_read_u16 v12, v32 offset:64
	;; [unrolled: 1-line block ×4, first 2 shown]
	ds_read_u16 v5, v6
	ds_read_u16 v8, v6 offset:32
	ds_read_u16 v13, v6 offset:64
	;; [unrolled: 1-line block ×6, first 2 shown]
	v_mul_u32_u24_e32 v30, 0x10001, v3
	s_waitcnt lgkmcnt(6)
	v_perm_b32 v5, v5, v4, s0
	ds_read_u16 v4, v21 offset:240
	ds_read_u16 v9, v21
	ds_read_u16 v10, v21 offset:32
	ds_read_u16 v14, v21 offset:64
	;; [unrolled: 1-line block ×6, first 2 shown]
	v_pk_mul_f16 v1, v79, v30
	v_pk_mul_f16 v3, v78, v30
	s_waitcnt lgkmcnt(6)
	v_perm_b32 v4, v4, v9, s0
	v_cvt_f32_f16_e32 v0, v1
	v_cvt_f32_f16_sdwa v1, v1 dst_sel:DWORD dst_unused:UNUSED_PAD src0_sel:WORD_1
	v_cvt_f32_f16_e32 v2, v3
	v_cvt_f32_f16_sdwa v3, v3 dst_sel:DWORD dst_unused:UNUSED_PAD src0_sel:WORD_1
	v_pk_mul_f16 v9, v68, v30
	v_cvt_pk_f16_f32 v37, v42, v70
	v_mfma_f32_16x16x16_f16 v[0:3], v[4:5], v[34:35], v[0:3]
	ds_read_u16 v4, v21 offset:7920
	ds_read_u16 v5, v32 offset:7680
	;; [unrolled: 1-line block ×15, first 2 shown]
	s_waitcnt lgkmcnt(7)
	v_perm_b32 v5, v24, v5, s0
	v_cvt_f16_f32_e32 v0, v0
	v_cvt_f16_f32_e32 v1, v1
	;; [unrolled: 1-line block ×4, first 2 shown]
	ds_read_u16 v6, v21 offset:7680
	ds_read_u16 v24, v21 offset:272
	;; [unrolled: 1-line block ×11, first 2 shown]
	s_waitcnt lgkmcnt(10)
	v_perm_b32 v4, v4, v6, s0
	v_cvt_f32_f16_e32 v0, v0
	v_cvt_f32_f16_e32 v1, v1
	;; [unrolled: 1-line block ×4, first 2 shown]
	v_cvt_pk_f16_f32 v36, v40, v41
	v_pk_mul_f16 v64, v64, v30
	v_perm_b32 v13, v13, v12, s0
	v_mfma_f32_16x16x16_f16 v[0:3], v[4:5], v[36:37], v[0:3]
	v_cvt_f32_f16_e32 v4, v9
	v_cvt_f32_f16_sdwa v5, v9 dst_sel:DWORD dst_unused:UNUSED_PAD src0_sel:WORD_1
	v_perm_b32 v9, v8, v7, s0
	s_waitcnt lgkmcnt(9)
	v_perm_b32 v8, v24, v10, s0
	v_cvt_f32_f16_e32 v6, v64
	v_cvt_f32_f16_sdwa v7, v64 dst_sel:DWORD dst_unused:UNUSED_PAD src0_sel:WORD_1
	v_pk_mul_f16 v10, v63, v30
	s_waitcnt lgkmcnt(7)
	v_perm_b32 v12, v82, v14, s0
	v_mfma_f32_16x16x16_f16 v[4:7], v[8:9], v[34:35], v[4:7]
	v_perm_b32 v9, v74, v11, s0
	s_waitcnt lgkmcnt(2)
	v_perm_b32 v8, v87, v81, s0
	v_pk_mul_f16 v11, v62, v30
	ds_read_u16 v14, v21 offset:7744
	ds_read_u16 v24, v21 offset:7776
	;; [unrolled: 1-line block ×4, first 2 shown]
	v_cvt_f16_f32_e32 v4, v4
	v_cvt_f16_f32_e32 v5, v5
	;; [unrolled: 1-line block ×4, first 2 shown]
	v_cvt_f32_f16_e32 v4, v4
	v_cvt_f32_f16_e32 v5, v5
	;; [unrolled: 1-line block ×4, first 2 shown]
	v_pk_mul_f16 v60, v60, v30
	v_pk_mul_f16 v58, v58, v30
	v_mfma_f32_16x16x16_f16 v[4:7], v[8:9], v[36:37], v[4:7]
	v_cvt_f32_f16_e32 v8, v10
	v_cvt_f32_f16_sdwa v9, v10 dst_sel:DWORD dst_unused:UNUSED_PAD src0_sel:WORD_1
	v_cvt_f32_f16_e32 v10, v11
	v_cvt_f32_f16_sdwa v11, v11 dst_sel:DWORD dst_unused:UNUSED_PAD src0_sel:WORD_1
	v_pk_mul_f16 v54, v54, v30
	s_nop 0
	v_mfma_f32_16x16x16_f16 v[8:11], v[12:13], v[34:35], v[8:11]
	v_perm_b32 v13, v75, v17, s0
	s_waitcnt lgkmcnt(3)
	v_perm_b32 v12, v88, v14, s0
	v_pk_mul_f16 v14, v61, v30
	v_perm_b32 v17, v16, v15, s0
	s_nop 2
	v_cvt_f16_f32_e32 v8, v8
	v_cvt_f16_f32_e32 v9, v9
	;; [unrolled: 1-line block ×4, first 2 shown]
	v_cvt_f32_f16_e32 v8, v8
	v_cvt_f32_f16_e32 v9, v9
	;; [unrolled: 1-line block ×4, first 2 shown]
	v_perm_b32 v16, v83, v22, s0
	v_cvt_f32_f16_sdwa v15, v60 dst_sel:DWORD dst_unused:UNUSED_PAD src0_sel:WORD_1
	v_mfma_f32_16x16x16_f16 v[8:11], v[12:13], v[36:37], v[8:11]
	v_cvt_f32_f16_e32 v12, v14
	v_cvt_f32_f16_sdwa v13, v14 dst_sel:DWORD dst_unused:UNUSED_PAD src0_sel:WORD_1
	v_cvt_f32_f16_e32 v14, v60
	ds_read_u16 v22, v21 offset:8016
	ds_read_u16 v60, v21 offset:8048
	;; [unrolled: 1-line block ×3, first 2 shown]
	v_mfma_f32_16x16x16_f16 v[12:15], v[16:17], v[34:35], v[12:15]
	v_perm_b32 v17, v76, v23, s0
	s_waitcnt lgkmcnt(2)
	v_perm_b32 v16, v22, v24, s0
	ds_read_u16 v21, v32 offset:128
	ds_read_u16 v64, v32 offset:160
	s_nop 2
	v_cvt_f16_f32_e32 v12, v12
	v_cvt_f16_f32_e32 v13, v13
	;; [unrolled: 1-line block ×4, first 2 shown]
	v_cvt_f32_f16_e32 v12, v12
	v_cvt_f32_f16_e32 v13, v13
	v_cvt_f32_f16_e32 v14, v14
	v_cvt_f32_f16_e32 v15, v15
	v_pk_mul_f16 v23, v59, v30
	v_cvt_f32_f16_e32 v24, v58
	v_mfma_f32_16x16x16_f16 v[12:15], v[16:17], v[36:37], v[12:15]
	s_waitcnt lgkmcnt(1)
	v_perm_b32 v17, v25, v21, s0
	v_perm_b32 v16, v84, v67, s0
	v_cvt_f32_f16_e32 v22, v23
	v_cvt_f32_f16_sdwa v23, v23 dst_sel:DWORD dst_unused:UNUSED_PAD src0_sel:WORD_1
	v_cvt_f32_f16_sdwa v25, v58 dst_sel:DWORD dst_unused:UNUSED_PAD src0_sel:WORD_1
	ds_read_u16 v58, v32 offset:7840
	v_pk_mul_f16 v32, v56, v30
	v_mfma_f32_16x16x16_f16 v[22:25], v[16:17], v[34:35], v[22:25]
	s_waitcnt lgkmcnt(1)
	v_perm_b32 v33, v33, v64, s0
	s_waitcnt lgkmcnt(0)
	s_barrier
	s_nop 3
	v_cvt_f16_f32_e32 v16, v22
	v_cvt_f16_f32_e32 v17, v23
	;; [unrolled: 1-line block ×4, first 2 shown]
	v_cvt_f32_f16_e32 v22, v16
	v_cvt_f32_f16_e32 v23, v17
	v_perm_b32 v17, v77, v68, s0
	v_perm_b32 v16, v60, v62, s0
	v_cvt_f32_f16_e32 v24, v21
	v_cvt_f32_f16_e32 v25, v25
	v_add_f32_e32 v21, v18, v19
	v_add_f32_e32 v20, v20, v21
	v_mfma_f32_16x16x16_f16 v[16:19], v[16:17], v[36:37], v[22:25]
	v_add_f32_e32 v20, v27, v20
	v_add_f32_e32 v27, v40, v20
	s_nop 0
	v_cvt_f32_f16_e32 v22, v32
	v_cvt_f32_f16_sdwa v23, v32 dst_sel:DWORD dst_unused:UNUSED_PAD src0_sel:WORD_1
	v_perm_b32 v32, v85, v71, s0
	v_cvt_f32_f16_e32 v24, v54
	v_cvt_f32_f16_sdwa v25, v54 dst_sel:DWORD dst_unused:UNUSED_PAD src0_sel:WORD_1
	v_add_f32_e32 v27, v41, v27
	v_add_f32_e32 v27, v42, v27
	v_mfma_f32_16x16x16_f16 v[20:23], v[32:33], v[34:35], v[22:25]
	v_pk_mul_f16 v32, v53, v30
	v_pk_mul_f16 v33, v31, v30
	s_nop 0
	v_perm_b32 v25, v78, v58, s0
	v_perm_b32 v24, v61, v63, s0
	s_nop 2
	v_cvt_f16_f32_e32 v20, v20
	v_cvt_f16_f32_e32 v21, v21
	;; [unrolled: 1-line block ×4, first 2 shown]
	v_cvt_f32_f16_e32 v20, v20
	v_cvt_f32_f16_e32 v21, v21
	;; [unrolled: 1-line block ×5, first 2 shown]
	v_cvt_f32_f16_sdwa v31, v32 dst_sel:DWORD dst_unused:UNUSED_PAD src0_sel:WORD_1
	v_mfma_f32_16x16x16_f16 v[20:23], v[24:25], v[36:37], v[20:23]
	v_perm_b32 v25, v80, v73, s0
	v_perm_b32 v24, v86, v72, s0
	v_cvt_f32_f16_e32 v32, v33
	v_cvt_f32_f16_sdwa v33, v33 dst_sel:DWORD dst_unused:UNUSED_PAD src0_sel:WORD_1
	v_add_f32_e32 v40, v70, v27
	v_fmac_f32_e32 v40, v43, v69
	v_mfma_f32_16x16x16_f16 v[30:33], v[24:25], v[34:35], v[30:33]
	ds_bpermute_b32 v34, v26, v40
	s_nop 6
	v_cvt_f16_f32_e32 v24, v30
	v_cvt_f16_f32_e32 v25, v31
	;; [unrolled: 1-line block ×4, first 2 shown]
	v_cvt_f32_f16_e32 v30, v24
	v_cvt_f32_f16_e32 v31, v25
	v_perm_b32 v25, v79, v66, s0
	v_perm_b32 v24, v65, v89, s0
	v_cvt_f32_f16_e32 v32, v27
	v_cvt_f32_f16_e32 v33, v33
	v_cmp_gt_u32_e64 s[0:1], 16, v46
	s_nop 0
	v_mfma_f32_16x16x16_f16 v[24:27], v[24:25], v[36:37], v[30:33]
	s_waitcnt lgkmcnt(0)
	s_nop 1
	v_add_f32_e32 v30, v40, v34
	ds_bpermute_b32 v31, v29, v30
	s_and_saveexec_b64 s[4:5], s[0:1]
	s_cbranch_execz .LBB19_305
; %bb.304:
	s_waitcnt lgkmcnt(0)
	v_add_f32_e32 v30, v30, v31
	v_or_b32_e32 v31, v57, v46
	s_movk_i32 s2, 0xf0
	v_mad_u32_u24 v31, v31, s2, 0
	ds_write2_b32 v31, v28, v30 offset0:56 offset1:57
.LBB19_305:
	s_or_b64 exec, exec, s[4:5]
	v_and_b32_e32 v28, 1, v47
	v_cmp_eq_u32_e32 vcc, 0, v28
	v_cmp_eq_u32_e64 s[4:5], 1, v28
	s_waitcnt lgkmcnt(0)
	s_barrier
	s_and_saveexec_b64 s[2:3], s[4:5]
	s_xor_b64 s[4:5], exec, s[2:3]
	s_cbranch_execz .LBB19_307
; %bb.306:
	s_barrier
                                        ; implicit-def: $vgpr91
                                        ; implicit-def: $vgpr29
.LBB19_307:
	s_andn2_saveexec_b64 s[6:7], s[4:5]
	s_cbranch_execz .LBB19_313
; %bb.308:
	v_or_b32_e32 v32, v57, v38
	s_movk_i32 s2, 0xf0
	v_mad_u32_u24 v28, v32, s2, 0
	ds_read_b64 v[34:35], v28 offset:224
	s_mov_b32 s2, 0x3fb8aa3b
	s_mov_b32 s3, 0x42b17218
	s_waitcnt lgkmcnt(0)
	s_barrier
	ds_bpermute_b32 v28, v29, v34
	v_max_f32_e32 v30, v34, v34
	s_waitcnt lgkmcnt(0)
	v_max_f32_e32 v28, v28, v28
	v_max_f32_e32 v28, v30, v28
	v_sub_f32_e32 v30, v34, v28
	v_mul_f32_e32 v31, 0x3fb8aa3b, v30
	v_fma_f32 v33, v30, s2, -v31
	v_rndne_f32_e32 v34, v31
	v_fmamk_f32 v33, v30, 0x32a5705f, v33
	v_sub_f32_e32 v31, v31, v34
	v_add_f32_e32 v31, v31, v33
	v_cvt_i32_f32_e32 v34, v34
	v_exp_f32_e32 v31, v31
	s_mov_b32 s2, 0xc2ce8ed0
	v_cmp_ngt_f32_e64 s[4:5], s2, v30
	v_mov_b32_e32 v33, 0x7f800000
	v_ldexp_f32 v31, v31, v34
	v_cndmask_b32_e64 v31, 0, v31, s[4:5]
	v_cmp_nlt_f32_e64 s[4:5], s3, v30
	s_nop 1
	v_cndmask_b32_e64 v30, v33, v31, s[4:5]
	v_mul_f32_e32 v31, v35, v30
	ds_bpermute_b32 v31, v29, v31
	v_cmp_gt_u32_e64 s[4:5], 32, v46
	s_waitcnt lgkmcnt(0)
	v_fmac_f32_e32 v31, v35, v30
	s_and_saveexec_b64 s[8:9], s[4:5]
; %bb.309:
	v_mul_u32_u24_e32 v29, 0xf0, v32
	v_add_u32_e32 v29, 0, v29
	ds_write_b64 v29, v[30:31] offset:224
; %bb.310:
	s_or_b64 exec, exec, s[8:9]
	s_and_saveexec_b64 s[4:5], s[0:1]
	s_cbranch_execz .LBB19_312
; %bb.311:
	s_add_i32 s0, s29, s33
	s_lshl_b32 s0, s0, 5
	s_mov_b32 s1, 0
	s_lshl_b64 s[0:1], s[0:1], 3
	s_add_u32 s0, s50, s0
	v_or_b32_e32 v29, v91, v46
	s_addc_u32 s1, s51, s1
	v_lshlrev_b32_e32 v30, 3, v29
	v_mov_b32_e32 v29, v31
	global_store_dwordx2 v30, v[28:29], s[0:1]
.LBB19_312:
	s_or_b64 exec, exec, s[4:5]
.LBB19_313:
	s_or_b64 exec, exec, s[6:7]
	v_cvt_pk_f16_f32 v0, v0, v1
	v_cvt_pk_f16_f32 v1, v6, v7
	;; [unrolled: 1-line block ×3, first 2 shown]
	v_or_b32_e32 v14, v57, v49
	v_mul_u32_u24_e32 v14, 0xf0, v14
	v_cvt_pk_f16_f32 v2, v2, v3
	s_movk_i32 s4, 0xf0
	s_mov_b32 s3, 0
	v_add3_u32 v14, 0, v14, v52
	v_cvt_pk_f16_f32 v3, v4, v5
	v_cvt_pk_f16_f32 v4, v10, v11
	;; [unrolled: 1-line block ×10, first 2 shown]
	ds_write2_b32 v14, v0, v2 offset1:1
	ds_write2_b32 v14, v3, v1 offset0:8 offset1:9
	ds_write2_b32 v14, v5, v4 offset0:16 offset1:17
	;; [unrolled: 1-line block ×6, first 2 shown]
	s_waitcnt lgkmcnt(0)
	s_barrier
	s_and_saveexec_b64 s[0:1], vcc
	s_cbranch_execz .LBB19_315
; %bb.314:
	s_mul_i32 s2, s33, 0x700
	s_lshl_b64 s[6:7], s[2:3], 3
	s_add_u32 s5, s50, s6
	s_addc_u32 s6, s51, s7
	s_lshl_b32 s2, s29, 6
	s_lshl_b64 s[2:3], s[2:3], 3
	v_add_u32_e32 v8, v55, v47
	s_add_u32 s2, s5, s2
	v_lshlrev_b32_e32 v9, 1, v8
	v_and_b32_e32 v10, 15, v8
	s_movk_i32 s5, 0xfe0
	v_and_or_b32 v2, v9, s5, v10
	v_mad_u32_u24 v0, v2, s4, v44
	ds_read2st64_b32 v[0:1], v0 offset1:15
	v_mad_u32_u24 v2, v2, s4, 0
	v_add_u32_e32 v2, 0xe0, v2
	ds_read2st64_b32 v[2:3], v2 offset1:15
	s_movk_i32 s5, 0x1fe0
	s_waitcnt lgkmcnt(1)
	v_cvt_f32_f16_e32 v4, v0
	v_cvt_f32_f16_sdwa v5, v0 dst_sel:DWORD dst_unused:UNUSED_PAD src0_sel:WORD_1
	v_cvt_f32_f16_e32 v0, v1
	v_cvt_f32_f16_sdwa v1, v1 dst_sel:DWORD dst_unused:UNUSED_PAD src0_sel:WORD_1
	v_mul_u32_u24_e32 v6, 56, v8
	s_waitcnt lgkmcnt(0)
	v_pk_fma_f32 v[4:5], v[2:3], v[4:5], 0 op_sel_hi:[0,1,0]
	v_mov_b32_e32 v2, v3
	v_pk_fma_f32 v[0:1], v[2:3], v[0:1], v[4:5] op_sel_hi:[0,1,1]
	v_add_u32_e32 v2, 4, v8
	v_lshlrev_b32_e32 v3, 1, v2
	v_and_b32_e32 v2, 15, v2
	v_and_or_b32 v4, v3, s5, v2
	v_mad_u32_u24 v2, v4, s4, v44
	ds_read2st64_b32 v[2:3], v2 offset1:15
	v_mad_u32_u24 v4, v4, s4, 0
	v_add_u32_e32 v4, 0xe0, v4
	ds_read2st64_b32 v[4:5], v4 offset1:15
	v_add_lshl_u32 v11, v6, v38, 3
	s_waitcnt lgkmcnt(1)
	v_cvt_f32_f16_e32 v6, v2
	v_cvt_f32_f16_sdwa v7, v2 dst_sel:DWORD dst_unused:UNUSED_PAD src0_sel:WORD_1
	v_cvt_f32_f16_e32 v2, v3
	v_cvt_f32_f16_sdwa v3, v3 dst_sel:DWORD dst_unused:UNUSED_PAD src0_sel:WORD_1
	s_addc_u32 s3, s6, s3
	global_store_dwordx2 v11, v[0:1], s[2:3]
	s_waitcnt lgkmcnt(0)
	v_pk_fma_f32 v[0:1], v[4:5], v[6:7], 0 op_sel_hi:[0,1,0]
	v_mov_b32_e32 v4, v5
	v_pk_fma_f32 v[0:1], v[4:5], v[2:3], v[0:1] op_sel_hi:[0,1,1]
	v_add_u32_e32 v2, 8, v8
	v_lshlrev_b32_e32 v3, 1, v2
	v_and_b32_e32 v2, 15, v2
	v_and_or_b32 v4, v3, s5, v2
	v_mad_u32_u24 v2, v4, s4, v44
	ds_read2st64_b32 v[2:3], v2 offset1:15
	global_store_dwordx2 v11, v[0:1], s[2:3] offset:1792
	v_mad_u32_u24 v0, v4, s4, 0
	v_add_u32_e32 v0, 0xe0, v0
	ds_read2st64_b32 v[0:1], v0 offset1:15
	s_waitcnt lgkmcnt(1)
	v_cvt_f32_f16_e32 v4, v2
	v_cvt_f32_f16_sdwa v5, v2 dst_sel:DWORD dst_unused:UNUSED_PAD src0_sel:WORD_1
	v_cvt_f32_f16_e32 v2, v3
	v_cvt_f32_f16_sdwa v3, v3 dst_sel:DWORD dst_unused:UNUSED_PAD src0_sel:WORD_1
	v_add_u32_e32 v6, 0xe00, v11
	s_waitcnt lgkmcnt(0)
	v_pk_fma_f32 v[4:5], v[0:1], v[4:5], 0 op_sel_hi:[0,1,0]
	v_mov_b32_e32 v0, v1
	v_pk_fma_f32 v[0:1], v[0:1], v[2:3], v[4:5] op_sel_hi:[0,1,1]
	v_add_u32_e32 v2, 12, v8
	v_lshlrev_b32_e32 v3, 1, v2
	v_and_b32_e32 v2, 15, v2
	v_and_or_b32 v4, v3, s5, v2
	v_mad_u32_u24 v2, v4, s4, v44
	ds_read2st64_b32 v[2:3], v2 offset1:15
	global_store_dwordx2 v6, v[0:1], s[2:3]
	v_mad_u32_u24 v0, v4, s4, 0
	v_add_u32_e32 v0, 0xe0, v0
	ds_read2st64_b32 v[0:1], v0 offset1:15
	s_waitcnt lgkmcnt(1)
	v_cvt_f32_f16_e32 v4, v2
	v_cvt_f32_f16_sdwa v5, v2 dst_sel:DWORD dst_unused:UNUSED_PAD src0_sel:WORD_1
	v_cvt_f32_f16_e32 v2, v3
	v_cvt_f32_f16_sdwa v3, v3 dst_sel:DWORD dst_unused:UNUSED_PAD src0_sel:WORD_1
	v_add_u32_e32 v6, 0x1500, v11
	s_waitcnt lgkmcnt(0)
	v_pk_fma_f32 v[4:5], v[0:1], v[4:5], 0 op_sel_hi:[0,1,0]
	v_mov_b32_e32 v0, v1
	v_pk_fma_f32 v[0:1], v[0:1], v[2:3], v[4:5] op_sel_hi:[0,1,1]
	v_add_u32_e32 v2, 32, v9
	v_and_or_b32 v4, v2, s5, v10
	v_mad_u32_u24 v2, v4, s4, v44
	ds_read2st64_b32 v[2:3], v2 offset1:15
	global_store_dwordx2 v6, v[0:1], s[2:3]
	v_mad_u32_u24 v0, v4, s4, 0
	v_add_u32_e32 v0, 0xe0, v0
	ds_read2st64_b32 v[0:1], v0 offset1:15
	s_waitcnt lgkmcnt(1)
	v_cvt_f32_f16_e32 v4, v2
	v_cvt_f32_f16_sdwa v5, v2 dst_sel:DWORD dst_unused:UNUSED_PAD src0_sel:WORD_1
	v_cvt_f32_f16_e32 v2, v3
	v_cvt_f32_f16_sdwa v3, v3 dst_sel:DWORD dst_unused:UNUSED_PAD src0_sel:WORD_1
	v_add_u32_e32 v6, 0x1c00, v11
	s_waitcnt lgkmcnt(0)
	v_pk_fma_f32 v[4:5], v[0:1], v[4:5], 0 op_sel_hi:[0,1,0]
	v_mov_b32_e32 v0, v1
	v_pk_fma_f32 v[0:1], v[0:1], v[2:3], v[4:5] op_sel_hi:[0,1,1]
	v_add_u32_e32 v2, 20, v8
	v_lshlrev_b32_e32 v3, 1, v2
	v_and_b32_e32 v2, 15, v2
	v_and_or_b32 v4, v3, s5, v2
	v_mad_u32_u24 v2, v4, s4, v44
	ds_read2st64_b32 v[2:3], v2 offset1:15
	global_store_dwordx2 v6, v[0:1], s[2:3]
	v_mad_u32_u24 v0, v4, s4, 0
	v_add_u32_e32 v0, 0xe0, v0
	ds_read2st64_b32 v[0:1], v0 offset1:15
	s_waitcnt lgkmcnt(1)
	v_cvt_f32_f16_e32 v4, v2
	v_cvt_f32_f16_sdwa v5, v2 dst_sel:DWORD dst_unused:UNUSED_PAD src0_sel:WORD_1
	v_cvt_f32_f16_e32 v2, v3
	v_cvt_f32_f16_sdwa v3, v3 dst_sel:DWORD dst_unused:UNUSED_PAD src0_sel:WORD_1
	v_add_u32_e32 v6, 0x2300, v11
	s_waitcnt lgkmcnt(0)
	v_pk_fma_f32 v[4:5], v[0:1], v[4:5], 0 op_sel_hi:[0,1,0]
	v_mov_b32_e32 v0, v1
	v_pk_fma_f32 v[0:1], v[0:1], v[2:3], v[4:5] op_sel_hi:[0,1,1]
	v_add_u32_e32 v2, 24, v8
	v_lshlrev_b32_e32 v3, 1, v2
	v_and_b32_e32 v2, 15, v2
	;; [unrolled: 20-line block ×3, first 2 shown]
	v_and_or_b32 v4, v3, s5, v2
	v_mad_u32_u24 v2, v4, s4, v44
	ds_read2st64_b32 v[2:3], v2 offset1:15
	global_store_dwordx2 v6, v[0:1], s[2:3]
	v_mad_u32_u24 v0, v4, s4, 0
	v_add_u32_e32 v0, 0xe0, v0
	ds_read2st64_b32 v[0:1], v0 offset1:15
	s_waitcnt lgkmcnt(1)
	v_cvt_f32_f16_e32 v4, v2
	v_cvt_f32_f16_sdwa v5, v2 dst_sel:DWORD dst_unused:UNUSED_PAD src0_sel:WORD_1
	v_cvt_f32_f16_e32 v2, v3
	v_cvt_f32_f16_sdwa v3, v3 dst_sel:DWORD dst_unused:UNUSED_PAD src0_sel:WORD_1
	v_add_u32_e32 v7, v45, v51
	s_waitcnt lgkmcnt(0)
	v_pk_fma_f32 v[4:5], v[0:1], v[4:5], 0 op_sel_hi:[0,1,0]
	v_mov_b32_e32 v0, v1
	v_lshlrev_b32_e32 v8, 1, v7
	v_and_b32_e32 v9, 15, v7
	v_pk_fma_f32 v[0:1], v[0:1], v[2:3], v[4:5] op_sel_hi:[0,1,1]
	v_and_or_b32 v4, v8, s5, v9
	v_mad_u32_u24 v2, v4, s4, v48
	v_add_u32_e32 v2, 0x80, v2
	ds_read2st64_b32 v[2:3], v2 offset1:15
	v_add_u32_e32 v6, 0x3100, v11
	global_store_dwordx2 v6, v[0:1], s[2:3]
	v_mad_u32_u24 v0, v4, s4, 0
	v_add_u32_e32 v0, 0xe0, v0
	ds_read2st64_b32 v[0:1], v0 offset1:15
	s_waitcnt lgkmcnt(1)
	v_cvt_f32_f16_e32 v4, v2
	v_cvt_f32_f16_sdwa v5, v2 dst_sel:DWORD dst_unused:UNUSED_PAD src0_sel:WORD_1
	v_cvt_f32_f16_e32 v2, v3
	v_cvt_f32_f16_sdwa v3, v3 dst_sel:DWORD dst_unused:UNUSED_PAD src0_sel:WORD_1
	s_movk_i32 s5, 0x3fe0
	s_waitcnt lgkmcnt(0)
	v_pk_fma_f32 v[4:5], v[0:1], v[4:5], 0 op_sel_hi:[0,1,0]
	v_mov_b32_e32 v0, v1
	v_pk_fma_f32 v[0:1], v[0:1], v[2:3], v[4:5] op_sel_hi:[0,1,1]
	v_add_u32_e32 v2, 8, v7
	v_lshlrev_b32_e32 v3, 1, v2
	v_and_b32_e32 v2, 15, v2
	v_and_or_b32 v4, v3, s5, v2
	v_mad_u32_u24 v2, v4, s4, v48
	v_add_u32_e32 v2, 0x80, v2
	v_mul_u32_u24_e32 v6, 56, v7
	ds_read2st64_b32 v[2:3], v2 offset1:15
	v_add_lshl_u32 v6, v6, v49, 3
	global_store_dwordx2 v6, v[0:1], s[2:3] offset:256
	v_mad_u32_u24 v0, v4, s4, 0
	v_add_u32_e32 v0, 0xe0, v0
	ds_read2st64_b32 v[0:1], v0 offset1:15
	s_waitcnt lgkmcnt(1)
	v_cvt_f32_f16_e32 v4, v2
	v_cvt_f32_f16_sdwa v5, v2 dst_sel:DWORD dst_unused:UNUSED_PAD src0_sel:WORD_1
	v_cvt_f32_f16_e32 v2, v3
	v_cvt_f32_f16_sdwa v3, v3 dst_sel:DWORD dst_unused:UNUSED_PAD src0_sel:WORD_1
	v_add_u32_e32 v10, 0xe00, v6
	s_waitcnt lgkmcnt(0)
	v_pk_fma_f32 v[4:5], v[0:1], v[4:5], 0 op_sel_hi:[0,1,0]
	v_mov_b32_e32 v0, v1
	v_pk_fma_f32 v[0:1], v[0:1], v[2:3], v[4:5] op_sel_hi:[0,1,1]
	v_add_u32_e32 v2, 32, v8
	v_and_or_b32 v4, v2, s5, v9
	v_mad_u32_u24 v2, v4, s4, v48
	v_add_u32_e32 v2, 0x80, v2
	ds_read2st64_b32 v[2:3], v2 offset1:15
	global_store_dwordx2 v10, v[0:1], s[2:3] offset:256
	v_mad_u32_u24 v0, v4, s4, 0
	v_add_u32_e32 v0, 0xe0, v0
	ds_read2st64_b32 v[0:1], v0 offset1:15
	s_waitcnt lgkmcnt(1)
	v_cvt_f32_f16_e32 v4, v2
	v_cvt_f32_f16_sdwa v5, v2 dst_sel:DWORD dst_unused:UNUSED_PAD src0_sel:WORD_1
	v_cvt_f32_f16_e32 v2, v3
	v_cvt_f32_f16_sdwa v3, v3 dst_sel:DWORD dst_unused:UNUSED_PAD src0_sel:WORD_1
	v_add_u32_e32 v8, 0x1c00, v6
	s_waitcnt lgkmcnt(0)
	v_pk_fma_f32 v[4:5], v[0:1], v[4:5], 0 op_sel_hi:[0,1,0]
	v_mov_b32_e32 v0, v1
	v_pk_fma_f32 v[0:1], v[0:1], v[2:3], v[4:5] op_sel_hi:[0,1,1]
	v_add_u32_e32 v2, 24, v7
	v_lshlrev_b32_e32 v3, 1, v2
	v_and_b32_e32 v2, 15, v2
	v_and_or_b32 v4, v3, s5, v2
	v_mad_u32_u24 v2, v4, s4, v48
	v_add_u32_e32 v2, 0x80, v2
	ds_read2st64_b32 v[2:3], v2 offset1:15
	global_store_dwordx2 v8, v[0:1], s[2:3] offset:256
	v_mad_u32_u24 v0, v4, s4, 0
	v_add_u32_e32 v0, 0xe0, v0
	ds_read2st64_b32 v[0:1], v0 offset1:15
	s_waitcnt lgkmcnt(1)
	v_cvt_f32_f16_e32 v4, v2
	v_cvt_f32_f16_sdwa v5, v2 dst_sel:DWORD dst_unused:UNUSED_PAD src0_sel:WORD_1
	v_cvt_f32_f16_e32 v2, v3
	v_cvt_f32_f16_sdwa v3, v3 dst_sel:DWORD dst_unused:UNUSED_PAD src0_sel:WORD_1
	v_add_u32_e32 v6, 0x2a00, v6
	s_waitcnt lgkmcnt(0)
	v_pk_fma_f32 v[4:5], v[0:1], v[4:5], 0 op_sel_hi:[0,1,0]
	v_mov_b32_e32 v0, v1
	v_pk_fma_f32 v[0:1], v[0:1], v[2:3], v[4:5] op_sel_hi:[0,1,1]
	global_store_dwordx2 v6, v[0:1], s[2:3] offset:256
	v_add_u32_e32 v0, v39, v50
	v_and_b32_e32 v4, 7, v46
	v_and_b32_e32 v11, 15, v0
	v_lshlrev_b32_e32 v12, 1, v0
	v_lshl_add_u32 v10, v4, 2, 0
	v_and_or_b32 v1, v12, s5, v11
	v_mul_u32_u24_e32 v5, 56, v0
	v_mad_u32_u24 v0, v1, s4, v10
	v_add_u32_e32 v0, 0xc0, v0
	v_mad_u32_u24 v2, v1, s4, 0
	ds_read2st64_b32 v[0:1], v0 offset1:15
	v_add_u32_e32 v2, 0xe0, v2
	ds_read2st64_b32 v[2:3], v2 offset1:15
	v_or_b32_e32 v4, v5, v4
	v_mov_b32_e32 v5, 0
	s_waitcnt lgkmcnt(1)
	v_cvt_f32_f16_e32 v6, v0
	v_cvt_f32_f16_sdwa v7, v0 dst_sel:DWORD dst_unused:UNUSED_PAD src0_sel:WORD_1
	v_cvt_f32_f16_e32 v0, v1
	v_cvt_f32_f16_sdwa v1, v1 dst_sel:DWORD dst_unused:UNUSED_PAD src0_sel:WORD_1
	v_lshl_add_u64 v[8:9], v[4:5], 3, s[2:3]
	s_waitcnt lgkmcnt(0)
	v_pk_fma_f32 v[6:7], v[2:3], v[6:7], 0 op_sel_hi:[0,1,0]
	v_mov_b32_e32 v2, v3
	v_pk_fma_f32 v[0:1], v[2:3], v[0:1], v[6:7] op_sel_hi:[0,1,1]
	global_store_dwordx2 v[8:9], v[0:1], off offset:384
	v_add_u32_e32 v0, 32, v12
	s_movk_i32 s5, 0x7fe0
	v_and_or_b32 v2, v0, s5, v11
	v_mad_u32_u24 v0, v2, s4, v10
	v_add_u32_e32 v0, 0xc0, v0
	ds_read2st64_b32 v[0:1], v0 offset1:15
	v_mad_u32_u24 v2, v2, s4, 0
	v_add_u32_e32 v2, 0xe0, v2
	ds_read2st64_b32 v[2:3], v2 offset1:15
	v_add_u32_e32 v4, 0x380, v4
	s_waitcnt lgkmcnt(1)
	v_cvt_f32_f16_e32 v6, v0
	v_cvt_f32_f16_sdwa v7, v0 dst_sel:DWORD dst_unused:UNUSED_PAD src0_sel:WORD_1
	v_cvt_f32_f16_e32 v0, v1
	v_cvt_f32_f16_sdwa v1, v1 dst_sel:DWORD dst_unused:UNUSED_PAD src0_sel:WORD_1
	v_lshl_add_u64 v[4:5], v[4:5], 3, s[2:3]
	s_waitcnt lgkmcnt(0)
	v_pk_fma_f32 v[6:7], v[2:3], v[6:7], 0 op_sel_hi:[0,1,0]
	v_mov_b32_e32 v2, v3
	v_pk_fma_f32 v[0:1], v[2:3], v[0:1], v[6:7] op_sel_hi:[0,1,1]
	global_store_dwordx2 v[4:5], v[0:1], off offset:384
.LBB19_315:
	s_or_b64 exec, exec, s[0:1]
	s_barrier
	s_endpgm
	.section	.rodata,"a",@progbits
	.p2align	6, 0x0
	.amdhsa_kernel _ZL18flash_attn_ext_f16ILi112ELi112ELi4ELi8ELb0ELb0EEvPKcS1_S1_S1_S1_PKiPfP15HIP_vector_typeIfLj2EEffffjfiS5_IjLj3EEiiiiiiiiiiiliiliiiiil
		.amdhsa_group_segment_fixed_size 0
		.amdhsa_private_segment_fixed_size 0
		.amdhsa_kernarg_size 464
		.amdhsa_user_sgpr_count 2
		.amdhsa_user_sgpr_dispatch_ptr 0
		.amdhsa_user_sgpr_queue_ptr 0
		.amdhsa_user_sgpr_kernarg_segment_ptr 1
		.amdhsa_user_sgpr_dispatch_id 0
		.amdhsa_user_sgpr_kernarg_preload_length 0
		.amdhsa_user_sgpr_kernarg_preload_offset 0
		.amdhsa_user_sgpr_private_segment_size 0
		.amdhsa_uses_dynamic_stack 0
		.amdhsa_enable_private_segment 0
		.amdhsa_system_sgpr_workgroup_id_x 1
		.amdhsa_system_sgpr_workgroup_id_y 0
		.amdhsa_system_sgpr_workgroup_id_z 0
		.amdhsa_system_sgpr_workgroup_info 0
		.amdhsa_system_vgpr_workitem_id 1
		.amdhsa_next_free_vgpr 205
		.amdhsa_next_free_sgpr 100
		.amdhsa_accum_offset 208
		.amdhsa_reserve_vcc 1
		.amdhsa_float_round_mode_32 0
		.amdhsa_float_round_mode_16_64 0
		.amdhsa_float_denorm_mode_32 3
		.amdhsa_float_denorm_mode_16_64 3
		.amdhsa_dx10_clamp 1
		.amdhsa_ieee_mode 1
		.amdhsa_fp16_overflow 0
		.amdhsa_tg_split 0
		.amdhsa_exception_fp_ieee_invalid_op 0
		.amdhsa_exception_fp_denorm_src 0
		.amdhsa_exception_fp_ieee_div_zero 0
		.amdhsa_exception_fp_ieee_overflow 0
		.amdhsa_exception_fp_ieee_underflow 0
		.amdhsa_exception_fp_ieee_inexact 0
		.amdhsa_exception_int_div_zero 0
	.end_amdhsa_kernel
	.section	.text._ZL18flash_attn_ext_f16ILi112ELi112ELi4ELi8ELb0ELb0EEvPKcS1_S1_S1_S1_PKiPfP15HIP_vector_typeIfLj2EEffffjfiS5_IjLj3EEiiiiiiiiiiiliiliiiiil,"axG",@progbits,_ZL18flash_attn_ext_f16ILi112ELi112ELi4ELi8ELb0ELb0EEvPKcS1_S1_S1_S1_PKiPfP15HIP_vector_typeIfLj2EEffffjfiS5_IjLj3EEiiiiiiiiiiiliiliiiiil,comdat
.Lfunc_end19:
	.size	_ZL18flash_attn_ext_f16ILi112ELi112ELi4ELi8ELb0ELb0EEvPKcS1_S1_S1_S1_PKiPfP15HIP_vector_typeIfLj2EEffffjfiS5_IjLj3EEiiiiiiiiiiiliiliiiiil, .Lfunc_end19-_ZL18flash_attn_ext_f16ILi112ELi112ELi4ELi8ELb0ELb0EEvPKcS1_S1_S1_S1_PKiPfP15HIP_vector_typeIfLj2EEffffjfiS5_IjLj3EEiiiiiiiiiiiliiliiiiil
                                        ; -- End function
	.set _ZL18flash_attn_ext_f16ILi112ELi112ELi4ELi8ELb0ELb0EEvPKcS1_S1_S1_S1_PKiPfP15HIP_vector_typeIfLj2EEffffjfiS5_IjLj3EEiiiiiiiiiiiliiliiiiil.num_vgpr, 205
	.set _ZL18flash_attn_ext_f16ILi112ELi112ELi4ELi8ELb0ELb0EEvPKcS1_S1_S1_S1_PKiPfP15HIP_vector_typeIfLj2EEffffjfiS5_IjLj3EEiiiiiiiiiiiliiliiiiil.num_agpr, 0
	.set _ZL18flash_attn_ext_f16ILi112ELi112ELi4ELi8ELb0ELb0EEvPKcS1_S1_S1_S1_PKiPfP15HIP_vector_typeIfLj2EEffffjfiS5_IjLj3EEiiiiiiiiiiiliiliiiiil.numbered_sgpr, 100
	.set _ZL18flash_attn_ext_f16ILi112ELi112ELi4ELi8ELb0ELb0EEvPKcS1_S1_S1_S1_PKiPfP15HIP_vector_typeIfLj2EEffffjfiS5_IjLj3EEiiiiiiiiiiiliiliiiiil.num_named_barrier, 0
	.set _ZL18flash_attn_ext_f16ILi112ELi112ELi4ELi8ELb0ELb0EEvPKcS1_S1_S1_S1_PKiPfP15HIP_vector_typeIfLj2EEffffjfiS5_IjLj3EEiiiiiiiiiiiliiliiiiil.private_seg_size, 0
	.set _ZL18flash_attn_ext_f16ILi112ELi112ELi4ELi8ELb0ELb0EEvPKcS1_S1_S1_S1_PKiPfP15HIP_vector_typeIfLj2EEffffjfiS5_IjLj3EEiiiiiiiiiiiliiliiiiil.uses_vcc, 1
	.set _ZL18flash_attn_ext_f16ILi112ELi112ELi4ELi8ELb0ELb0EEvPKcS1_S1_S1_S1_PKiPfP15HIP_vector_typeIfLj2EEffffjfiS5_IjLj3EEiiiiiiiiiiiliiliiiiil.uses_flat_scratch, 0
	.set _ZL18flash_attn_ext_f16ILi112ELi112ELi4ELi8ELb0ELb0EEvPKcS1_S1_S1_S1_PKiPfP15HIP_vector_typeIfLj2EEffffjfiS5_IjLj3EEiiiiiiiiiiiliiliiiiil.has_dyn_sized_stack, 0
	.set _ZL18flash_attn_ext_f16ILi112ELi112ELi4ELi8ELb0ELb0EEvPKcS1_S1_S1_S1_PKiPfP15HIP_vector_typeIfLj2EEffffjfiS5_IjLj3EEiiiiiiiiiiiliiliiiiil.has_recursion, 0
	.set _ZL18flash_attn_ext_f16ILi112ELi112ELi4ELi8ELb0ELb0EEvPKcS1_S1_S1_S1_PKiPfP15HIP_vector_typeIfLj2EEffffjfiS5_IjLj3EEiiiiiiiiiiiliiliiiiil.has_indirect_call, 0
	.section	.AMDGPU.csdata,"",@progbits
; Kernel info:
; codeLenInByte = 42460
; TotalNumSgprs: 106
; NumVgprs: 205
; NumAgprs: 0
; TotalNumVgprs: 205
; ScratchSize: 0
; MemoryBound: 0
; FloatMode: 240
; IeeeMode: 1
; LDSByteSize: 0 bytes/workgroup (compile time only)
; SGPRBlocks: 13
; VGPRBlocks: 25
; NumSGPRsForWavesPerEU: 106
; NumVGPRsForWavesPerEU: 205
; AccumOffset: 208
; Occupancy: 2
; WaveLimiterHint : 1
; COMPUTE_PGM_RSRC2:SCRATCH_EN: 0
; COMPUTE_PGM_RSRC2:USER_SGPR: 2
; COMPUTE_PGM_RSRC2:TRAP_HANDLER: 0
; COMPUTE_PGM_RSRC2:TGID_X_EN: 1
; COMPUTE_PGM_RSRC2:TGID_Y_EN: 0
; COMPUTE_PGM_RSRC2:TGID_Z_EN: 0
; COMPUTE_PGM_RSRC2:TIDIG_COMP_CNT: 1
; COMPUTE_PGM_RSRC3_GFX90A:ACCUM_OFFSET: 51
; COMPUTE_PGM_RSRC3_GFX90A:TG_SPLIT: 0
	.section	.text._ZL18flash_attn_ext_f16ILi112ELi112ELi4ELi8ELb1ELb0EEvPKcS1_S1_S1_S1_PKiPfP15HIP_vector_typeIfLj2EEffffjfiS5_IjLj3EEiiiiiiiiiiiliiliiiiil,"axG",@progbits,_ZL18flash_attn_ext_f16ILi112ELi112ELi4ELi8ELb1ELb0EEvPKcS1_S1_S1_S1_PKiPfP15HIP_vector_typeIfLj2EEffffjfiS5_IjLj3EEiiiiiiiiiiiliiliiiiil,comdat
	.globl	_ZL18flash_attn_ext_f16ILi112ELi112ELi4ELi8ELb1ELb0EEvPKcS1_S1_S1_S1_PKiPfP15HIP_vector_typeIfLj2EEffffjfiS5_IjLj3EEiiiiiiiiiiiliiliiiiil ; -- Begin function _ZL18flash_attn_ext_f16ILi112ELi112ELi4ELi8ELb1ELb0EEvPKcS1_S1_S1_S1_PKiPfP15HIP_vector_typeIfLj2EEffffjfiS5_IjLj3EEiiiiiiiiiiiliiliiiiil
	.p2align	8
	.type	_ZL18flash_attn_ext_f16ILi112ELi112ELi4ELi8ELb1ELb0EEvPKcS1_S1_S1_S1_PKiPfP15HIP_vector_typeIfLj2EEffffjfiS5_IjLj3EEiiiiiiiiiiiliiliiiiil,@function
_ZL18flash_attn_ext_f16ILi112ELi112ELi4ELi8ELb1ELb0EEvPKcS1_S1_S1_S1_PKiPfP15HIP_vector_typeIfLj2EEffffjfiS5_IjLj3EEiiiiiiiiiiiliiliiiiil: ; @_ZL18flash_attn_ext_f16ILi112ELi112ELi4ELi8ELb1ELb0EEvPKcS1_S1_S1_S1_PKiPfP15HIP_vector_typeIfLj2EEffffjfiS5_IjLj3EEiiiiiiiiiiiliiliiiiil
; %bb.0:
	s_add_u32 s8, s0, 0xd0
	s_addc_u32 s9, s1, 0
	s_getpc_b64 s[0:1]
	s_add_u32 s0, s0, _ZL14no_device_codePKciS0_iS0_@rel32@lo+4
	s_addc_u32 s1, s1, _ZL14no_device_codePKciS0_iS0_@rel32@hi+12
	v_mov_b32_e32 v0, 0x6cc
	s_mov_b32 s32, 0
	s_swappc_b64 s[30:31], s[0:1]
	.section	.rodata,"a",@progbits
	.p2align	6, 0x0
	.amdhsa_kernel _ZL18flash_attn_ext_f16ILi112ELi112ELi4ELi8ELb1ELb0EEvPKcS1_S1_S1_S1_PKiPfP15HIP_vector_typeIfLj2EEffffjfiS5_IjLj3EEiiiiiiiiiiiliiliiiiil
		.amdhsa_group_segment_fixed_size 0
		.amdhsa_private_segment_fixed_size 16
		.amdhsa_kernarg_size 464
		.amdhsa_user_sgpr_count 2
		.amdhsa_user_sgpr_dispatch_ptr 0
		.amdhsa_user_sgpr_queue_ptr 0
		.amdhsa_user_sgpr_kernarg_segment_ptr 1
		.amdhsa_user_sgpr_dispatch_id 0
		.amdhsa_user_sgpr_kernarg_preload_length 0
		.amdhsa_user_sgpr_kernarg_preload_offset 0
		.amdhsa_user_sgpr_private_segment_size 0
		.amdhsa_uses_dynamic_stack 0
		.amdhsa_enable_private_segment 1
		.amdhsa_system_sgpr_workgroup_id_x 1
		.amdhsa_system_sgpr_workgroup_id_y 0
		.amdhsa_system_sgpr_workgroup_id_z 0
		.amdhsa_system_sgpr_workgroup_info 0
		.amdhsa_system_vgpr_workitem_id 0
		.amdhsa_next_free_vgpr 52
		.amdhsa_next_free_sgpr 34
		.amdhsa_accum_offset 52
		.amdhsa_reserve_vcc 1
		.amdhsa_float_round_mode_32 0
		.amdhsa_float_round_mode_16_64 0
		.amdhsa_float_denorm_mode_32 3
		.amdhsa_float_denorm_mode_16_64 3
		.amdhsa_dx10_clamp 1
		.amdhsa_ieee_mode 1
		.amdhsa_fp16_overflow 0
		.amdhsa_tg_split 0
		.amdhsa_exception_fp_ieee_invalid_op 0
		.amdhsa_exception_fp_denorm_src 0
		.amdhsa_exception_fp_ieee_div_zero 0
		.amdhsa_exception_fp_ieee_overflow 0
		.amdhsa_exception_fp_ieee_underflow 0
		.amdhsa_exception_fp_ieee_inexact 0
		.amdhsa_exception_int_div_zero 0
	.end_amdhsa_kernel
	.section	.text._ZL18flash_attn_ext_f16ILi112ELi112ELi4ELi8ELb1ELb0EEvPKcS1_S1_S1_S1_PKiPfP15HIP_vector_typeIfLj2EEffffjfiS5_IjLj3EEiiiiiiiiiiiliiliiiiil,"axG",@progbits,_ZL18flash_attn_ext_f16ILi112ELi112ELi4ELi8ELb1ELb0EEvPKcS1_S1_S1_S1_PKiPfP15HIP_vector_typeIfLj2EEffffjfiS5_IjLj3EEiiiiiiiiiiiliiliiiiil,comdat
.Lfunc_end20:
	.size	_ZL18flash_attn_ext_f16ILi112ELi112ELi4ELi8ELb1ELb0EEvPKcS1_S1_S1_S1_PKiPfP15HIP_vector_typeIfLj2EEffffjfiS5_IjLj3EEiiiiiiiiiiiliiliiiiil, .Lfunc_end20-_ZL18flash_attn_ext_f16ILi112ELi112ELi4ELi8ELb1ELb0EEvPKcS1_S1_S1_S1_PKiPfP15HIP_vector_typeIfLj2EEffffjfiS5_IjLj3EEiiiiiiiiiiiliiliiiiil
                                        ; -- End function
	.set _ZL18flash_attn_ext_f16ILi112ELi112ELi4ELi8ELb1ELb0EEvPKcS1_S1_S1_S1_PKiPfP15HIP_vector_typeIfLj2EEffffjfiS5_IjLj3EEiiiiiiiiiiiliiliiiiil.num_vgpr, max(1, .L_ZL14no_device_codePKciS0_iS0_.num_vgpr)
	.set _ZL18flash_attn_ext_f16ILi112ELi112ELi4ELi8ELb1ELb0EEvPKcS1_S1_S1_S1_PKiPfP15HIP_vector_typeIfLj2EEffffjfiS5_IjLj3EEiiiiiiiiiiiliiliiiiil.num_agpr, max(0, .L_ZL14no_device_codePKciS0_iS0_.num_agpr)
	.set _ZL18flash_attn_ext_f16ILi112ELi112ELi4ELi8ELb1ELb0EEvPKcS1_S1_S1_S1_PKiPfP15HIP_vector_typeIfLj2EEffffjfiS5_IjLj3EEiiiiiiiiiiiliiliiiiil.numbered_sgpr, max(33, .L_ZL14no_device_codePKciS0_iS0_.numbered_sgpr)
	.set _ZL18flash_attn_ext_f16ILi112ELi112ELi4ELi8ELb1ELb0EEvPKcS1_S1_S1_S1_PKiPfP15HIP_vector_typeIfLj2EEffffjfiS5_IjLj3EEiiiiiiiiiiiliiliiiiil.num_named_barrier, max(0, .L_ZL14no_device_codePKciS0_iS0_.num_named_barrier)
	.set _ZL18flash_attn_ext_f16ILi112ELi112ELi4ELi8ELb1ELb0EEvPKcS1_S1_S1_S1_PKiPfP15HIP_vector_typeIfLj2EEffffjfiS5_IjLj3EEiiiiiiiiiiiliiliiiiil.private_seg_size, 0+max(.L_ZL14no_device_codePKciS0_iS0_.private_seg_size)
	.set _ZL18flash_attn_ext_f16ILi112ELi112ELi4ELi8ELb1ELb0EEvPKcS1_S1_S1_S1_PKiPfP15HIP_vector_typeIfLj2EEffffjfiS5_IjLj3EEiiiiiiiiiiiliiliiiiil.uses_vcc, or(1, .L_ZL14no_device_codePKciS0_iS0_.uses_vcc)
	.set _ZL18flash_attn_ext_f16ILi112ELi112ELi4ELi8ELb1ELb0EEvPKcS1_S1_S1_S1_PKiPfP15HIP_vector_typeIfLj2EEffffjfiS5_IjLj3EEiiiiiiiiiiiliiliiiiil.uses_flat_scratch, or(0, .L_ZL14no_device_codePKciS0_iS0_.uses_flat_scratch)
	.set _ZL18flash_attn_ext_f16ILi112ELi112ELi4ELi8ELb1ELb0EEvPKcS1_S1_S1_S1_PKiPfP15HIP_vector_typeIfLj2EEffffjfiS5_IjLj3EEiiiiiiiiiiiliiliiiiil.has_dyn_sized_stack, or(0, .L_ZL14no_device_codePKciS0_iS0_.has_dyn_sized_stack)
	.set _ZL18flash_attn_ext_f16ILi112ELi112ELi4ELi8ELb1ELb0EEvPKcS1_S1_S1_S1_PKiPfP15HIP_vector_typeIfLj2EEffffjfiS5_IjLj3EEiiiiiiiiiiiliiliiiiil.has_recursion, or(0, .L_ZL14no_device_codePKciS0_iS0_.has_recursion)
	.set _ZL18flash_attn_ext_f16ILi112ELi112ELi4ELi8ELb1ELb0EEvPKcS1_S1_S1_S1_PKiPfP15HIP_vector_typeIfLj2EEffffjfiS5_IjLj3EEiiiiiiiiiiiliiliiiiil.has_indirect_call, or(0, .L_ZL14no_device_codePKciS0_iS0_.has_indirect_call)
	.section	.AMDGPU.csdata,"",@progbits
; Kernel info:
; codeLenInByte = 48
; TotalNumSgprs: 40
; NumVgprs: 52
; NumAgprs: 0
; TotalNumVgprs: 52
; ScratchSize: 16
; MemoryBound: 0
; FloatMode: 240
; IeeeMode: 1
; LDSByteSize: 0 bytes/workgroup (compile time only)
; SGPRBlocks: 4
; VGPRBlocks: 6
; NumSGPRsForWavesPerEU: 40
; NumVGPRsForWavesPerEU: 52
; AccumOffset: 52
; Occupancy: 8
; WaveLimiterHint : 1
; COMPUTE_PGM_RSRC2:SCRATCH_EN: 1
; COMPUTE_PGM_RSRC2:USER_SGPR: 2
; COMPUTE_PGM_RSRC2:TRAP_HANDLER: 0
; COMPUTE_PGM_RSRC2:TGID_X_EN: 1
; COMPUTE_PGM_RSRC2:TGID_Y_EN: 0
; COMPUTE_PGM_RSRC2:TGID_Z_EN: 0
; COMPUTE_PGM_RSRC2:TIDIG_COMP_CNT: 0
; COMPUTE_PGM_RSRC3_GFX90A:ACCUM_OFFSET: 12
; COMPUTE_PGM_RSRC3_GFX90A:TG_SPLIT: 0
	.section	.text._ZL33flash_attn_stream_k_fixup_uniformILi112ELi4ELi8EEvPfPK15HIP_vector_typeIfLj2EEiiiiiiS1_IjLj3EES5_S5_,"axG",@progbits,_ZL33flash_attn_stream_k_fixup_uniformILi112ELi4ELi8EEvPfPK15HIP_vector_typeIfLj2EEiiiiiiS1_IjLj3EES5_S5_,comdat
	.globl	_ZL33flash_attn_stream_k_fixup_uniformILi112ELi4ELi8EEvPfPK15HIP_vector_typeIfLj2EEiiiiiiS1_IjLj3EES5_S5_ ; -- Begin function _ZL33flash_attn_stream_k_fixup_uniformILi112ELi4ELi8EEvPfPK15HIP_vector_typeIfLj2EEiiiiiiS1_IjLj3EES5_S5_
	.p2align	8
	.type	_ZL33flash_attn_stream_k_fixup_uniformILi112ELi4ELi8EEvPfPK15HIP_vector_typeIfLj2EEiiiiiiS1_IjLj3EES5_S5_,@function
_ZL33flash_attn_stream_k_fixup_uniformILi112ELi4ELi8EEvPfPK15HIP_vector_typeIfLj2EEiiiiiiS1_IjLj3EES5_S5_: ; @_ZL33flash_attn_stream_k_fixup_uniformILi112ELi4ELi8EEvPfPK15HIP_vector_typeIfLj2EEiiiiiiS1_IjLj3EES5_S5_
; %bb.0:
	s_load_dwordx8 s[8:15], s[0:1], 0x1c
	s_load_dwordx2 s[6:7], s[0:1], 0x10
	s_load_dwordx4 s[16:19], s[0:1], 0x3c
	s_waitcnt lgkmcnt(0)
	s_mul_hi_u32 s5, s11, s2
	s_add_i32 s5, s2, s5
	s_lshr_b32 s5, s5, s12
	s_mul_i32 s11, s5, s13
	s_sub_i32 s12, s2, s11
	s_mul_hi_u32 s11, s12, s14
	s_add_i32 s11, s12, s11
	s_lshr_b32 s11, s11, s15
	s_mul_i32 s13, s11, s16
	s_sub_i32 s12, s12, s13
	s_mul_hi_u32 s13, s12, s17
	s_add_i32 s13, s12, s13
	s_lshr_b32 s13, s13, s18
	s_mul_i32 s14, s13, s19
	s_sub_i32 s16, s12, s14
	s_lshl_b32 s12, s16, 2
	s_lshl_b32 s17, s13, 3
	s_add_i32 s12, s12, s3
	s_cmp_lt_i32 s12, s6
	s_cselect_b64 s[12:13], -1, 0
	s_add_i32 s17, s17, s4
	s_cmp_lt_i32 s17, s9
	s_cselect_b64 s[14:15], -1, 0
	s_and_b64 s[12:13], s[12:13], s[14:15]
	s_andn2_b64 vcc, exec, s[12:13]
	s_cbranch_vccnz .LBB21_6
; %bb.1:
	s_load_dwordx4 s[12:15], s[0:1], 0x0
	s_mul_i32 s0, s5, s6
	s_mul_i32 s11, s11, s9
	s_add_i32 s0, s0, s3
	s_mul_i32 s0, s0, s7
	s_add_i32 s5, s17, s11
	;; [unrolled: 2-line block ×3, first 2 shown]
	s_mulk_i32 s1, 0x1c0
	s_mulk_i32 s0, 0x70
	s_add_i32 s0, s0, s1
	v_add_u32_e32 v4, s0, v0
	s_waitcnt lgkmcnt(0)
	v_mov_b32_e32 v2, s12
	v_mov_b32_e32 v3, s13
	v_ashrrev_i32_e32 v5, 31, v4
	v_lshl_add_u64 v[2:3], v[4:5], 2, v[2:3]
	global_load_dword v5, v[2:3], off
	s_mul_i32 s5, s10, s2
	s_lshl_b32 s11, s3, 3
	s_add_i32 s9, s5, s10
	s_add_i32 s0, s11, s4
	s_lshl_b32 s1, s9, 5
	s_add_i32 s0, s0, s1
	s_sub_i32 s0, s0, 32
	s_ashr_i32 s1, s0, 31
	s_lshl_b64 s[0:1], s[0:1], 3
	s_add_u32 s0, s14, s0
	s_addc_u32 s1, s15, s1
	s_load_dword s12, s[0:1], 0x4
	s_add_i32 s6, s9, -2
	s_cmp_lt_i32 s6, s5
	s_cbranch_scc1 .LBB21_4
; %bb.2:
	s_lshl_b32 s6, s8, 7
	s_ashr_i32 s7, s6, 31
	s_lshl_b64 s[6:7], s[6:7], 2
	s_add_u32 s6, s14, s6
	s_addc_u32 s7, s15, s7
	s_add_i32 s2, s2, 1
	s_load_dword s0, s[0:1], 0x0
	s_mul_i32 s1, s10, s2
	s_lshl_b32 s2, s1, 5
	s_add_i32 s2, s4, s2
	s_mulk_i32 s3, 0x380
	s_mulk_i32 s4, 0x70
	s_lshl_b32 s8, s8, 5
	s_mulk_i32 s1, 0xe00
	s_add_i32 s3, s4, s3
	s_add_i32 s2, s2, s8
	;; [unrolled: 1-line block ×4, first 2 shown]
	v_add_u32_e32 v0, s3, v0
	s_add_i32 s9, s9, -1
	s_sub_i32 s2, s2, 64
	v_add_u32_e32 v0, 0xffffe400, v0
	s_waitcnt lgkmcnt(0)
	v_mov_b32_e32 v7, s0
	v_mov_b32_e32 v4, s12
	s_mov_b32 s4, 0x3fb8aa3b
	s_mov_b32 s8, 0xc2ce8ed0
	;; [unrolled: 1-line block ×3, first 2 shown]
	v_mov_b32_e32 v6, 0x7f800000
	s_mov_b32 s11, 0xc1a00000
.LBB21_3:                               ; =>This Inner Loop Header: Depth=1
	v_ashrrev_i32_e32 v1, 31, v0
	v_lshl_add_u64 v[8:9], v[0:1], 2, s[6:7]
	global_load_dword v9, v[8:9], off
	s_ashr_i32 s3, s2, 31
	s_lshl_b64 s[0:1], s[2:3], 3
	s_add_u32 s0, s14, s0
	s_addc_u32 s1, s15, s1
	s_load_dwordx2 s[0:1], s[0:1], 0x0
	v_max_f32_e32 v1, v7, v7
	s_add_i32 s9, s9, -1
	s_sub_i32 s2, s2, 32
	v_add_u32_e32 v0, 0xfffff200, v0
	s_waitcnt lgkmcnt(0)
	v_max_f32_e64 v10, s0, s0
	v_max_f32_e32 v1, v1, v10
	v_sub_f32_e32 v11, s0, v1
	v_sub_f32_e32 v10, v7, v1
	v_mul_f32_e32 v12, 0x3fb8aa3b, v11
	v_mov_b32_e32 v7, v1
	v_mul_f32_e32 v1, 0x3fb8aa3b, v10
	v_fma_f32 v15, v11, s4, -v12
	v_rndne_f32_e32 v16, v12
	v_fma_f32 v13, v10, s4, -v1
	v_rndne_f32_e32 v14, v1
	v_fmac_f32_e32 v15, 0x32a5705f, v11
	v_sub_f32_e32 v12, v12, v16
	v_fmac_f32_e32 v13, 0x32a5705f, v10
	v_sub_f32_e32 v1, v1, v14
	v_add_f32_e32 v12, v12, v15
	v_cvt_i32_f32_e32 v16, v16
	v_add_f32_e32 v1, v1, v13
	v_exp_f32_e32 v12, v12
	v_cvt_i32_f32_e32 v14, v14
	v_exp_f32_e32 v1, v1
	v_cmp_ngt_f32_e32 vcc, s8, v11
	v_ldexp_f32 v12, v12, v16
	v_mov_b32_e32 v8, s1
	v_ldexp_f32 v1, v1, v14
	v_cmp_ngt_f32_e64 s[0:1], s8, v10
	v_cndmask_b32_e32 v12, 0, v12, vcc
	v_cmp_nlt_f32_e32 vcc, s10, v11
	v_cndmask_b32_e64 v1, 0, v1, s[0:1]
	v_cmp_nlt_f32_e64 s[0:1], s10, v10
	v_cndmask_b32_e32 v12, v6, v12, vcc
	v_cmp_le_f32_e32 vcc, s11, v11
	v_cndmask_b32_e64 v1, v6, v1, s[0:1]
	v_cmp_le_f32_e64 s[0:1], s11, v10
	v_cndmask_b32_e32 v12, 0, v12, vcc
	s_cmp_le_i32 s9, s5
	v_cndmask_b32_e64 v10, 0, v1, s[0:1]
	s_waitcnt vmcnt(0)
	v_pk_mul_f32 v[8:9], v[8:9], v[12:13] op_sel_hi:[1,0]
	s_nop 0
	v_pk_fma_f32 v[4:5], v[4:5], v[10:11], v[8:9] op_sel_hi:[1,0,1]
	s_cbranch_scc0 .LBB21_3
	s_branch .LBB21_5
.LBB21_4:
	s_waitcnt lgkmcnt(0)
	v_mov_b32_e32 v4, s12
.LBB21_5:
	s_waitcnt vmcnt(0)
	v_div_scale_f32 v0, s[0:1], v4, v4, v5
	v_rcp_f32_e32 v1, v0
	v_div_scale_f32 v6, vcc, v5, v4, v5
	v_fma_f32 v7, -v0, v1, 1.0
	v_fmac_f32_e32 v1, v7, v1
	v_mul_f32_e32 v7, v6, v1
	v_fma_f32 v8, -v0, v7, v6
	v_fmac_f32_e32 v7, v8, v1
	v_fma_f32 v0, -v0, v7, v6
	v_div_fmas_f32 v0, v0, v1, v7
	v_div_fixup_f32 v0, v0, v4, v5
	global_store_dword v[2:3], v0, off
.LBB21_6:
	s_endpgm
	.section	.rodata,"a",@progbits
	.p2align	6, 0x0
	.amdhsa_kernel _ZL33flash_attn_stream_k_fixup_uniformILi112ELi4ELi8EEvPfPK15HIP_vector_typeIfLj2EEiiiiiiS1_IjLj3EES5_S5_
		.amdhsa_group_segment_fixed_size 0
		.amdhsa_private_segment_fixed_size 0
		.amdhsa_kernarg_size 76
		.amdhsa_user_sgpr_count 2
		.amdhsa_user_sgpr_dispatch_ptr 0
		.amdhsa_user_sgpr_queue_ptr 0
		.amdhsa_user_sgpr_kernarg_segment_ptr 1
		.amdhsa_user_sgpr_dispatch_id 0
		.amdhsa_user_sgpr_kernarg_preload_length 0
		.amdhsa_user_sgpr_kernarg_preload_offset 0
		.amdhsa_user_sgpr_private_segment_size 0
		.amdhsa_uses_dynamic_stack 0
		.amdhsa_enable_private_segment 0
		.amdhsa_system_sgpr_workgroup_id_x 1
		.amdhsa_system_sgpr_workgroup_id_y 1
		.amdhsa_system_sgpr_workgroup_id_z 1
		.amdhsa_system_sgpr_workgroup_info 0
		.amdhsa_system_vgpr_workitem_id 0
		.amdhsa_next_free_vgpr 17
		.amdhsa_next_free_sgpr 20
		.amdhsa_accum_offset 20
		.amdhsa_reserve_vcc 1
		.amdhsa_float_round_mode_32 0
		.amdhsa_float_round_mode_16_64 0
		.amdhsa_float_denorm_mode_32 3
		.amdhsa_float_denorm_mode_16_64 3
		.amdhsa_dx10_clamp 1
		.amdhsa_ieee_mode 1
		.amdhsa_fp16_overflow 0
		.amdhsa_tg_split 0
		.amdhsa_exception_fp_ieee_invalid_op 0
		.amdhsa_exception_fp_denorm_src 0
		.amdhsa_exception_fp_ieee_div_zero 0
		.amdhsa_exception_fp_ieee_overflow 0
		.amdhsa_exception_fp_ieee_underflow 0
		.amdhsa_exception_fp_ieee_inexact 0
		.amdhsa_exception_int_div_zero 0
	.end_amdhsa_kernel
	.section	.text._ZL33flash_attn_stream_k_fixup_uniformILi112ELi4ELi8EEvPfPK15HIP_vector_typeIfLj2EEiiiiiiS1_IjLj3EES5_S5_,"axG",@progbits,_ZL33flash_attn_stream_k_fixup_uniformILi112ELi4ELi8EEvPfPK15HIP_vector_typeIfLj2EEiiiiiiS1_IjLj3EES5_S5_,comdat
.Lfunc_end21:
	.size	_ZL33flash_attn_stream_k_fixup_uniformILi112ELi4ELi8EEvPfPK15HIP_vector_typeIfLj2EEiiiiiiS1_IjLj3EES5_S5_, .Lfunc_end21-_ZL33flash_attn_stream_k_fixup_uniformILi112ELi4ELi8EEvPfPK15HIP_vector_typeIfLj2EEiiiiiiS1_IjLj3EES5_S5_
                                        ; -- End function
	.set _ZL33flash_attn_stream_k_fixup_uniformILi112ELi4ELi8EEvPfPK15HIP_vector_typeIfLj2EEiiiiiiS1_IjLj3EES5_S5_.num_vgpr, 17
	.set _ZL33flash_attn_stream_k_fixup_uniformILi112ELi4ELi8EEvPfPK15HIP_vector_typeIfLj2EEiiiiiiS1_IjLj3EES5_S5_.num_agpr, 0
	.set _ZL33flash_attn_stream_k_fixup_uniformILi112ELi4ELi8EEvPfPK15HIP_vector_typeIfLj2EEiiiiiiS1_IjLj3EES5_S5_.numbered_sgpr, 20
	.set _ZL33flash_attn_stream_k_fixup_uniformILi112ELi4ELi8EEvPfPK15HIP_vector_typeIfLj2EEiiiiiiS1_IjLj3EES5_S5_.num_named_barrier, 0
	.set _ZL33flash_attn_stream_k_fixup_uniformILi112ELi4ELi8EEvPfPK15HIP_vector_typeIfLj2EEiiiiiiS1_IjLj3EES5_S5_.private_seg_size, 0
	.set _ZL33flash_attn_stream_k_fixup_uniformILi112ELi4ELi8EEvPfPK15HIP_vector_typeIfLj2EEiiiiiiS1_IjLj3EES5_S5_.uses_vcc, 1
	.set _ZL33flash_attn_stream_k_fixup_uniformILi112ELi4ELi8EEvPfPK15HIP_vector_typeIfLj2EEiiiiiiS1_IjLj3EES5_S5_.uses_flat_scratch, 0
	.set _ZL33flash_attn_stream_k_fixup_uniformILi112ELi4ELi8EEvPfPK15HIP_vector_typeIfLj2EEiiiiiiS1_IjLj3EES5_S5_.has_dyn_sized_stack, 0
	.set _ZL33flash_attn_stream_k_fixup_uniformILi112ELi4ELi8EEvPfPK15HIP_vector_typeIfLj2EEiiiiiiS1_IjLj3EES5_S5_.has_recursion, 0
	.set _ZL33flash_attn_stream_k_fixup_uniformILi112ELi4ELi8EEvPfPK15HIP_vector_typeIfLj2EEiiiiiiS1_IjLj3EES5_S5_.has_indirect_call, 0
	.section	.AMDGPU.csdata,"",@progbits
; Kernel info:
; codeLenInByte = 832
; TotalNumSgprs: 26
; NumVgprs: 17
; NumAgprs: 0
; TotalNumVgprs: 17
; ScratchSize: 0
; MemoryBound: 0
; FloatMode: 240
; IeeeMode: 1
; LDSByteSize: 0 bytes/workgroup (compile time only)
; SGPRBlocks: 3
; VGPRBlocks: 2
; NumSGPRsForWavesPerEU: 26
; NumVGPRsForWavesPerEU: 17
; AccumOffset: 20
; Occupancy: 8
; WaveLimiterHint : 0
; COMPUTE_PGM_RSRC2:SCRATCH_EN: 0
; COMPUTE_PGM_RSRC2:USER_SGPR: 2
; COMPUTE_PGM_RSRC2:TRAP_HANDLER: 0
; COMPUTE_PGM_RSRC2:TGID_X_EN: 1
; COMPUTE_PGM_RSRC2:TGID_Y_EN: 1
; COMPUTE_PGM_RSRC2:TGID_Z_EN: 1
; COMPUTE_PGM_RSRC2:TIDIG_COMP_CNT: 0
; COMPUTE_PGM_RSRC3_GFX90A:ACCUM_OFFSET: 4
; COMPUTE_PGM_RSRC3_GFX90A:TG_SPLIT: 0
	.section	.text._ZL33flash_attn_stream_k_fixup_generalILi112ELi4ELi8EEvPfPK15HIP_vector_typeIfLj2EEiiiiS1_IjLj3EES5_S5_S5_,"axG",@progbits,_ZL33flash_attn_stream_k_fixup_generalILi112ELi4ELi8EEvPfPK15HIP_vector_typeIfLj2EEiiiiS1_IjLj3EES5_S5_S5_,comdat
	.globl	_ZL33flash_attn_stream_k_fixup_generalILi112ELi4ELi8EEvPfPK15HIP_vector_typeIfLj2EEiiiiS1_IjLj3EES5_S5_S5_ ; -- Begin function _ZL33flash_attn_stream_k_fixup_generalILi112ELi4ELi8EEvPfPK15HIP_vector_typeIfLj2EEiiiiS1_IjLj3EES5_S5_S5_
	.p2align	8
	.type	_ZL33flash_attn_stream_k_fixup_generalILi112ELi4ELi8EEvPfPK15HIP_vector_typeIfLj2EEiiiiS1_IjLj3EES5_S5_S5_,@function
_ZL33flash_attn_stream_k_fixup_generalILi112ELi4ELi8EEvPfPK15HIP_vector_typeIfLj2EEiiiiS1_IjLj3EES5_S5_S5_: ; @_ZL33flash_attn_stream_k_fixup_generalILi112ELi4ELi8EEvPfPK15HIP_vector_typeIfLj2EEiiiiS1_IjLj3EES5_S5_S5_
; %bb.0:
	s_load_dwordx4 s[8:11], s[0:1], 0x10
	s_load_dword s22, s[0:1], 0x50
	s_mov_b32 s12, 0
	s_waitcnt lgkmcnt(0)
	s_mul_hi_i32 s13, s11, s2
	s_cmp_lg_u64 s[12:13], 0
	s_mul_i32 s5, s11, s2
	s_cbranch_scc0 .LBB22_20
; %bb.1:
	s_add_u32 s6, s22, 0
	s_addc_u32 s7, 0, 0
	s_xor_b64 s[6:7], s[6:7], 0
	v_cvt_f32_u32_e32 v1, s6
	v_cvt_f32_u32_e32 v2, s7
	s_sub_u32 s12, 0, s6
	s_subb_u32 s18, 0, s7
	v_fmamk_f32 v1, v2, 0x4f800000, v1
	v_rcp_f32_e32 v1, v1
	s_nop 0
	v_mul_f32_e32 v1, 0x5f7ffffc, v1
	v_mul_f32_e32 v2, 0x2f800000, v1
	v_trunc_f32_e32 v2, v2
	v_fmamk_f32 v1, v2, 0xcf800000, v1
	v_cvt_u32_f32_e32 v2, v2
	v_cvt_u32_f32_e32 v1, v1
	v_readfirstlane_b32 s19, v2
	v_readfirstlane_b32 s14, v1
	s_mul_i32 s15, s12, s19
	s_mul_hi_u32 s21, s12, s14
	s_mul_i32 s20, s18, s14
	s_add_i32 s15, s21, s15
	s_add_i32 s15, s15, s20
	s_mul_i32 s23, s12, s14
	s_mul_i32 s21, s14, s15
	s_mul_hi_u32 s24, s14, s23
	s_mul_hi_u32 s20, s14, s15
	s_add_u32 s21, s24, s21
	s_addc_u32 s20, 0, s20
	s_mul_hi_u32 s25, s19, s23
	s_mul_i32 s23, s19, s23
	s_add_u32 s21, s21, s23
	s_mul_hi_u32 s24, s19, s15
	s_addc_u32 s20, s20, s25
	s_addc_u32 s21, s24, 0
	s_mul_i32 s15, s19, s15
	s_add_u32 s15, s20, s15
	s_addc_u32 s20, 0, s21
	s_add_u32 s21, s14, s15
	s_cselect_b64 s[14:15], -1, 0
	s_cmp_lg_u64 s[14:15], 0
	s_addc_u32 s19, s19, s20
	s_mul_i32 s14, s12, s19
	s_mul_hi_u32 s15, s12, s21
	s_add_i32 s14, s15, s14
	s_mul_i32 s18, s18, s21
	s_add_i32 s14, s14, s18
	s_mul_i32 s12, s12, s21
	s_mul_hi_u32 s18, s19, s12
	s_mul_i32 s20, s19, s12
	s_mul_i32 s24, s21, s14
	s_mul_hi_u32 s12, s21, s12
	s_mul_hi_u32 s23, s21, s14
	s_add_u32 s12, s12, s24
	s_addc_u32 s23, 0, s23
	s_add_u32 s12, s12, s20
	s_mul_hi_u32 s15, s19, s14
	s_addc_u32 s12, s23, s18
	s_addc_u32 s15, s15, 0
	s_mul_i32 s14, s19, s14
	s_add_u32 s12, s12, s14
	s_addc_u32 s18, 0, s15
	s_add_u32 s20, s21, s12
	s_cselect_b64 s[14:15], -1, 0
	s_cmp_lg_u64 s[14:15], 0
	s_addc_u32 s18, s19, s18
	s_ashr_i32 s14, s13, 31
	s_add_u32 s12, s5, s14
	s_mov_b32 s15, s14
	s_addc_u32 s13, s13, s14
	s_xor_b64 s[12:13], s[12:13], s[14:15]
	s_mul_i32 s21, s12, s18
	s_mul_hi_u32 s23, s12, s20
	s_mul_hi_u32 s19, s12, s18
	s_add_u32 s21, s23, s21
	s_addc_u32 s19, 0, s19
	s_mul_hi_u32 s24, s13, s20
	s_mul_i32 s20, s13, s20
	s_add_u32 s20, s21, s20
	s_mul_hi_u32 s23, s13, s18
	s_addc_u32 s19, s19, s24
	s_addc_u32 s20, s23, 0
	s_mul_i32 s18, s13, s18
	s_add_u32 s23, s19, s18
	s_addc_u32 s24, 0, s20
	s_mul_i32 s18, s6, s24
	s_mul_hi_u32 s19, s6, s23
	s_add_i32 s18, s19, s18
	s_mul_i32 s19, s7, s23
	s_add_i32 s25, s18, s19
	s_sub_i32 s20, s13, s25
	s_mul_i32 s18, s6, s23
	s_sub_u32 s12, s12, s18
	s_cselect_b64 s[18:19], -1, 0
	s_cmp_lg_u64 s[18:19], 0
	s_subb_u32 s26, s20, s7
	s_sub_u32 s27, s12, s6
	s_cselect_b64 s[20:21], -1, 0
	s_cmp_lg_u64 s[20:21], 0
	s_subb_u32 s20, s26, 0
	s_cmp_ge_u32 s20, s7
	s_cselect_b32 s21, -1, 0
	s_cmp_ge_u32 s27, s6
	s_cselect_b32 s26, -1, 0
	s_cmp_eq_u32 s20, s7
	s_cselect_b32 s20, s26, s21
	s_add_u32 s21, s23, 1
	s_addc_u32 s26, s24, 0
	s_add_u32 s27, s23, 2
	s_addc_u32 s28, s24, 0
	s_cmp_lg_u32 s20, 0
	s_cselect_b32 s20, s27, s21
	s_cselect_b32 s21, s28, s26
	s_cmp_lg_u64 s[18:19], 0
	s_subb_u32 s13, s13, s25
	s_cmp_ge_u32 s13, s7
	s_cselect_b32 s18, -1, 0
	s_cmp_ge_u32 s12, s6
	s_cselect_b32 s6, -1, 0
	s_cmp_eq_u32 s13, s7
	s_cselect_b32 s6, s6, s18
	s_cmp_lg_u32 s6, 0
	s_cselect_b32 s7, s21, s24
	s_cselect_b32 s6, s20, s23
	s_xor_b64 s[12:13], s[14:15], 0
	s_xor_b64 s[6:7], s[6:7], s[12:13]
	s_sub_u32 s6, s6, s12
	s_load_dwordx4 s[12:15], s[0:1], 0x44
	s_cbranch_execnz .LBB22_3
.LBB22_2:
	v_cvt_f32_u32_e32 v1, s22
	s_sub_i32 s6, 0, s22
	v_rcp_iflag_f32_e32 v1, v1
	s_nop 0
	v_mul_f32_e32 v1, 0x4f7ffffe, v1
	v_cvt_u32_f32_e32 v1, v1
	s_nop 0
	v_readfirstlane_b32 s7, v1
	s_mul_i32 s6, s6, s7
	s_mul_hi_u32 s6, s7, s6
	s_add_i32 s7, s7, s6
	s_mul_hi_u32 s6, s5, s7
	s_waitcnt lgkmcnt(0)
	s_mul_i32 s15, s6, s22
	s_sub_i32 s5, s5, s15
	s_add_i32 s7, s6, 1
	s_sub_i32 s15, s5, s22
	s_cmp_ge_u32 s5, s22
	s_cselect_b32 s6, s7, s6
	s_cselect_b32 s5, s15, s5
	s_add_i32 s7, s6, 1
	s_cmp_ge_u32 s5, s22
	s_cselect_b32 s6, s7, s6
.LBB22_3:
	s_add_i32 s5, s2, 1
	s_mul_hi_i32 s21, s11, s5
	s_mov_b32 s20, 0
	s_cmp_lg_u64 s[20:21], 0
	s_mul_i32 s5, s11, s5
	s_cbranch_scc0 .LBB22_21
; %bb.4:
	s_add_u32 s16, s22, 0
	s_addc_u32 s17, 0, 0
	s_xor_b64 s[18:19], s[16:17], 0
	v_cvt_f32_u32_e32 v1, s18
	v_cvt_f32_u32_e32 v2, s19
	s_sub_u32 s7, 0, s18
	s_waitcnt lgkmcnt(0)
	s_subb_u32 s15, 0, s19
	v_fmamk_f32 v1, v2, 0x4f800000, v1
	v_rcp_f32_e32 v1, v1
	s_nop 0
	v_mul_f32_e32 v1, 0x5f7ffffc, v1
	v_mul_f32_e32 v2, 0x2f800000, v1
	v_trunc_f32_e32 v2, v2
	v_fmamk_f32 v1, v2, 0xcf800000, v1
	v_cvt_u32_f32_e32 v2, v2
	v_cvt_u32_f32_e32 v1, v1
	v_readfirstlane_b32 s20, v2
	v_readfirstlane_b32 s23, v1
	s_mul_i32 s24, s7, s20
	s_mul_hi_u32 s26, s7, s23
	s_mul_i32 s25, s15, s23
	s_add_i32 s24, s26, s24
	s_add_i32 s24, s24, s25
	s_mul_i32 s27, s7, s23
	s_mul_i32 s26, s23, s24
	s_mul_hi_u32 s28, s23, s27
	s_mul_hi_u32 s25, s23, s24
	s_add_u32 s26, s28, s26
	s_addc_u32 s25, 0, s25
	s_mul_hi_u32 s29, s20, s27
	s_mul_i32 s27, s20, s27
	s_add_u32 s26, s26, s27
	s_mul_hi_u32 s28, s20, s24
	s_addc_u32 s25, s25, s29
	s_addc_u32 s26, s28, 0
	s_mul_i32 s24, s20, s24
	s_add_u32 s24, s25, s24
	s_addc_u32 s26, 0, s26
	s_add_u32 s23, s23, s24
	s_cselect_b64 s[24:25], -1, 0
	s_cmp_lg_u64 s[24:25], 0
	s_addc_u32 s20, s20, s26
	s_mul_i32 s24, s7, s20
	s_mul_hi_u32 s25, s7, s23
	s_add_i32 s24, s25, s24
	s_mul_i32 s15, s15, s23
	s_add_i32 s24, s24, s15
	s_mul_i32 s7, s7, s23
	s_mul_hi_u32 s25, s20, s7
	s_mul_i32 s26, s20, s7
	s_mul_i32 s28, s23, s24
	s_mul_hi_u32 s7, s23, s7
	s_mul_hi_u32 s27, s23, s24
	s_add_u32 s7, s7, s28
	s_addc_u32 s27, 0, s27
	s_add_u32 s7, s7, s26
	s_mul_hi_u32 s15, s20, s24
	s_addc_u32 s7, s27, s25
	s_addc_u32 s15, s15, 0
	s_mul_i32 s24, s20, s24
	s_add_u32 s7, s7, s24
	s_addc_u32 s15, 0, s15
	s_add_u32 s7, s23, s7
	s_cselect_b64 s[24:25], -1, 0
	s_cmp_lg_u64 s[24:25], 0
	s_addc_u32 s15, s20, s15
	s_ashr_i32 s24, s21, 31
	s_add_u32 s20, s5, s24
	s_mov_b32 s25, s24
	s_addc_u32 s21, s21, s24
	s_xor_b64 s[20:21], s[20:21], s[24:25]
	s_mul_i32 s26, s20, s15
	s_mul_hi_u32 s27, s20, s7
	s_mul_hi_u32 s23, s20, s15
	s_add_u32 s26, s27, s26
	s_addc_u32 s23, 0, s23
	s_mul_hi_u32 s28, s21, s7
	s_mul_i32 s7, s21, s7
	s_add_u32 s7, s26, s7
	s_mul_hi_u32 s27, s21, s15
	s_addc_u32 s7, s23, s28
	s_addc_u32 s23, s27, 0
	s_mul_i32 s15, s21, s15
	s_add_u32 s7, s7, s15
	s_addc_u32 s15, 0, s23
	s_mul_i32 s23, s18, s15
	s_mul_hi_u32 s26, s18, s7
	s_add_i32 s23, s26, s23
	s_mul_i32 s26, s19, s7
	s_add_i32 s23, s23, s26
	s_sub_i32 s28, s21, s23
	s_mul_i32 s26, s18, s7
	s_sub_u32 s20, s20, s26
	s_cselect_b64 s[26:27], -1, 0
	s_cmp_lg_u64 s[26:27], 0
	s_subb_u32 s30, s28, s19
	s_sub_u32 s31, s20, s18
	s_cselect_b64 s[28:29], -1, 0
	s_cmp_lg_u64 s[28:29], 0
	s_subb_u32 s28, s30, 0
	s_cmp_ge_u32 s28, s19
	s_cselect_b32 s29, -1, 0
	s_cmp_ge_u32 s31, s18
	s_cselect_b32 s30, -1, 0
	s_cmp_eq_u32 s28, s19
	s_cselect_b32 s28, s30, s29
	s_add_u32 s29, s7, 1
	s_addc_u32 s30, s15, 0
	s_add_u32 s31, s7, 2
	s_addc_u32 s33, s15, 0
	s_cmp_lg_u32 s28, 0
	s_cselect_b32 s28, s31, s29
	s_cselect_b32 s29, s33, s30
	s_cmp_lg_u64 s[26:27], 0
	s_subb_u32 s21, s21, s23
	s_cmp_ge_u32 s21, s19
	s_cselect_b32 s23, -1, 0
	s_cmp_ge_u32 s20, s18
	s_cselect_b32 s18, -1, 0
	s_cmp_eq_u32 s21, s19
	s_cselect_b32 s18, s18, s23
	s_cmp_lg_u32 s18, 0
	s_cselect_b32 s19, s29, s15
	s_cselect_b32 s18, s28, s7
	s_xor_b64 s[20:21], s[24:25], 0
	s_xor_b64 s[18:19], s[18:19], s[20:21]
	s_sub_u32 s18, s18, s20
	s_cbranch_execnz .LBB22_6
.LBB22_5:
	v_cvt_f32_u32_e32 v1, s22
	s_sub_i32 s7, 0, s22
	v_rcp_iflag_f32_e32 v1, v1
	s_nop 0
	v_mul_f32_e32 v1, 0x4f7ffffe, v1
	v_cvt_u32_f32_e32 v1, v1
	s_waitcnt lgkmcnt(0)
	v_readfirstlane_b32 s15, v1
	s_mul_i32 s7, s7, s15
	s_mul_hi_u32 s7, s15, s7
	s_add_i32 s15, s15, s7
	s_mul_hi_u32 s7, s5, s15
	s_mul_i32 s16, s7, s22
	s_sub_i32 s5, s5, s16
	s_add_i32 s15, s7, 1
	s_sub_i32 s16, s5, s22
	s_cmp_ge_u32 s5, s22
	s_cselect_b32 s7, s15, s7
	s_cselect_b32 s5, s16, s5
	s_add_i32 s15, s7, 1
	s_cmp_ge_u32 s5, s22
	s_cselect_b32 s18, s15, s7
.LBB22_6:
	s_cmp_eq_u32 s6, s18
	s_waitcnt lgkmcnt(0)
	s_mul_hi_u32 s5, s6, s12
	s_cselect_b64 s[16:17], -1, 0
	s_add_i32 s5, s5, s6
	s_lshr_b32 s7, s5, s13
	s_mul_i32 s5, s7, s14
	s_cmp_eq_u32 s5, s6
	s_mul_hi_u32 s5, s18, s12
	s_cselect_b64 s[20:21], -1, 0
	s_add_i32 s5, s5, s18
	s_lshr_b32 s5, s5, s13
	s_cmp_eq_u32 s7, s5
	s_mul_i32 s5, s5, s14
	s_cselect_b64 s[24:25], -1, 0
	s_cmp_lg_u32 s5, s18
	s_cselect_b64 s[18:19], -1, 0
	s_and_b64 s[18:19], s[24:25], s[18:19]
	s_or_b64 s[16:17], s[16:17], s[20:21]
	s_or_b64 s[16:17], s[16:17], s[18:19]
	s_and_b64 vcc, exec, s[16:17]
	s_cbranch_vccnz .LBB22_23
; %bb.7:
	s_load_dwordx8 s[24:31], s[0:1], 0x20
	s_load_dword s5, s[0:1], 0x40
	s_waitcnt lgkmcnt(0)
	s_mul_hi_u32 s15, s6, s24
	s_add_i32 s15, s15, s6
	s_lshr_b32 s20, s15, s25
	s_mul_i32 s15, s20, s26
	s_sub_i32 s15, s6, s15
	s_mul_hi_u32 s16, s15, s27
	s_add_i32 s16, s15, s16
	s_lshr_b32 s21, s16, s28
	s_mul_i32 s16, s21, s29
	s_sub_i32 s15, s15, s16
	s_mul_hi_u32 s16, s15, s30
	s_add_i32 s16, s15, s16
	s_lshr_b32 s16, s16, s31
	s_mul_i32 s5, s16, s5
	s_sub_i32 s5, s15, s5
	s_mul_hi_u32 s15, s5, s12
	s_add_i32 s5, s5, s15
	s_lshr_b32 s23, s5, s13
	s_lshl_b32 s5, s23, 2
	s_lshl_b32 s24, s16, 3
	s_add_i32 s5, s5, s3
	s_cmp_lt_i32 s5, s8
	s_cselect_b64 s[16:17], -1, 0
	s_add_i32 s24, s24, s4
	s_cmp_lt_i32 s24, s10
	s_cselect_b64 s[18:19], -1, 0
	s_and_b64 s[16:17], s[16:17], s[18:19]
	s_andn2_b64 vcc, exec, s[16:17]
	s_cbranch_vccnz .LBB22_23
; %bb.8:
	s_load_dwordx4 s[16:19], s[0:1], 0x0
	s_mov_b32 s0, 0
	s_lshl_b32 s15, s3, 3
	s_lshl_b32 s26, s22, 7
	s_mov_b32 s27, s0
	s_add_i32 s15, s15, s4
	s_lshl_b64 s[4:5], s[26:27], 2
	s_waitcnt lgkmcnt(0)
	s_add_u32 s4, s18, s4
	s_mul_i32 s1, s20, s8
	s_addc_u32 s5, s19, s5
	s_mul_i32 s21, s21, s10
	s_add_i32 s1, s1, s3
	s_mul_i32 s1, s1, s9
	s_add_i32 s3, s24, s21
	;; [unrolled: 2-line block ×3, first 2 shown]
	s_mulk_i32 s8, 0x1c0
	s_mulk_i32 s1, 0x70
	s_add_i32 s8, s8, s1
	v_add_u32_e32 v4, s8, v0
	v_mov_b32_e32 v2, s16
	v_mov_b32_e32 v3, s17
	v_ashrrev_i32_e32 v5, 31, v4
	v_lshl_add_u64 v[2:3], v[4:5], 2, v[2:3]
	global_load_dword v1, v[2:3], off
	v_cvt_f32_u32_e32 v4, s22
	s_lshl_b32 s1, s2, 5
	s_add_i32 s8, s15, s1
	s_ashr_i32 s9, s8, 31
	s_lshl_b64 s[8:9], s[8:9], 3
	v_rcp_iflag_f32_e32 v4, v4
	s_add_u32 s8, s18, s8
	s_addc_u32 s9, s19, s9
	s_load_dwordx2 s[8:9], s[8:9], 0x0
	v_mul_f32_e32 v4, 0x4f7ffffe, v4
	v_cvt_u32_f32_e32 v7, v4
	s_mul_i32 s1, s15, 0x70
	s_add_i32 s21, s2, -1
	v_add_u32_e32 v6, s1, v0
	s_waitcnt lgkmcnt(0)
	v_mov_b32_e32 v0, s9
	v_mov_b32_e32 v9, s8
	s_mov_b32 s10, 0x3fb8aa3b
	s_mov_b32 s20, 0xc2ce8ed0
	;; [unrolled: 1-line block ×4, first 2 shown]
	v_mov_b32_e32 v8, 0x7f800000
	s_mul_hi_i32 s1, s21, s11
	s_cmp_lg_u64 s[0:1], 0
	s_mul_i32 s16, s21, s11
	s_cbranch_scc0 .LBB22_19
.LBB22_9:
	s_add_u32 s2, s22, 0
	s_addc_u32 s3, 0, 0
	s_xor_b64 s[2:3], s[2:3], 0
	v_cvt_f32_u32_e32 v4, s2
	v_cvt_f32_u32_e32 v5, s3
	s_sub_u32 s17, 0, s2
	s_subb_u32 s25, 0, s3
	v_fmac_f32_e32 v4, 0x4f800000, v5
	v_rcp_f32_e32 v4, v4
	s_nop 0
	v_mul_f32_e32 v4, 0x5f7ffffc, v4
	v_mul_f32_e32 v5, 0x2f800000, v4
	v_trunc_f32_e32 v5, v5
	v_fmac_f32_e32 v4, 0xcf800000, v5
	v_cvt_u32_f32_e32 v5, v5
	v_cvt_u32_f32_e32 v4, v4
	v_readfirstlane_b32 s26, v5
	v_readfirstlane_b32 s8, v4
	s_mul_i32 s9, s17, s26
	s_mul_hi_u32 s28, s17, s8
	s_mul_i32 s27, s25, s8
	s_add_i32 s9, s28, s9
	s_mul_i32 s29, s17, s8
	s_add_i32 s9, s9, s27
	s_mul_i32 s28, s8, s9
	s_mul_hi_u32 s30, s8, s29
	s_mul_hi_u32 s27, s8, s9
	s_add_u32 s28, s30, s28
	s_addc_u32 s27, 0, s27
	s_mul_hi_u32 s31, s26, s29
	s_mul_i32 s29, s26, s29
	s_add_u32 s28, s28, s29
	s_mul_hi_u32 s30, s26, s9
	s_addc_u32 s27, s27, s31
	s_addc_u32 s28, s30, 0
	s_mul_i32 s9, s26, s9
	s_add_u32 s9, s27, s9
	s_addc_u32 s27, 0, s28
	s_add_u32 s28, s8, s9
	s_cselect_b64 s[8:9], -1, 0
	s_cmp_lg_u64 s[8:9], 0
	s_addc_u32 s26, s26, s27
	s_mul_i32 s8, s17, s26
	s_mul_hi_u32 s9, s17, s28
	s_add_i32 s8, s9, s8
	s_mul_i32 s25, s25, s28
	s_add_i32 s8, s8, s25
	s_mul_i32 s17, s17, s28
	s_mul_hi_u32 s25, s26, s17
	s_mul_i32 s27, s26, s17
	s_mul_i32 s30, s28, s8
	s_mul_hi_u32 s17, s28, s17
	s_mul_hi_u32 s29, s28, s8
	s_add_u32 s17, s17, s30
	s_addc_u32 s29, 0, s29
	s_add_u32 s17, s17, s27
	s_mul_hi_u32 s9, s26, s8
	s_addc_u32 s17, s29, s25
	s_addc_u32 s9, s9, 0
	s_mul_i32 s8, s26, s8
	s_add_u32 s8, s17, s8
	s_addc_u32 s17, 0, s9
	s_add_u32 s25, s28, s8
	s_cselect_b64 s[8:9], -1, 0
	s_cmp_lg_u64 s[8:9], 0
	s_addc_u32 s17, s26, s17
	s_ashr_i32 s8, s1, 31
	s_add_u32 s26, s16, s8
	s_mov_b32 s9, s8
	s_addc_u32 s27, s1, s8
	s_xor_b64 s[26:27], s[26:27], s[8:9]
	s_mul_i32 s28, s26, s17
	s_mul_hi_u32 s29, s26, s25
	s_mul_hi_u32 s1, s26, s17
	s_add_u32 s28, s29, s28
	s_addc_u32 s1, 0, s1
	s_mul_hi_u32 s30, s27, s25
	s_mul_i32 s25, s27, s25
	s_add_u32 s25, s28, s25
	s_mul_hi_u32 s29, s27, s17
	s_addc_u32 s1, s1, s30
	s_addc_u32 s25, s29, 0
	s_mul_i32 s17, s27, s17
	s_add_u32 s1, s1, s17
	s_addc_u32 s17, 0, s25
	s_mul_i32 s25, s2, s17
	s_mul_hi_u32 s28, s2, s1
	s_add_i32 s25, s28, s25
	s_mul_i32 s28, s3, s1
	s_add_i32 s25, s25, s28
	s_sub_i32 s30, s27, s25
	s_mul_i32 s28, s2, s1
	s_sub_u32 s26, s26, s28
	s_cselect_b64 s[28:29], -1, 0
	s_cmp_lg_u64 s[28:29], 0
	s_subb_u32 s33, s30, s3
	s_sub_u32 s34, s26, s2
	s_cselect_b64 s[30:31], -1, 0
	s_cmp_lg_u64 s[30:31], 0
	s_subb_u32 s30, s33, 0
	s_cmp_ge_u32 s30, s3
	s_cselect_b32 s31, -1, 0
	s_cmp_ge_u32 s34, s2
	s_cselect_b32 s33, -1, 0
	s_cmp_eq_u32 s30, s3
	s_cselect_b32 s30, s33, s31
	s_add_u32 s31, s1, 1
	s_addc_u32 s33, s17, 0
	s_add_u32 s34, s1, 2
	s_addc_u32 s35, s17, 0
	s_cmp_lg_u32 s30, 0
	s_cselect_b32 s30, s34, s31
	s_cselect_b32 s31, s35, s33
	s_cmp_lg_u64 s[28:29], 0
	s_subb_u32 s25, s27, s25
	s_cmp_ge_u32 s25, s3
	s_cselect_b32 s27, -1, 0
	s_cmp_ge_u32 s26, s2
	s_cselect_b32 s2, -1, 0
	s_cmp_eq_u32 s25, s3
	s_cselect_b32 s2, s2, s27
	s_cmp_lg_u32 s2, 0
	s_cselect_b32 s3, s31, s17
	s_cselect_b32 s2, s30, s1
	s_xor_b64 s[8:9], s[8:9], 0
	s_xor_b64 s[2:3], s[2:3], s[8:9]
	s_sub_u32 s8, s2, s8
	s_cbranch_execnz .LBB22_11
.LBB22_10:
	s_sub_i32 s1, 0, s22
	v_readfirstlane_b32 s2, v7
	s_mul_i32 s1, s1, s2
	s_mul_hi_u32 s1, s2, s1
	s_add_i32 s2, s2, s1
	s_mul_hi_u32 s1, s16, s2
	s_mul_i32 s3, s1, s22
	s_sub_i32 s3, s16, s3
	s_add_i32 s2, s1, 1
	s_sub_i32 s8, s3, s22
	s_cmp_ge_u32 s3, s22
	s_cselect_b32 s1, s2, s1
	s_cselect_b32 s3, s8, s3
	s_add_i32 s2, s1, 1
	s_cmp_ge_u32 s3, s22
	s_cselect_b32 s8, s2, s1
.LBB22_11:
	s_cmp_lg_u32 s6, s8
	s_cbranch_scc0 .LBB22_15
; %bb.12:
	s_add_i32 s1, s21, s22
	s_lshl_b32 s1, s1, 5
	s_add_i32 s2, s1, s15
	s_mov_b32 s3, s0
	s_lshl_b64 s[2:3], s[2:3], 3
	s_add_u32 s16, s18, s2
	s_mul_hi_u32 s1, s8, s12
	s_addc_u32 s17, s19, s3
	s_add_i32 s1, s1, s8
	s_lshr_b32 s1, s1, s13
	s_mul_i32 s2, s1, s14
	s_cmp_eq_u32 s2, s8
	s_cselect_b64 s[2:3], -1, 0
	s_cmp_lt_u32 s1, s7
	s_cselect_b64 s[26:27], -1, 0
	s_or_b64 s[26:27], s[26:27], s[2:3]
	s_mov_b64 s[2:3], -1
	s_and_b64 vcc, exec, s[26:27]
	s_mov_b32 s1, s21
	s_mov_b32 s25, s6
	s_cbranch_vccnz .LBB22_14
; %bb.13:
	s_add_i32 s1, s21, -1
	s_mov_b64 s[2:3], 0
	s_mov_b32 s25, s8
.LBB22_14:
	s_mul_i32 s8, s21, 0xe00
	v_add_u32_e32 v4, s8, v6
	v_ashrrev_i32_e32 v5, 31, v4
	v_lshl_add_u64 v[4:5], v[4:5], 2, s[4:5]
	global_load_dword v5, v[4:5], off
	s_load_dwordx2 s[8:9], s[16:17], 0x0
	v_max_f32_e32 v4, v9, v9
	s_waitcnt lgkmcnt(0)
	v_max_f32_e64 v10, s8, s8
	v_max_f32_e32 v10, v4, v10
	v_sub_f32_e32 v11, v9, v10
	v_sub_f32_e32 v13, s8, v10
	v_mul_f32_e32 v4, 0x3fb8aa3b, v11
	v_mul_f32_e32 v12, 0x3fb8aa3b, v13
	v_fma_f32 v14, v11, s10, -v4
	v_rndne_f32_e32 v15, v4
	v_fma_f32 v16, v13, s10, -v12
	v_rndne_f32_e32 v17, v12
	v_fmac_f32_e32 v14, 0x32a5705f, v11
	v_sub_f32_e32 v4, v4, v15
	v_fmac_f32_e32 v16, 0x32a5705f, v13
	v_sub_f32_e32 v12, v12, v17
	v_add_f32_e32 v4, v4, v14
	v_cvt_i32_f32_e32 v15, v15
	v_add_f32_e32 v12, v12, v16
	v_exp_f32_e32 v14, v4
	v_cvt_i32_f32_e32 v17, v17
	v_exp_f32_e32 v12, v12
	v_cmp_ngt_f32_e32 vcc, s20, v11
	v_ldexp_f32 v14, v14, v15
	v_mov_b32_e32 v4, s9
	v_ldexp_f32 v12, v12, v17
	v_cndmask_b32_e32 v14, 0, v14, vcc
	v_cmp_ngt_f32_e32 vcc, s20, v13
	s_nop 1
	v_cndmask_b32_e32 v12, 0, v12, vcc
	v_cmp_nlt_f32_e32 vcc, s23, v11
	s_nop 1
	v_cndmask_b32_e32 v14, v8, v14, vcc
	v_cmp_nlt_f32_e32 vcc, s23, v13
	s_nop 1
	v_cndmask_b32_e32 v15, v8, v12, vcc
	v_cmp_le_f32_e32 vcc, s24, v11
	s_nop 1
	v_cndmask_b32_e32 v12, 0, v14, vcc
	v_cmp_le_f32_e32 vcc, s24, v13
	s_nop 1
	v_cndmask_b32_e32 v14, 0, v15, vcc
	s_waitcnt vmcnt(0)
	v_pk_mul_f32 v[4:5], v[4:5], v[14:15] op_sel_hi:[1,0]
	s_nop 0
	v_pk_fma_f32 v[4:5], v[0:1], v[12:13], v[4:5] op_sel_hi:[1,0,1]
	s_cbranch_execz .LBB22_16
	s_branch .LBB22_17
.LBB22_15:
                                        ; implicit-def: $vgpr4_vgpr5
                                        ; implicit-def: $sgpr2_sgpr3
                                        ; implicit-def: $vgpr10
                                        ; implicit-def: $sgpr1
                                        ; implicit-def: $sgpr25
.LBB22_16:
	s_add_i32 s1, s21, -1
	s_mov_b64 s[2:3], 0
	s_mov_b32 s25, s6
	v_mov_b32_e32 v10, v9
	s_waitcnt vmcnt(0)
	v_mov_b64_e32 v[4:5], v[0:1]
.LBB22_17:
	s_andn2_b64 vcc, exec, s[2:3]
	s_cbranch_vccz .LBB22_22
; %bb.18:
	s_mov_b32 s6, s25
	s_mov_b32 s21, s1
	v_mov_b32_e32 v9, v10
	s_waitcnt vmcnt(0)
	v_mov_b64_e32 v[0:1], v[4:5]
	s_mul_hi_i32 s1, s21, s11
	s_cmp_lg_u64 s[0:1], 0
	s_mul_i32 s16, s21, s11
	s_cbranch_scc1 .LBB22_9
.LBB22_19:
                                        ; implicit-def: $sgpr8_sgpr9
	s_branch .LBB22_10
.LBB22_20:
                                        ; implicit-def: $sgpr6_sgpr7
	s_load_dwordx4 s[12:15], s[0:1], 0x44
	s_branch .LBB22_2
.LBB22_21:
                                        ; implicit-def: $sgpr18_sgpr19
	s_branch .LBB22_5
.LBB22_22:
	v_div_scale_f32 v0, s[0:1], v4, v4, v5
	s_waitcnt vmcnt(0)
	v_rcp_f32_e32 v1, v0
	v_div_scale_f32 v6, vcc, v5, v4, v5
	v_fma_f32 v7, -v0, v1, 1.0
	v_fmac_f32_e32 v1, v7, v1
	v_mul_f32_e32 v7, v6, v1
	v_fma_f32 v8, -v0, v7, v6
	v_fmac_f32_e32 v7, v8, v1
	v_fma_f32 v0, -v0, v7, v6
	v_div_fmas_f32 v0, v0, v1, v7
	v_div_fixup_f32 v0, v0, v4, v5
	global_store_dword v[2:3], v0, off
.LBB22_23:
	s_endpgm
	.section	.rodata,"a",@progbits
	.p2align	6, 0x0
	.amdhsa_kernel _ZL33flash_attn_stream_k_fixup_generalILi112ELi4ELi8EEvPfPK15HIP_vector_typeIfLj2EEiiiiS1_IjLj3EES5_S5_S5_
		.amdhsa_group_segment_fixed_size 0
		.amdhsa_private_segment_fixed_size 0
		.amdhsa_kernarg_size 336
		.amdhsa_user_sgpr_count 2
		.amdhsa_user_sgpr_dispatch_ptr 0
		.amdhsa_user_sgpr_queue_ptr 0
		.amdhsa_user_sgpr_kernarg_segment_ptr 1
		.amdhsa_user_sgpr_dispatch_id 0
		.amdhsa_user_sgpr_kernarg_preload_length 0
		.amdhsa_user_sgpr_kernarg_preload_offset 0
		.amdhsa_user_sgpr_private_segment_size 0
		.amdhsa_uses_dynamic_stack 0
		.amdhsa_enable_private_segment 0
		.amdhsa_system_sgpr_workgroup_id_x 1
		.amdhsa_system_sgpr_workgroup_id_y 1
		.amdhsa_system_sgpr_workgroup_id_z 1
		.amdhsa_system_sgpr_workgroup_info 0
		.amdhsa_system_vgpr_workitem_id 0
		.amdhsa_next_free_vgpr 18
		.amdhsa_next_free_sgpr 36
		.amdhsa_accum_offset 20
		.amdhsa_reserve_vcc 1
		.amdhsa_float_round_mode_32 0
		.amdhsa_float_round_mode_16_64 0
		.amdhsa_float_denorm_mode_32 3
		.amdhsa_float_denorm_mode_16_64 3
		.amdhsa_dx10_clamp 1
		.amdhsa_ieee_mode 1
		.amdhsa_fp16_overflow 0
		.amdhsa_tg_split 0
		.amdhsa_exception_fp_ieee_invalid_op 0
		.amdhsa_exception_fp_denorm_src 0
		.amdhsa_exception_fp_ieee_div_zero 0
		.amdhsa_exception_fp_ieee_overflow 0
		.amdhsa_exception_fp_ieee_underflow 0
		.amdhsa_exception_fp_ieee_inexact 0
		.amdhsa_exception_int_div_zero 0
	.end_amdhsa_kernel
	.section	.text._ZL33flash_attn_stream_k_fixup_generalILi112ELi4ELi8EEvPfPK15HIP_vector_typeIfLj2EEiiiiS1_IjLj3EES5_S5_S5_,"axG",@progbits,_ZL33flash_attn_stream_k_fixup_generalILi112ELi4ELi8EEvPfPK15HIP_vector_typeIfLj2EEiiiiS1_IjLj3EES5_S5_S5_,comdat
.Lfunc_end22:
	.size	_ZL33flash_attn_stream_k_fixup_generalILi112ELi4ELi8EEvPfPK15HIP_vector_typeIfLj2EEiiiiS1_IjLj3EES5_S5_S5_, .Lfunc_end22-_ZL33flash_attn_stream_k_fixup_generalILi112ELi4ELi8EEvPfPK15HIP_vector_typeIfLj2EEiiiiS1_IjLj3EES5_S5_S5_
                                        ; -- End function
	.set _ZL33flash_attn_stream_k_fixup_generalILi112ELi4ELi8EEvPfPK15HIP_vector_typeIfLj2EEiiiiS1_IjLj3EES5_S5_S5_.num_vgpr, 18
	.set _ZL33flash_attn_stream_k_fixup_generalILi112ELi4ELi8EEvPfPK15HIP_vector_typeIfLj2EEiiiiS1_IjLj3EES5_S5_S5_.num_agpr, 0
	.set _ZL33flash_attn_stream_k_fixup_generalILi112ELi4ELi8EEvPfPK15HIP_vector_typeIfLj2EEiiiiS1_IjLj3EES5_S5_S5_.numbered_sgpr, 36
	.set _ZL33flash_attn_stream_k_fixup_generalILi112ELi4ELi8EEvPfPK15HIP_vector_typeIfLj2EEiiiiS1_IjLj3EES5_S5_S5_.num_named_barrier, 0
	.set _ZL33flash_attn_stream_k_fixup_generalILi112ELi4ELi8EEvPfPK15HIP_vector_typeIfLj2EEiiiiS1_IjLj3EES5_S5_S5_.private_seg_size, 0
	.set _ZL33flash_attn_stream_k_fixup_generalILi112ELi4ELi8EEvPfPK15HIP_vector_typeIfLj2EEiiiiS1_IjLj3EES5_S5_S5_.uses_vcc, 1
	.set _ZL33flash_attn_stream_k_fixup_generalILi112ELi4ELi8EEvPfPK15HIP_vector_typeIfLj2EEiiiiS1_IjLj3EES5_S5_S5_.uses_flat_scratch, 0
	.set _ZL33flash_attn_stream_k_fixup_generalILi112ELi4ELi8EEvPfPK15HIP_vector_typeIfLj2EEiiiiS1_IjLj3EES5_S5_S5_.has_dyn_sized_stack, 0
	.set _ZL33flash_attn_stream_k_fixup_generalILi112ELi4ELi8EEvPfPK15HIP_vector_typeIfLj2EEiiiiS1_IjLj3EES5_S5_S5_.has_recursion, 0
	.set _ZL33flash_attn_stream_k_fixup_generalILi112ELi4ELi8EEvPfPK15HIP_vector_typeIfLj2EEiiiiS1_IjLj3EES5_S5_S5_.has_indirect_call, 0
	.section	.AMDGPU.csdata,"",@progbits
; Kernel info:
; codeLenInByte = 2944
; TotalNumSgprs: 42
; NumVgprs: 18
; NumAgprs: 0
; TotalNumVgprs: 18
; ScratchSize: 0
; MemoryBound: 0
; FloatMode: 240
; IeeeMode: 1
; LDSByteSize: 0 bytes/workgroup (compile time only)
; SGPRBlocks: 5
; VGPRBlocks: 2
; NumSGPRsForWavesPerEU: 42
; NumVGPRsForWavesPerEU: 18
; AccumOffset: 20
; Occupancy: 8
; WaveLimiterHint : 0
; COMPUTE_PGM_RSRC2:SCRATCH_EN: 0
; COMPUTE_PGM_RSRC2:USER_SGPR: 2
; COMPUTE_PGM_RSRC2:TRAP_HANDLER: 0
; COMPUTE_PGM_RSRC2:TGID_X_EN: 1
; COMPUTE_PGM_RSRC2:TGID_Y_EN: 1
; COMPUTE_PGM_RSRC2:TGID_Z_EN: 1
; COMPUTE_PGM_RSRC2:TIDIG_COMP_CNT: 0
; COMPUTE_PGM_RSRC3_GFX90A:ACCUM_OFFSET: 4
; COMPUTE_PGM_RSRC3_GFX90A:TG_SPLIT: 0
	.section	.text._ZL26flash_attn_combine_resultsILi112EEvPKfPK15HIP_vector_typeIfLj2EEPfi,"axG",@progbits,_ZL26flash_attn_combine_resultsILi112EEvPKfPK15HIP_vector_typeIfLj2EEPfi,comdat
	.globl	_ZL26flash_attn_combine_resultsILi112EEvPKfPK15HIP_vector_typeIfLj2EEPfi ; -- Begin function _ZL26flash_attn_combine_resultsILi112EEvPKfPK15HIP_vector_typeIfLj2EEPfi
	.p2align	8
	.type	_ZL26flash_attn_combine_resultsILi112EEvPKfPK15HIP_vector_typeIfLj2EEPfi,@function
_ZL26flash_attn_combine_resultsILi112EEvPKfPK15HIP_vector_typeIfLj2EEPfi: ; @_ZL26flash_attn_combine_resultsILi112EEvPKfPK15HIP_vector_typeIfLj2EEPfi
; %bb.0:
	s_load_dwordx2 s[6:7], s[0:1], 0x20
	s_load_dword s23, s[0:1], 0x18
	s_load_dwordx4 s[16:19], s[0:1], 0x0
	s_load_dwordx2 s[14:15], s[0:1], 0x10
	s_waitcnt lgkmcnt(0)
	s_mul_i32 s0, s6, s4
	s_add_i32 s0, s0, s2
	s_mul_i32 s22, s0, s7
	s_add_i32 s22, s22, s3
	s_lshl_b32 s12, s23, 1
	s_mul_i32 s2, s22, s23
	v_cmp_gt_i32_e32 vcc, s12, v0
	s_and_saveexec_b64 s[0:1], vcc
	s_cbranch_execz .LBB23_13
; %bb.1:
	v_xad_u32 v1, v0, -1, s12
	s_movk_i32 s4, 0x6f
	s_ashr_i32 s3, s2, 31
	v_cmp_lt_u32_e32 vcc, s4, v1
	s_mov_b64 s[6:7], -1
	v_mov_b32_e32 v2, v0
	s_and_saveexec_b64 s[4:5], vcc
	s_cbranch_execz .LBB23_10
; %bb.2:
	v_lshrrev_b32_e32 v1, 4, v1
	s_mov_b32 s6, 0x24924925
	v_mul_hi_u32 v6, v1, s6
	s_lshl_b64 s[6:7], s[2:3], 3
	v_add_u32_e32 v2, -1, v6
	s_add_u32 s6, s18, s6
	v_add_u32_e32 v1, 0x70, v0
	v_lshrrev_b32_e32 v3, 1, v2
	s_addc_u32 s7, s19, s7
	v_add_u32_e32 v7, 1, v3
	v_cmp_lt_u32_e32 vcc, 13, v2
	v_mov_b32_e32 v4, 0
	v_mov_b64_e32 v[2:3], v[0:1]
	s_and_saveexec_b64 s[8:9], vcc
	s_cbranch_execz .LBB23_6
; %bb.3:
	v_and_b32_e32 v8, -8, v7
	s_mov_b32 s13, 0
	v_lshl_add_u32 v9, v0, 2, 0
	s_mov_b64 s[10:11], 0
	v_mov_b32_e32 v5, 0
	v_mov_b64_e32 v[2:3], v[0:1]
.LBB23_4:                               ; =>This Inner Loop Header: Depth=1
	v_mov_b32_e32 v4, v2
	v_lshl_add_u64 v[24:25], v[4:5], 2, s[6:7]
	v_mov_b32_e32 v4, v3
	v_add_u32_e32 v10, 0xe0, v3
	v_mov_b32_e32 v11, v5
	v_lshl_add_u64 v[26:27], v[4:5], 2, s[6:7]
	v_add_u32_e32 v4, 0xe0, v2
	v_lshl_add_u64 v[10:11], v[10:11], 2, s[6:7]
	global_load_dword v1, v[24:25], off
	v_lshl_add_u64 v[24:25], v[4:5], 2, s[6:7]
	v_add_u32_e32 v4, 0x1c0, v2
	global_load_dword v28, v[26:27], off
	global_load_dword v29, v[24:25], off
	;; [unrolled: 1-line block ×3, first 2 shown]
	v_lshl_add_u64 v[10:11], v[4:5], 2, s[6:7]
	v_add_u32_e32 v4, 0x2a0, v2
	v_add_u32_e32 v12, 0x1c0, v3
	v_mov_b32_e32 v13, v5
	v_add_u32_e32 v14, 0x2a0, v3
	v_mov_b32_e32 v15, v5
	v_lshl_add_u64 v[24:25], v[4:5], 2, s[6:7]
	v_add_u32_e32 v4, 0x380, v2
	v_lshl_add_u64 v[12:13], v[12:13], 2, s[6:7]
	v_lshl_add_u64 v[14:15], v[14:15], 2, s[6:7]
	global_load_dword v26, v[10:11], off
	global_load_dword v27, v[12:13], off
	;; [unrolled: 1-line block ×4, first 2 shown]
	v_lshl_add_u64 v[10:11], v[4:5], 2, s[6:7]
	v_add_u32_e32 v4, 0x460, v2
	v_add_u32_e32 v16, 0x380, v3
	v_mov_b32_e32 v17, v5
	v_add_u32_e32 v18, 0x460, v3
	v_mov_b32_e32 v19, v5
	v_lshl_add_u64 v[12:13], v[4:5], 2, s[6:7]
	v_add_u32_e32 v4, 0x540, v2
	v_add_u32_e32 v20, 0x540, v3
	v_mov_b32_e32 v21, v5
	v_add_u32_e32 v22, 0x620, v3
	v_mov_b32_e32 v23, v5
	v_lshl_add_u64 v[16:17], v[16:17], 2, s[6:7]
	v_lshl_add_u64 v[18:19], v[18:19], 2, s[6:7]
	global_load_dword v14, v[10:11], off
	global_load_dword v15, v[16:17], off
	;; [unrolled: 1-line block ×4, first 2 shown]
	v_lshl_add_u64 v[10:11], v[4:5], 2, s[6:7]
	v_add_u32_e32 v4, 0x620, v2
	v_lshl_add_u64 v[20:21], v[20:21], 2, s[6:7]
	v_lshl_add_u64 v[22:23], v[22:23], 2, s[6:7]
	;; [unrolled: 1-line block ×3, first 2 shown]
	global_load_dword v16, v[10:11], off
	global_load_dword v17, v[20:21], off
	;; [unrolled: 1-line block ×4, first 2 shown]
	v_add_u32_e32 v8, -8, v8
	s_add_i32 s13, s13, 16
	v_cmp_eq_u32_e32 vcc, 0, v8
	v_add_u32_e32 v10, 0x200, v9
	v_add_u32_e32 v11, 0x600, v9
	;; [unrolled: 1-line block ×8, first 2 shown]
	v_mov_b32_e32 v4, s13
	s_or_b64 s[10:11], vcc, s[10:11]
	v_add_u32_e32 v2, 0x700, v2
	s_waitcnt vmcnt(14)
	ds_write2_b32 v9, v1, v28 offset1:112
	v_add_u32_e32 v9, 0x1c00, v9
	s_waitcnt vmcnt(12)
	ds_write2_b32 v10, v29, v30 offset0:96 offset1:208
	s_waitcnt vmcnt(10)
	ds_write2_b32 v11, v26, v27 offset0:64 offset1:176
	;; [unrolled: 2-line block ×7, first 2 shown]
	s_andn2_b64 exec, exec, s[10:11]
	s_cbranch_execnz .LBB23_4
; %bb.5:
	s_or_b64 exec, exec, s[10:11]
.LBB23_6:
	s_or_b64 exec, exec, s[8:9]
	v_and_b32_e32 v1, 7, v7
	v_cmp_ne_u32_e32 vcc, 0, v1
	s_and_saveexec_b64 s[8:9], vcc
	s_cbranch_execz .LBB23_9
; %bb.7:
	s_movk_i32 s10, 0x1c0
	v_mul_lo_u32 v4, v4, s10
	v_lshlrev_b32_e32 v5, 2, v0
	v_add3_u32 v7, v4, v5, 0
	s_mov_b64 s[10:11], 0
	v_mov_b32_e32 v5, 0
.LBB23_8:                               ; =>This Inner Loop Header: Depth=1
	v_mov_b32_e32 v4, v2
	v_lshl_add_u64 v[8:9], v[4:5], 2, s[6:7]
	v_mov_b32_e32 v4, v3
	v_lshl_add_u64 v[10:11], v[4:5], 2, s[6:7]
	global_load_dword v4, v[8:9], off
	global_load_dword v12, v[10:11], off
	v_add_u32_e32 v1, -1, v1
	v_cmp_eq_u32_e32 vcc, 0, v1
	v_add_u32_e32 v2, 0xe0, v2
	v_add_u32_e32 v3, 0xe0, v3
	s_or_b64 s[10:11], vcc, s[10:11]
	s_waitcnt vmcnt(0)
	ds_write2_b32 v7, v4, v12 offset1:112
	v_add_u32_e32 v7, 0x380, v7
	s_andn2_b64 exec, exec, s[10:11]
	s_cbranch_execnz .LBB23_8
.LBB23_9:
	s_or_b64 exec, exec, s[8:9]
	v_add_u32_e32 v1, 1, v6
	v_and_b32_e32 v4, 0x7fffffe, v1
	s_movk_i32 s6, 0x70
	v_mad_u64_u32 v[2:3], s[6:7], v4, s6, v[0:1]
	v_cmp_ne_u32_e32 vcc, v1, v4
	s_orn2_b64 s[6:7], vcc, exec
.LBB23_10:
	s_or_b64 exec, exec, s[4:5]
	s_and_b64 exec, exec, s[6:7]
	s_cbranch_execz .LBB23_13
; %bb.11:
	s_lshl_b64 s[4:5], s[2:3], 3
	s_add_u32 s4, s18, s4
	v_mov_b32_e32 v3, 0
	s_addc_u32 s5, s19, s5
	v_lshl_add_u64 v[4:5], v[2:3], 2, s[4:5]
	v_lshl_add_u32 v1, v2, 2, 0
	s_mov_b64 s[4:5], 0
	s_mov_b64 s[6:7], 0x1c0
.LBB23_12:                              ; =>This Inner Loop Header: Depth=1
	global_load_dword v3, v[4:5], off
	v_add_u32_e32 v2, 0x70, v2
	v_cmp_le_i32_e32 vcc, s12, v2
	v_lshl_add_u64 v[4:5], v[4:5], 0, s[6:7]
	s_or_b64 s[4:5], vcc, s[4:5]
	s_waitcnt vmcnt(0)
	ds_write_b32 v1, v3
	v_add_u32_e32 v1, 0x1c0, v1
	s_andn2_b64 exec, exec, s[4:5]
	s_cbranch_execnz .LBB23_12
.LBB23_13:
	s_or_b64 exec, exec, s[0:1]
	v_mov_b32_e32 v1, 0
	s_waitcnt lgkmcnt(0)
	s_barrier
	ds_read_b32 v1, v1
	s_cmp_lt_i32 s23, 2
	s_cbranch_scc1 .LBB23_21
; %bb.14:
	s_cmp_eq_u32 s23, 2
	s_cbranch_scc1 .LBB23_18
; %bb.15:
	s_add_i32 s3, s23, -1
	s_and_b32 s4, s3, -2
	s_add_i32 s6, 0, 8
	s_mov_b32 s5, 2
	s_waitcnt lgkmcnt(0)
	v_mov_b32_e32 v4, v1
.LBB23_16:                              ; =>This Inner Loop Header: Depth=1
	v_mov_b32_e32 v2, v1
	v_mov_b32_e32 v1, s6
	;; [unrolled: 1-line block ×3, first 2 shown]
	ds_read2_b32 v[4:5], v1 offset1:2
	s_cmp_lg_u32 s4, s5
	s_cselect_b64 s[8:9], -1, 0
	v_max_f32_e32 v1, v3, v3
	v_max_f32_e32 v6, v2, v2
	s_waitcnt lgkmcnt(0)
	v_cmp_u_f32_e32 vcc, v5, v5
	v_max_f32_e32 v7, v5, v5
	v_max_f32_e32 v8, v4, v4
	v_cndmask_b32_e64 v5, 0, 1, vcc
	v_cmp_u_f32_e32 vcc, v4, v4
	v_readfirstlane_b32 s0, v5
	s_lshl_b32 s0, s0, 1
	v_cndmask_b32_e64 v9, 0, 1, vcc
	v_max_f32_e32 v4, v1, v7
	v_readfirstlane_b32 s1, v9
	s_or_b32 s0, s1, s0
	s_and_b32 s7, s0, 3
	s_cmp_lg_u32 s7, 0
	s_cselect_b64 s[0:1], -1, 0
	s_cmp_eq_u32 s7, 0
	s_cselect_b64 s[10:11], -1, 0
	s_and_b64 s[8:9], s[10:11], s[8:9]
	v_max_f32_e32 v1, v6, v8
	s_add_i32 s5, s5, 2
	s_add_i32 s6, s6, 16
	s_and_b64 vcc, exec, s[8:9]
	s_cbranch_vccnz .LBB23_16
; %bb.17:
	s_add_i32 s5, s5, -4
	s_and_b64 s[6:7], s[0:1], exec
	s_cselect_b32 s5, s5, s3
	s_or_b32 s5, s5, 1
	v_cndmask_b32_e64 v1, v1, v2, s[0:1]
	v_cndmask_b32_e64 v2, v4, v3, s[0:1]
	s_cmp_lg_u32 s3, s4
	v_max_f32_e32 v2, v2, v2
	v_max_f32_e32 v1, v1, v1
	s_cselect_b64 s[6:7], -1, 0
	v_max_f32_e32 v1, v1, v2
	s_or_b64 s[0:1], s[6:7], s[0:1]
	s_and_b64 vcc, exec, s[0:1]
	s_cbranch_vccnz .LBB23_19
	s_branch .LBB23_21
.LBB23_18:
	s_mov_b32 s5, 1
	s_cbranch_execz .LBB23_21
.LBB23_19:
	s_lshl_b32 s1, s5, 3
	s_sub_i32 s0, s23, s5
	s_add_i32 s1, s1, 0
.LBB23_20:                              ; =>This Inner Loop Header: Depth=1
	v_mov_b32_e32 v2, s1
	ds_read_b32 v2, v2
	s_waitcnt lgkmcnt(1)
	v_max_f32_e32 v1, v1, v1
	s_add_i32 s0, s0, -1
	s_add_i32 s1, s1, 8
	s_cmp_eq_u32 s0, 0
	s_waitcnt lgkmcnt(0)
	v_max_f32_e32 v2, v2, v2
	v_max_f32_e32 v1, v1, v2
	s_cbranch_scc0 .LBB23_20
.LBB23_21:
	s_cmp_lt_i32 s23, 1
	s_cbranch_scc1 .LBB23_26
; %bb.22:
	s_mul_i32 s18, s2, 0x70
	s_ashr_i32 s19, s18, 31
	s_cmp_lt_u32 s23, 8
	s_cbranch_scc1 .LBB23_27
; %bb.23:
	s_lshl_b64 s[0:1], s[18:19], 2
	s_add_u32 s20, s16, s0
	v_mov_b32_e32 v7, 0
	s_addc_u32 s21, s17, s1
	s_and_b32 s24, s23, 0x7ffffff8
	v_add_u32_e32 v4, 0x1c0, v0
	s_mov_b32 s25, 0
	s_mov_b32 s26, 0x3fb8aa3b
	s_mov_b32 s27, 0xc2ce8ed0
	s_mov_b32 s28, 0x42b17218
	v_mov_b32_e32 v8, 0x7f800000
	s_mov_b32 s29, 0
	v_mov_b32_e32 v2, v7
	v_mov_b32_e32 v3, v7
.LBB23_24:                              ; =>This Inner Loop Header: Depth=1
	v_add_u32_e32 v6, 0xfffffe40, v4
	v_mov_b32_e32 v9, s25
	v_lshl_add_u64 v[26:27], v[6:7], 2, s[20:21]
	v_add_u32_e32 v6, 0xfffffeb0, v4
	ds_read2_b64 v[10:13], v9 offset1:1
	ds_read2_b64 v[14:17], v9 offset0:2 offset1:3
	ds_read2_b64 v[18:21], v9 offset0:4 offset1:5
	;; [unrolled: 1-line block ×3, first 2 shown]
	v_lshl_add_u64 v[30:31], v[6:7], 2, s[20:21]
	v_add_u32_e32 v6, 0xffffff20, v4
	global_load_dword v33, v[26:27], off
	global_load_dword v35, v[30:31], off
	v_lshl_add_u64 v[26:27], v[6:7], 2, s[20:21]
	v_add_u32_e32 v6, 0xffffff90, v4
	v_mov_b32_e32 v5, v7
	v_lshl_add_u64 v[30:31], v[6:7], 2, s[20:21]
	v_add_u32_e32 v6, 0x70, v4
	v_lshl_add_u64 v[28:29], v[4:5], 2, s[20:21]
	global_load_dword v37, v[26:27], off
	global_load_dword v39, v[30:31], off
	;; [unrolled: 1-line block ×3, first 2 shown]
	v_lshl_add_u64 v[26:27], v[6:7], 2, s[20:21]
	v_add_u32_e32 v6, 0xe0, v4
	s_waitcnt lgkmcnt(3)
	v_mov_b32_e32 v32, v11
	v_sub_f32_e32 v9, v12, v1
	v_mov_b32_e32 v34, v13
	global_load_dword v11, v[26:27], off
	v_lshl_add_u64 v[12:13], v[6:7], 2, s[20:21]
	v_add_u32_e32 v6, 0x150, v4
	s_waitcnt lgkmcnt(2)
	v_mov_b32_e32 v36, v15
	global_load_dword v15, v[12:13], off
	v_lshl_add_u64 v[12:13], v[6:7], 2, s[20:21]
	v_mov_b32_e32 v38, v17
	global_load_dword v17, v[12:13], off
	v_sub_f32_e32 v5, v10, v1
	s_waitcnt lgkmcnt(1)
	v_mov_b32_e32 v40, v19
	v_sub_f32_e32 v19, v20, v1
	s_waitcnt lgkmcnt(0)
	v_sub_f32_e32 v20, v22, v1
	v_mul_f32_e32 v22, 0x3fb8aa3b, v5
	v_sub_f32_e32 v28, v14, v1
	v_sub_f32_e32 v29, v16, v1
	v_mov_b32_e32 v14, v23
	v_mul_f32_e32 v23, 0x3fb8aa3b, v9
	v_fma_f32 v6, v5, s26, -v22
	v_rndne_f32_e32 v42, v22
	v_sub_f32_e32 v18, v18, v1
	v_mov_b32_e32 v10, v21
	v_sub_f32_e32 v21, v24, v1
	v_mov_b32_e32 v16, v25
	v_mul_f32_e32 v24, 0x3fb8aa3b, v28
	v_mul_f32_e32 v25, 0x3fb8aa3b, v29
	v_fma_f32 v43, v9, s26, -v23
	v_rndne_f32_e32 v44, v23
	v_fmac_f32_e32 v6, 0x32a5705f, v5
	v_sub_f32_e32 v12, v22, v42
	v_mul_f32_e32 v26, 0x3fb8aa3b, v18
	v_mul_f32_e32 v27, 0x3fb8aa3b, v19
	;; [unrolled: 1-line block ×3, first 2 shown]
	v_fma_f32 v45, v28, s26, -v24
	v_rndne_f32_e32 v46, v24
	v_fma_f32 v47, v29, s26, -v25
	v_rndne_f32_e32 v48, v25
	v_fmac_f32_e32 v43, 0x32a5705f, v9
	v_sub_f32_e32 v22, v23, v44
	v_add_f32_e32 v6, v12, v6
	v_fma_f32 v49, v18, s26, -v26
	v_rndne_f32_e32 v50, v26
	v_fma_f32 v51, v19, s26, -v27
	v_rndne_f32_e32 v52, v27
	;; [unrolled: 2-line block ×3, first 2 shown]
	v_cvt_i32_f32_e32 v13, v42
	v_fmac_f32_e32 v45, 0x32a5705f, v28
	v_sub_f32_e32 v24, v24, v46
	v_fmac_f32_e32 v47, 0x32a5705f, v29
	v_sub_f32_e32 v25, v25, v48
	v_add_f32_e32 v12, v22, v43
	v_exp_f32_e32 v6, v6
	v_cvt_i32_f32_e32 v23, v44
	v_fmac_f32_e32 v49, 0x32a5705f, v18
	v_sub_f32_e32 v26, v26, v50
	v_fmac_f32_e32 v51, 0x32a5705f, v19
	v_sub_f32_e32 v27, v27, v52
	;; [unrolled: 2-line block ×3, first 2 shown]
	v_add_f32_e32 v22, v24, v45
	v_add_f32_e32 v24, v25, v47
	v_exp_f32_e32 v12, v12
	v_mul_f32_e32 v31, 0x3fb8aa3b, v21
	v_cvt_i32_f32_e32 v42, v46
	v_cvt_i32_f32_e32 v44, v48
	v_add_f32_e32 v25, v26, v49
	v_add_f32_e32 v26, v27, v51
	;; [unrolled: 1-line block ×3, first 2 shown]
	v_exp_f32_e32 v22, v22
	v_exp_f32_e32 v24, v24
	v_fma_f32 v55, v21, s26, -v31
	v_rndne_f32_e32 v56, v31
	v_cvt_i32_f32_e32 v46, v50
	v_cvt_i32_f32_e32 v48, v52
	v_cvt_i32_f32_e32 v50, v54
	v_exp_f32_e32 v25, v25
	v_exp_f32_e32 v26, v26
	;; [unrolled: 1-line block ×3, first 2 shown]
	v_fmac_f32_e32 v55, 0x32a5705f, v21
	v_sub_f32_e32 v31, v31, v56
	v_ldexp_f32 v6, v6, v13
	v_cmp_ngt_f32_e64 s[12:13], s27, v5
	v_add_f32_e32 v30, v31, v55
	v_ldexp_f32 v12, v12, v23
	v_cmp_ngt_f32_e32 vcc, s27, v9
	v_cndmask_b32_e64 v6, 0, v6, s[12:13]
	v_cmp_nlt_f32_e64 s[12:13], s28, v5
	v_cvt_i32_f32_e32 v52, v56
	v_exp_f32_e32 v30, v30
	v_ldexp_f32 v13, v22, v42
	v_cmp_ngt_f32_e64 s[0:1], s27, v28
	v_ldexp_f32 v22, v24, v44
	v_cmp_ngt_f32_e64 s[2:3], s27, v29
	v_cndmask_b32_e32 v12, 0, v12, vcc
	v_cmp_nlt_f32_e32 vcc, s28, v9
	v_cndmask_b32_e64 v6, v8, v6, s[12:13]
	v_ldexp_f32 v23, v25, v46
	v_cmp_ngt_f32_e64 s[4:5], s27, v18
	v_ldexp_f32 v24, v26, v48
	v_cmp_ngt_f32_e64 s[6:7], s27, v19
	;; [unrolled: 2-line block ×3, first 2 shown]
	v_cndmask_b32_e64 v9, 0, v13, s[0:1]
	v_cmp_nlt_f32_e64 s[0:1], s28, v28
	v_cndmask_b32_e64 v13, 0, v22, s[2:3]
	v_cndmask_b32_e32 v12, v8, v12, vcc
	s_waitcnt vmcnt(7)
	v_pk_fma_f32 v[2:3], v[6:7], v[32:33], v[2:3] op_sel_hi:[0,1,1]
	v_cmp_nlt_f32_e64 s[2:3], s28, v29
	v_cndmask_b32_e64 v22, 0, v23, s[4:5]
	v_cmp_nlt_f32_e64 s[4:5], s28, v18
	v_cndmask_b32_e64 v23, 0, v24, s[6:7]
	;; [unrolled: 2-line block ×3, first 2 shown]
	v_cndmask_b32_e64 v18, v8, v9, s[0:1]
	s_waitcnt vmcnt(6)
	v_pk_fma_f32 v[2:3], v[12:13], v[34:35], v[2:3] op_sel_hi:[0,1,1]
	v_cmp_nlt_f32_e64 s[8:9], s28, v20
	v_cndmask_b32_e64 v20, v8, v13, s[2:3]
	s_waitcnt vmcnt(5)
	v_pk_fma_f32 v[2:3], v[18:19], v[36:37], v[2:3] op_sel_hi:[0,1,1]
	v_ldexp_f32 v26, v30, v52
	v_cmp_ngt_f32_e64 s[10:11], s27, v21
	v_cndmask_b32_e64 v22, v8, v22, s[4:5]
	s_waitcnt vmcnt(4)
	v_pk_fma_f32 v[2:3], v[20:21], v[38:39], v[2:3] op_sel_hi:[0,1,1]
	v_cndmask_b32_e64 v25, 0, v26, s[10:11]
	v_cndmask_b32_e64 v24, v8, v23, s[6:7]
	s_waitcnt vmcnt(3)
	v_pk_fma_f32 v[2:3], v[22:23], v[40:41], v[2:3] op_sel_hi:[0,1,1]
	v_cmp_nlt_f32_e64 s[10:11], s28, v21
	v_cndmask_b32_e64 v26, v8, v19, s[8:9]
	s_waitcnt vmcnt(2)
	v_pk_fma_f32 v[2:3], v[24:25], v[10:11], v[2:3] op_sel_hi:[0,1,1]
	s_add_i32 s29, s29, 8
	s_add_i32 s25, s25, 64
	v_cndmask_b32_e64 v28, v8, v25, s[10:11]
	s_waitcnt vmcnt(1)
	v_pk_fma_f32 v[2:3], v[26:27], v[14:15], v[2:3] op_sel_hi:[0,1,1]
	s_cmp_eq_u32 s24, s29
	v_add_u32_e32 v4, 0x380, v4
	s_waitcnt vmcnt(0)
	v_pk_fma_f32 v[2:3], v[28:29], v[16:17], v[2:3] op_sel_hi:[0,1,1]
	s_cbranch_scc0 .LBB23_24
; %bb.25:
	s_and_b32 s2, s23, 7
	s_cmp_eq_u32 s2, 0
	s_cbranch_scc0 .LBB23_28
	s_branch .LBB23_30
.LBB23_26:
	s_waitcnt lgkmcnt(0)
	v_mov_b32_e32 v1, 0x7fc00000
	s_branch .LBB23_31
.LBB23_27:
	v_mov_b32_e32 v2, 0
	s_mov_b32 s24, 0
	v_mov_b32_e32 v3, v2
	s_and_b32 s2, s23, 7
	s_cmp_eq_u32 s2, 0
	s_cbranch_scc1 .LBB23_30
.LBB23_28:
	s_lshl_b64 s[0:1], s[18:19], 2
	s_mul_i32 s3, s24, 0x70
	s_add_u32 s0, s16, s0
	v_add_u32_e32 v4, s3, v0
	v_mov_b32_e32 v5, 0
	s_addc_u32 s1, s17, s1
	v_lshl_add_u64 v[4:5], v[4:5], 2, s[0:1]
	s_lshl_b32 s0, s24, 3
	s_add_i32 s3, s0, 0
	s_mov_b32 s4, 0x3fb8aa3b
	s_mov_b32 s5, 0xc2ce8ed0
	;; [unrolled: 1-line block ×3, first 2 shown]
	v_mov_b32_e32 v6, 0x7f800000
	s_mov_b64 s[0:1], 0x1c0
.LBB23_29:                              ; =>This Inner Loop Header: Depth=1
	global_load_dword v9, v[4:5], off
	v_mov_b32_e32 v7, s3
	ds_read_b64 v[10:11], v7
	s_add_i32 s3, s3, 8
	s_add_i32 s2, s2, -1
	v_lshl_add_u64 v[4:5], v[4:5], 0, s[0:1]
	s_cmp_lg_u32 s2, 0
	s_waitcnt lgkmcnt(0)
	v_sub_f32_e32 v7, v10, v1
	v_mul_f32_e32 v8, 0x3fb8aa3b, v7
	v_fma_f32 v10, v7, s4, -v8
	v_rndne_f32_e32 v12, v8
	v_fmac_f32_e32 v10, 0x32a5705f, v7
	v_sub_f32_e32 v8, v8, v12
	v_add_f32_e32 v8, v8, v10
	v_cvt_i32_f32_e32 v12, v12
	v_exp_f32_e32 v10, v8
	v_cmp_ngt_f32_e32 vcc, s5, v7
	v_mov_b32_e32 v8, v11
	v_ldexp_f32 v10, v10, v12
	v_cndmask_b32_e32 v10, 0, v10, vcc
	v_cmp_nlt_f32_e32 vcc, s6, v7
	s_nop 1
	v_cndmask_b32_e32 v10, v6, v10, vcc
	s_waitcnt vmcnt(0)
	v_pk_fma_f32 v[2:3], v[10:11], v[8:9], v[2:3] op_sel_hi:[0,1,1]
	s_cbranch_scc1 .LBB23_29
.LBB23_30:
	s_waitcnt lgkmcnt(0)
	v_div_scale_f32 v1, s[0:1], v2, v2, v3
	v_rcp_f32_e32 v4, v1
	v_div_scale_f32 v5, vcc, v3, v2, v3
	v_fma_f32 v6, -v1, v4, 1.0
	v_fmac_f32_e32 v4, v6, v4
	v_mul_f32_e32 v6, v5, v4
	v_fma_f32 v7, -v1, v6, v5
	v_fmac_f32_e32 v6, v7, v4
	v_fma_f32 v1, -v1, v6, v5
	v_div_fmas_f32 v1, v1, v4, v6
	v_div_fixup_f32 v1, v1, v2, v3
.LBB23_31:
	s_mul_i32 s0, s22, 0x70
	s_ashr_i32 s1, s0, 31
	s_lshl_b64 s[0:1], s[0:1], 2
	s_add_u32 s0, s14, s0
	s_addc_u32 s1, s15, s1
	v_lshlrev_b32_e32 v0, 2, v0
	global_store_dword v0, v1, s[0:1]
	s_endpgm
	.section	.rodata,"a",@progbits
	.p2align	6, 0x0
	.amdhsa_kernel _ZL26flash_attn_combine_resultsILi112EEvPKfPK15HIP_vector_typeIfLj2EEPfi
		.amdhsa_group_segment_fixed_size 0
		.amdhsa_private_segment_fixed_size 0
		.amdhsa_kernarg_size 288
		.amdhsa_user_sgpr_count 2
		.amdhsa_user_sgpr_dispatch_ptr 0
		.amdhsa_user_sgpr_queue_ptr 0
		.amdhsa_user_sgpr_kernarg_segment_ptr 1
		.amdhsa_user_sgpr_dispatch_id 0
		.amdhsa_user_sgpr_kernarg_preload_length 0
		.amdhsa_user_sgpr_kernarg_preload_offset 0
		.amdhsa_user_sgpr_private_segment_size 0
		.amdhsa_uses_dynamic_stack 0
		.amdhsa_enable_private_segment 0
		.amdhsa_system_sgpr_workgroup_id_x 1
		.amdhsa_system_sgpr_workgroup_id_y 1
		.amdhsa_system_sgpr_workgroup_id_z 1
		.amdhsa_system_sgpr_workgroup_info 0
		.amdhsa_system_vgpr_workitem_id 0
		.amdhsa_next_free_vgpr 57
		.amdhsa_next_free_sgpr 30
		.amdhsa_accum_offset 60
		.amdhsa_reserve_vcc 1
		.amdhsa_float_round_mode_32 0
		.amdhsa_float_round_mode_16_64 0
		.amdhsa_float_denorm_mode_32 3
		.amdhsa_float_denorm_mode_16_64 3
		.amdhsa_dx10_clamp 1
		.amdhsa_ieee_mode 1
		.amdhsa_fp16_overflow 0
		.amdhsa_tg_split 0
		.amdhsa_exception_fp_ieee_invalid_op 0
		.amdhsa_exception_fp_denorm_src 0
		.amdhsa_exception_fp_ieee_div_zero 0
		.amdhsa_exception_fp_ieee_overflow 0
		.amdhsa_exception_fp_ieee_underflow 0
		.amdhsa_exception_fp_ieee_inexact 0
		.amdhsa_exception_int_div_zero 0
	.end_amdhsa_kernel
	.section	.text._ZL26flash_attn_combine_resultsILi112EEvPKfPK15HIP_vector_typeIfLj2EEPfi,"axG",@progbits,_ZL26flash_attn_combine_resultsILi112EEvPKfPK15HIP_vector_typeIfLj2EEPfi,comdat
.Lfunc_end23:
	.size	_ZL26flash_attn_combine_resultsILi112EEvPKfPK15HIP_vector_typeIfLj2EEPfi, .Lfunc_end23-_ZL26flash_attn_combine_resultsILi112EEvPKfPK15HIP_vector_typeIfLj2EEPfi
                                        ; -- End function
	.set _ZL26flash_attn_combine_resultsILi112EEvPKfPK15HIP_vector_typeIfLj2EEPfi.num_vgpr, 57
	.set _ZL26flash_attn_combine_resultsILi112EEvPKfPK15HIP_vector_typeIfLj2EEPfi.num_agpr, 0
	.set _ZL26flash_attn_combine_resultsILi112EEvPKfPK15HIP_vector_typeIfLj2EEPfi.numbered_sgpr, 30
	.set _ZL26flash_attn_combine_resultsILi112EEvPKfPK15HIP_vector_typeIfLj2EEPfi.num_named_barrier, 0
	.set _ZL26flash_attn_combine_resultsILi112EEvPKfPK15HIP_vector_typeIfLj2EEPfi.private_seg_size, 0
	.set _ZL26flash_attn_combine_resultsILi112EEvPKfPK15HIP_vector_typeIfLj2EEPfi.uses_vcc, 1
	.set _ZL26flash_attn_combine_resultsILi112EEvPKfPK15HIP_vector_typeIfLj2EEPfi.uses_flat_scratch, 0
	.set _ZL26flash_attn_combine_resultsILi112EEvPKfPK15HIP_vector_typeIfLj2EEPfi.has_dyn_sized_stack, 0
	.set _ZL26flash_attn_combine_resultsILi112EEvPKfPK15HIP_vector_typeIfLj2EEPfi.has_recursion, 0
	.set _ZL26flash_attn_combine_resultsILi112EEvPKfPK15HIP_vector_typeIfLj2EEPfi.has_indirect_call, 0
	.section	.AMDGPU.csdata,"",@progbits
; Kernel info:
; codeLenInByte = 3040
; TotalNumSgprs: 36
; NumVgprs: 57
; NumAgprs: 0
; TotalNumVgprs: 57
; ScratchSize: 0
; MemoryBound: 0
; FloatMode: 240
; IeeeMode: 1
; LDSByteSize: 0 bytes/workgroup (compile time only)
; SGPRBlocks: 4
; VGPRBlocks: 7
; NumSGPRsForWavesPerEU: 36
; NumVGPRsForWavesPerEU: 57
; AccumOffset: 60
; Occupancy: 8
; WaveLimiterHint : 0
; COMPUTE_PGM_RSRC2:SCRATCH_EN: 0
; COMPUTE_PGM_RSRC2:USER_SGPR: 2
; COMPUTE_PGM_RSRC2:TRAP_HANDLER: 0
; COMPUTE_PGM_RSRC2:TGID_X_EN: 1
; COMPUTE_PGM_RSRC2:TGID_Y_EN: 1
; COMPUTE_PGM_RSRC2:TGID_Z_EN: 1
; COMPUTE_PGM_RSRC2:TIDIG_COMP_CNT: 0
; COMPUTE_PGM_RSRC3_GFX90A:ACCUM_OFFSET: 14
; COMPUTE_PGM_RSRC3_GFX90A:TG_SPLIT: 0
	.section	.text._ZL18flash_attn_ext_f16ILi128ELi128ELi4ELi8ELb0ELb0EEvPKcS1_S1_S1_S1_PKiPfP15HIP_vector_typeIfLj2EEffffjfiS5_IjLj3EEiiiiiiiiiiiliiliiiiil,"axG",@progbits,_ZL18flash_attn_ext_f16ILi128ELi128ELi4ELi8ELb0ELb0EEvPKcS1_S1_S1_S1_PKiPfP15HIP_vector_typeIfLj2EEffffjfiS5_IjLj3EEiiiiiiiiiiiliiliiiiil,comdat
	.globl	_ZL18flash_attn_ext_f16ILi128ELi128ELi4ELi8ELb0ELb0EEvPKcS1_S1_S1_S1_PKiPfP15HIP_vector_typeIfLj2EEffffjfiS5_IjLj3EEiiiiiiiiiiiliiliiiiil ; -- Begin function _ZL18flash_attn_ext_f16ILi128ELi128ELi4ELi8ELb0ELb0EEvPKcS1_S1_S1_S1_PKiPfP15HIP_vector_typeIfLj2EEffffjfiS5_IjLj3EEiiiiiiiiiiiliiliiiiil
	.p2align	8
	.type	_ZL18flash_attn_ext_f16ILi128ELi128ELi4ELi8ELb0ELb0EEvPKcS1_S1_S1_S1_PKiPfP15HIP_vector_typeIfLj2EEffffjfiS5_IjLj3EEiiiiiiiiiiiliiliiiiil,@function
_ZL18flash_attn_ext_f16ILi128ELi128ELi4ELi8ELb0ELb0EEvPKcS1_S1_S1_S1_PKiPfP15HIP_vector_typeIfLj2EEffffjfiS5_IjLj3EEiiiiiiiiiiiliiliiiiil: ; @_ZL18flash_attn_ext_f16ILi128ELi128ELi4ELi8ELb0ELb0EEvPKcS1_S1_S1_S1_PKiPfP15HIP_vector_typeIfLj2EEffffjfiS5_IjLj3EEiiiiiiiiiiiliiliiiiil
; %bb.0:
	s_load_dwordx2 s[4:5], s[0:1], 0x80
	s_load_dwordx4 s[36:39], s[0:1], 0x64
	s_mov_b32 s33, s2
	s_load_dword s35, s[0:1], 0xd0
                                        ; implicit-def: $vgpr228 : SGPR spill to VGPR lane
	s_mov_b32 s6, 0
	s_waitcnt lgkmcnt(0)
	s_abs_i32 s2, s5
	v_cvt_f32_u32_e32 v1, s2
	s_sub_i32 s8, 0, s2
	s_abs_i32 s7, s37
	s_xor_b32 s3, s37, s5
	v_rcp_iflag_f32_e32 v1, v1
	s_ashr_i32 s3, s3, 31
	v_mul_f32_e32 v1, 0x4f7ffffe, v1
	v_cvt_u32_f32_e32 v1, v1
	s_nop 0
	v_readfirstlane_b32 s9, v1
	s_mul_i32 s8, s8, s9
	s_mul_hi_u32 s8, s9, s8
	s_add_i32 s9, s9, s8
	s_mul_hi_u32 s8, s7, s9
	s_mul_i32 s9, s8, s2
	s_sub_i32 s7, s7, s9
	s_add_i32 s10, s8, 1
	s_sub_i32 s9, s7, s2
	s_cmp_ge_u32 s7, s2
	s_cselect_b32 s8, s10, s8
	s_cselect_b32 s7, s9, s7
	s_add_i32 s9, s8, 1
	s_cmp_ge_u32 s7, s2
	s_cselect_b32 s2, s9, s8
	s_add_i32 s4, s4, 63
	s_xor_b32 s2, s2, s3
	s_ashr_i32 s7, s4, 31
	s_sub_i32 s3, s2, s3
	s_lshr_b32 s2, s7, 26
	s_add_i32 s4, s4, s2
	s_add_i32 s2, s36, 3
	s_lshr_b32 s7, s2, 2
	s_add_i32 s2, s3, 7
	s_ashr_i32 s92, s4, 6
	s_ashr_i32 s4, s2, 31
	s_lshr_b32 s4, s4, 29
	s_add_i32 s2, s2, s4
	s_ashr_i32 s2, s2, 3
	s_mul_i32 s89, s7, s92
	s_mul_i32 s90, s89, s2
	;; [unrolled: 1-line block ×4, first 2 shown]
	s_ashr_i32 s10, s2, 31
	s_mul_i32 s4, s10, s33
	s_mul_hi_u32 s5, s2, s33
	v_writelane_b32 v228, s7, 0
	s_add_i32 s7, s5, s4
	s_cmp_lg_u64 s[6:7], 0
	s_mul_i32 s6, s2, s33
	s_cbranch_scc0 .LBB24_315
; %bb.1:
	s_add_u32 s4, s35, 0
	s_addc_u32 s5, 0, 0
	s_xor_b64 s[8:9], s[4:5], 0
	v_cvt_f32_u32_e32 v1, s8
	v_cvt_f32_u32_e32 v2, s9
	s_sub_u32 s11, 0, s8
	s_subb_u32 s14, 0, s9
	v_fmamk_f32 v1, v2, 0x4f800000, v1
	v_rcp_f32_e32 v1, v1
	s_nop 0
	v_mul_f32_e32 v1, 0x5f7ffffc, v1
	v_mul_f32_e32 v2, 0x2f800000, v1
	v_trunc_f32_e32 v2, v2
	v_fmamk_f32 v1, v2, 0xcf800000, v1
	v_cvt_u32_f32_e32 v2, v2
	v_cvt_u32_f32_e32 v1, v1
	v_readfirstlane_b32 s15, v2
	v_readfirstlane_b32 s12, v1
	s_mul_i32 s13, s11, s15
	s_mul_hi_u32 s17, s11, s12
	s_mul_i32 s16, s14, s12
	s_add_i32 s13, s17, s13
	s_add_i32 s13, s13, s16
	s_mul_i32 s18, s11, s12
	s_mul_i32 s17, s12, s13
	s_mul_hi_u32 s19, s12, s18
	s_mul_hi_u32 s16, s12, s13
	s_add_u32 s17, s19, s17
	s_addc_u32 s16, 0, s16
	s_mul_hi_u32 s20, s15, s18
	s_mul_i32 s18, s15, s18
	s_add_u32 s17, s17, s18
	s_mul_hi_u32 s19, s15, s13
	s_addc_u32 s16, s16, s20
	s_addc_u32 s17, s19, 0
	s_mul_i32 s13, s15, s13
	s_add_u32 s13, s16, s13
	s_addc_u32 s16, 0, s17
	s_add_u32 s17, s12, s13
	s_cselect_b64 s[12:13], -1, 0
	s_cmp_lg_u64 s[12:13], 0
	s_addc_u32 s15, s15, s16
	s_mul_i32 s12, s11, s15
	s_mul_hi_u32 s13, s11, s17
	s_add_i32 s12, s13, s12
	s_mul_i32 s14, s14, s17
	s_add_i32 s12, s12, s14
	s_mul_i32 s11, s11, s17
	s_mul_hi_u32 s14, s15, s11
	s_mul_i32 s16, s15, s11
	s_mul_i32 s19, s17, s12
	s_mul_hi_u32 s11, s17, s11
	s_mul_hi_u32 s18, s17, s12
	s_add_u32 s11, s11, s19
	s_addc_u32 s18, 0, s18
	s_add_u32 s11, s11, s16
	s_mul_hi_u32 s13, s15, s12
	s_addc_u32 s11, s18, s14
	s_addc_u32 s13, s13, 0
	s_mul_i32 s12, s15, s12
	s_add_u32 s11, s11, s12
	s_addc_u32 s14, 0, s13
	s_add_u32 s11, s17, s11
	s_cselect_b64 s[12:13], -1, 0
	s_cmp_lg_u64 s[12:13], 0
	s_addc_u32 s16, s15, s14
	s_ashr_i32 s12, s7, 31
	s_add_u32 s14, s6, s12
	s_mov_b32 s13, s12
	s_addc_u32 s15, s7, s12
	s_xor_b64 s[14:15], s[14:15], s[12:13]
	s_mul_i32 s17, s14, s16
	s_mul_hi_u32 s18, s14, s11
	s_mul_hi_u32 s7, s14, s16
	s_add_u32 s17, s18, s17
	s_addc_u32 s7, 0, s7
	s_mul_hi_u32 s19, s15, s11
	s_mul_i32 s11, s15, s11
	s_add_u32 s11, s17, s11
	s_mul_hi_u32 s18, s15, s16
	s_addc_u32 s7, s7, s19
	s_addc_u32 s11, s18, 0
	s_mul_i32 s16, s15, s16
	s_add_u32 s7, s7, s16
	s_addc_u32 s11, 0, s11
	s_mul_i32 s16, s8, s11
	s_mul_hi_u32 s17, s8, s7
	s_add_i32 s16, s17, s16
	s_mul_i32 s17, s9, s7
	s_add_i32 s20, s16, s17
	s_sub_i32 s18, s15, s20
	s_mul_i32 s16, s8, s7
	s_sub_u32 s14, s14, s16
	s_cselect_b64 s[16:17], -1, 0
	s_cmp_lg_u64 s[16:17], 0
	s_subb_u32 s21, s18, s9
	s_sub_u32 s22, s14, s8
	s_cselect_b64 s[18:19], -1, 0
	s_cmp_lg_u64 s[18:19], 0
	s_subb_u32 s18, s21, 0
	s_cmp_ge_u32 s18, s9
	s_cselect_b32 s19, -1, 0
	s_cmp_ge_u32 s22, s8
	s_cselect_b32 s21, -1, 0
	s_cmp_eq_u32 s18, s9
	s_cselect_b32 s18, s21, s19
	s_add_u32 s19, s7, 1
	s_addc_u32 s21, s11, 0
	s_add_u32 s22, s7, 2
	s_addc_u32 s23, s11, 0
	s_cmp_lg_u32 s18, 0
	s_cselect_b32 s18, s22, s19
	s_cselect_b32 s19, s23, s21
	s_cmp_lg_u64 s[16:17], 0
	s_subb_u32 s15, s15, s20
	s_cmp_ge_u32 s15, s9
	s_cselect_b32 s16, -1, 0
	s_cmp_ge_u32 s14, s8
	s_cselect_b32 s8, -1, 0
	s_cmp_eq_u32 s15, s9
	s_cselect_b32 s8, s8, s16
	s_cmp_lg_u32 s8, 0
	s_cselect_b32 s9, s19, s11
	s_cselect_b32 s8, s18, s7
	s_xor_b64 s[12:13], s[12:13], 0
	s_xor_b64 s[8:9], s[8:9], s[12:13]
	s_sub_u32 s56, s8, s12
	s_load_dwordx2 s[54:55], s[0:1], 0x74
	v_cvt_f32_u32_e32 v1, s35
	s_cbranch_execnz .LBB24_3
.LBB24_2:
	v_rcp_iflag_f32_e32 v2, v1
	s_sub_i32 s4, 0, s35
	v_mul_f32_e32 v2, 0x4f7ffffe, v2
	v_cvt_u32_f32_e32 v2, v2
	s_nop 0
	v_readfirstlane_b32 s5, v2
	s_mul_i32 s4, s4, s5
	s_mul_hi_u32 s4, s5, s4
	s_add_i32 s5, s5, s4
	s_mul_hi_u32 s4, s6, s5
	s_mul_i32 s7, s4, s35
	s_sub_i32 s6, s6, s7
	s_add_i32 s5, s4, 1
	s_sub_i32 s7, s6, s35
	s_cmp_ge_u32 s6, s35
	s_cselect_b32 s4, s5, s4
	s_cselect_b32 s6, s7, s6
	s_add_i32 s5, s4, 1
	s_cmp_ge_u32 s6, s35
	s_cselect_b32 s56, s5, s4
.LBB24_3:
	s_add_i32 s4, s33, 1
	s_mul_i32 s5, s10, s4
	s_mul_hi_u32 s6, s2, s4
	s_add_i32 s9, s6, s5
	s_mov_b32 s8, 0
	s_cmp_lg_u64 s[8:9], 0
	s_mul_i32 s2, s2, s4
	s_cbranch_scc0 .LBB24_316
; %bb.4:
	s_add_u32 s4, s35, 0
	s_addc_u32 s5, 0, 0
	s_xor_b64 s[6:7], s[4:5], 0
	v_cvt_f32_u32_e32 v2, s6
	v_cvt_f32_u32_e32 v3, s7
	s_sub_u32 s8, 0, s6
	s_subb_u32 s12, 0, s7
	v_fmamk_f32 v2, v3, 0x4f800000, v2
	v_rcp_f32_e32 v2, v2
	s_nop 0
	v_mul_f32_e32 v2, 0x5f7ffffc, v2
	v_mul_f32_e32 v3, 0x2f800000, v2
	v_trunc_f32_e32 v3, v3
	v_fmamk_f32 v2, v3, 0xcf800000, v2
	v_cvt_u32_f32_e32 v3, v3
	v_cvt_u32_f32_e32 v2, v2
	v_readfirstlane_b32 s13, v3
	v_readfirstlane_b32 s10, v2
	s_mul_i32 s11, s8, s13
	s_mul_hi_u32 s15, s8, s10
	s_mul_i32 s14, s12, s10
	s_add_i32 s11, s15, s11
	s_add_i32 s11, s11, s14
	s_mul_i32 s16, s8, s10
	s_mul_i32 s15, s10, s11
	s_mul_hi_u32 s17, s10, s16
	s_mul_hi_u32 s14, s10, s11
	s_add_u32 s15, s17, s15
	s_addc_u32 s14, 0, s14
	s_mul_hi_u32 s18, s13, s16
	s_mul_i32 s16, s13, s16
	s_add_u32 s15, s15, s16
	s_mul_hi_u32 s17, s13, s11
	s_addc_u32 s14, s14, s18
	s_addc_u32 s15, s17, 0
	s_mul_i32 s11, s13, s11
	s_add_u32 s11, s14, s11
	s_addc_u32 s14, 0, s15
	s_add_u32 s15, s10, s11
	s_cselect_b64 s[10:11], -1, 0
	s_cmp_lg_u64 s[10:11], 0
	s_addc_u32 s13, s13, s14
	s_mul_i32 s10, s8, s13
	s_mul_hi_u32 s11, s8, s15
	s_add_i32 s10, s11, s10
	s_mul_i32 s12, s12, s15
	s_add_i32 s10, s10, s12
	s_mul_i32 s8, s8, s15
	s_mul_hi_u32 s12, s13, s8
	s_mul_i32 s14, s13, s8
	s_mul_i32 s17, s15, s10
	s_mul_hi_u32 s8, s15, s8
	s_mul_hi_u32 s16, s15, s10
	s_add_u32 s8, s8, s17
	s_addc_u32 s16, 0, s16
	s_add_u32 s8, s8, s14
	s_mul_hi_u32 s11, s13, s10
	s_addc_u32 s8, s16, s12
	s_addc_u32 s11, s11, 0
	s_mul_i32 s10, s13, s10
	s_add_u32 s8, s8, s10
	s_addc_u32 s12, 0, s11
	s_add_u32 s14, s15, s8
	s_cselect_b64 s[10:11], -1, 0
	s_cmp_lg_u64 s[10:11], 0
	s_addc_u32 s12, s13, s12
	s_ashr_i32 s10, s9, 31
	s_add_u32 s8, s2, s10
	s_mov_b32 s11, s10
	s_addc_u32 s9, s9, s10
	s_xor_b64 s[8:9], s[8:9], s[10:11]
	s_mul_i32 s15, s8, s12
	s_mul_hi_u32 s16, s8, s14
	s_mul_hi_u32 s13, s8, s12
	s_add_u32 s15, s16, s15
	s_addc_u32 s13, 0, s13
	s_mul_hi_u32 s17, s9, s14
	s_mul_i32 s14, s9, s14
	s_add_u32 s14, s15, s14
	s_mul_hi_u32 s16, s9, s12
	s_addc_u32 s13, s13, s17
	s_addc_u32 s14, s16, 0
	s_mul_i32 s12, s9, s12
	s_add_u32 s16, s13, s12
	s_addc_u32 s17, 0, s14
	s_mul_i32 s12, s6, s17
	s_mul_hi_u32 s13, s6, s16
	s_add_i32 s12, s13, s12
	s_mul_i32 s13, s7, s16
	s_add_i32 s18, s12, s13
	s_sub_i32 s14, s9, s18
	s_mul_i32 s12, s6, s16
	s_sub_u32 s8, s8, s12
	s_cselect_b64 s[12:13], -1, 0
	s_cmp_lg_u64 s[12:13], 0
	s_subb_u32 s19, s14, s7
	s_sub_u32 s20, s8, s6
	s_cselect_b64 s[14:15], -1, 0
	s_cmp_lg_u64 s[14:15], 0
	s_subb_u32 s14, s19, 0
	s_cmp_ge_u32 s14, s7
	s_cselect_b32 s15, -1, 0
	s_cmp_ge_u32 s20, s6
	s_cselect_b32 s19, -1, 0
	s_cmp_eq_u32 s14, s7
	s_cselect_b32 s14, s19, s15
	s_add_u32 s15, s16, 1
	s_addc_u32 s19, s17, 0
	s_add_u32 s20, s16, 2
	s_addc_u32 s21, s17, 0
	s_cmp_lg_u32 s14, 0
	s_cselect_b32 s14, s20, s15
	s_cselect_b32 s15, s21, s19
	s_cmp_lg_u64 s[12:13], 0
	s_subb_u32 s9, s9, s18
	s_cmp_ge_u32 s9, s7
	s_cselect_b32 s12, -1, 0
	s_cmp_ge_u32 s8, s6
	s_cselect_b32 s6, -1, 0
	s_cmp_eq_u32 s9, s7
	s_cselect_b32 s6, s6, s12
	s_cmp_lg_u32 s6, 0
	s_cselect_b32 s7, s15, s17
	s_cselect_b32 s6, s14, s16
	s_xor_b64 s[8:9], s[10:11], 0
	s_xor_b64 s[6:7], s[6:7], s[8:9]
	s_sub_u32 s60, s6, s8
	s_load_dwordx2 s[44:45], s[0:1], 0x5c
	s_cbranch_execnz .LBB24_6
.LBB24_5:
	v_rcp_iflag_f32_e32 v1, v1
	s_sub_i32 s4, 0, s35
	v_mul_f32_e32 v1, 0x4f7ffffe, v1
	v_cvt_u32_f32_e32 v1, v1
	s_nop 0
	v_readfirstlane_b32 s5, v1
	s_mul_i32 s4, s4, s5
	s_mul_hi_u32 s4, s5, s4
	s_add_i32 s5, s5, s4
	s_mul_hi_u32 s4, s2, s5
	s_mul_i32 s6, s4, s35
	s_sub_i32 s2, s2, s6
	s_add_i32 s5, s4, 1
	s_sub_i32 s6, s2, s35
	s_cmp_ge_u32 s2, s35
	s_cselect_b32 s4, s5, s4
	s_cselect_b32 s2, s6, s2
	s_add_i32 s5, s4, 1
	s_cmp_ge_u32 s2, s35
	s_cselect_b32 s60, s5, s4
.LBB24_6:
	s_abs_i32 s93, s92
	v_cvt_f32_u32_e32 v1, s93
	s_load_dwordx16 s[16:31], s[0:1], 0x0
	s_load_dword s2, s[0:1], 0x40
	s_load_dwordx2 s[4:5], s[0:1], 0x8c
	s_load_dwordx4 s[40:43], s[0:1], 0x98
	s_load_dwordx2 s[48:49], s[0:1], 0xa8
	s_load_dwordx2 s[14:15], s[0:1], 0xb8
	;; [unrolled: 1-line block ×3, first 2 shown]
	s_waitcnt lgkmcnt(0)
	s_mov_b32 s1, s5
	s_ashr_i32 s38, s4, 2
	v_rcp_iflag_f32_e32 v1, v1
	s_sub_i32 s4, 0, s93
	v_writelane_b32 v228, s0, 1
	s_ashr_i32 s57, s39, 3
	v_mul_f32_e32 v1, 0x4f7ffffe, v1
	v_cvt_u32_f32_e32 v1, v1
	v_writelane_b32 v228, s1, 2
	s_ashr_i32 s1, s92, 31
	v_writelane_b32 v228, s1, 3
	v_readfirstlane_b32 s52, v1
	s_mul_i32 s4, s4, s52
	s_mul_hi_u32 s4, s52, s4
	s_abs_i32 s1, s56
	s_add_i32 s52, s52, s4
	s_mul_hi_u32 s4, s1, s52
	s_mul_i32 s4, s4, s93
	s_sub_i32 s1, s1, s4
	s_ashr_i32 s53, s54, 3
	s_ashr_i32 s64, s15, 1
	;; [unrolled: 1-line block ×4, first 2 shown]
	s_sub_i32 s4, s1, s93
	s_cmp_ge_u32 s1, s93
	s_cselect_b32 s1, s4, s1
	s_sub_i32 s4, s1, s93
	s_cmp_ge_u32 s1, s93
	s_cselect_b32 s1, s4, s1
	s_xor_b32 s1, s1, s0
	s_sub_i32 s84, s1, s0
	s_sub_i32 s0, s60, s56
	s_add_i32 s4, s0, s84
	s_min_i32 s67, s92, s4
	s_cmp_gt_i32 s60, s56
	s_cselect_b64 s[10:11], -1, 0
	s_cmp_le_i32 s60, s56
	s_cselect_b64 s[0:1], -1, 0
	s_cmp_gt_i32 s92, s4
	v_cvt_f16_f32_e32 v91, s2
	s_cselect_b64 s[4:5], -1, 0
	s_or_b64 s[0:1], s[4:5], s[0:1]
	v_bfe_u32 v47, v0, 10, 10
	s_mov_b32 s63, 0
	s_and_b64 vcc, exec, s[0:1]
	v_bfe_u32 v79, v0, 10, 3
	v_lshlrev_b32_e32 v73, 3, v47
	v_lshlrev_b32_e32 v49, 4, v47
	v_lshrrev_b32_e32 v93, 10, v0
	v_add_u32_e32 v89, 4, v47
	v_add_u32_e32 v87, 8, v47
	;; [unrolled: 1-line block ×7, first 2 shown]
	v_mbcnt_lo_u32_b32 v75, -1, 0
	s_cbranch_vccz .LBB24_9
; %bb.7:
	s_andn2_b64 vcc, exec, s[10:11]
	s_cbranch_vccz .LBB24_276
.LBB24_8:
	s_endpgm
.LBB24_9:
	v_and_b32_e32 v2, 0x7f0, v73
	s_movk_i32 s10, 0x110
	v_and_b32_e32 v4, 15, v0
	v_lshrrev_b32_e32 v6, 1, v0
	v_and_b32_e32 v46, 0x3ff, v0
	v_mad_u32_u24 v3, v2, s10, 0
	v_mul_u32_u24_e32 v5, 0x110, v4
	v_and_b32_e32 v6, 0x78, v6
	s_cmp_eq_u64 s[24:25], 0
	v_add3_u32 v95, v3, v5, v6
	v_bfe_u32 v3, v0, 5, 5
	v_lshlrev_b32_e32 v5, 1, v46
	v_writelane_b32 v228, s35, 4
	s_cselect_b64 s[0:1], -1, 0
	v_lshl_add_u32 v97, v47, 1, v3
	v_and_b32_e32 v48, 62, v5
	v_writelane_b32 v228, s0, 5
	s_cmp_lg_u64 s[26:27], 0
	v_mul_u32_u24_e32 v3, 0x90, v97
	v_lshlrev_b32_e32 v5, 1, v48
	v_writelane_b32 v228, s1, 6
	s_cselect_b64 s[0:1], -1, 0
	v_add3_u32 v99, 0, v3, v5
	v_bfe_u32 v5, v0, 2, 8
	v_writelane_b32 v228, s0, 7
	v_and_b32_e32 v3, 16, v49
	v_and_b32_e32 v7, 60, v5
	v_and_or_b32 v2, v0, 8, v2
	v_writelane_b32 v228, s1, 8
	s_movk_i32 s0, 0x90
	v_lshrrev_b32_e32 v2, 3, v2
	v_add_u16_e32 v9, v7, v3
	v_add_u32_e32 v8, v7, v3
	v_mad_u32_u24 v2, v2, s0, 0
	v_lshrrev_b16_e32 v9, 1, v9
	v_lshl_add_u32 v111, v9, 2, v2
	v_lshl_add_u32 v2, v8, 1, v2
	v_and_b32_e32 v8, 8, v73
	v_or_b32_e32 v5, 3, v5
	s_movk_i32 s0, 0x220
	v_mul_u32_u24_e32 v5, 0x110, v5
	v_mad_u32_u24 v8, v8, s0, 0
	v_lshlrev_b32_e32 v9, 1, v4
	v_add3_u32 v153, v8, v5, v9
	v_bfe_u32 v5, v0, 10, 1
	v_cmp_eq_u32_e64 s[0:1], 0, v5
	v_and_b32_e32 v5, 0x400, v0
	v_mul_u32_u24_e32 v7, 0x110, v7
	v_cmp_ne_u32_e64 s[12:13], 0, v5
	v_bfe_u32 v5, v93, 1, 9
	v_add3_u32 v152, v8, v7, v9
	v_add_u32_e32 v7, 2, v5
	v_lshlrev_b32_e32 v8, 1, v7
	v_and_b32_e32 v9, 15, v7
	s_movk_i32 s11, 0x1e0
	v_and_or_b32 v8, v8, s11, v9
	v_add_u32_e32 v9, 4, v5
	v_lshlrev_b32_e32 v10, 1, v9
	v_and_b32_e32 v11, 15, v9
	v_and_or_b32 v10, v10, s11, v11
	v_add_u32_e32 v11, 6, v5
	v_lshlrev_b32_e32 v12, 1, v11
	v_and_b32_e32 v13, 15, v11
	;; [unrolled: 4-line block ×10, first 2 shown]
	s_lshl_b32 s62, s33, 5
	v_and_or_b32 v28, v28, s11, v29
	v_add_u32_e32 v29, 26, v5
	s_ashr_i32 s65, s64, 31
	s_ashr_i32 s39, s38, 31
	s_lshl_b32 s2, s38, 4
	s_ashr_i32 s35, s34, 31
	s_lshl_b32 s6, s34, 4
	s_lshl_b64 s[4:5], s[62:63], 3
	v_lshlrev_b32_e32 v30, 1, v29
	v_and_b32_e32 v31, 15, v29
	s_add_u32 s8, s30, s4
	v_and_or_b32 v30, v30, s11, v31
	v_add_u32_e32 v31, 28, v5
	s_addc_u32 s9, s31, s5
	v_lshlrev_b32_e32 v32, 1, v31
	v_and_b32_e32 v33, 15, v31
	s_abs_i32 s59, s91
	v_and_or_b32 v32, v32, s11, v33
	v_cvt_f32_u32_e32 v33, s59
	v_add_u32_e32 v34, 30, v5
	v_lshlrev_b32_e32 v36, 1, v34
	v_and_b32_e32 v37, 15, v34
	v_rcp_iflag_f32_e32 v33, v33
	s_abs_i32 s95, s89
	v_and_or_b32 v36, v36, s11, v37
	v_cvt_f32_u32_e32 v37, s95
	v_mul_f32_e32 v33, 0x4f7ffffe, v33
	v_cvt_u32_f32_e32 v33, v33
	s_mov_b32 s4, s14
	s_abs_i32 s96, s14
	s_abs_i32 s94, s90
	v_readfirstlane_b32 s14, v33
	v_rcp_iflag_f32_e32 v33, v37
	v_writelane_b32 v228, s33, 9
	v_cvt_f32_u32_e32 v35, s94
	v_add_u32_e32 v157, 64, v2
	v_mul_f32_e32 v33, 0x4f7ffffe, v33
	v_cvt_u32_f32_e32 v33, v33
	v_add_u32_e32 v158, 0x44, v2
	v_add_u32_e32 v2, v49, v46
	v_mov_b32_e32 v51, 0
	v_readfirstlane_b32 s33, v33
	v_or_b32_e32 v33, v73, v46
	v_lshlrev_b32_e32 v50, 3, v33
	v_bfe_u32 v33, v0, 4, 6
	v_lshl_add_u32 v33, v47, 2, v33
	v_mul_u32_u24_e32 v159, 0x110, v2
	v_and_b32_e32 v2, 31, v0
	v_mul_lo_u32 v52, s38, v33
	v_lshl_add_u64 v[70:71], s[8:9], 0, v[50:51]
	v_lshlrev_b32_e32 v50, 2, v2
	v_add_u32_e32 v2, v49, v2
	v_rcp_iflag_f32_e32 v35, v35
	v_writelane_b32 v228, s4, 10
	v_add_u32_e32 v56, s2, v52
	v_mul_u32_u24_e32 v160, 0x110, v2
	v_or_b32_e32 v2, v49, v4
	v_writelane_b32 v228, s5, 11
	v_add_u32_e32 v58, s2, v56
	v_cmp_gt_u32_e64 s[8:9], 32, v46
	v_mul_u32_u24_e32 v161, 0x110, v2
	v_add_u32_e32 v2, 16, v5
	v_add_u32_e32 v60, s2, v58
	v_mul_u32_u24_e32 v156, 0x110, v3
	v_writelane_b32 v228, s8, 12
	s_movk_i32 s2, 0xe0
	v_bfe_u32 v3, v47, 1, 4
	v_lshlrev_b32_e32 v5, 1, v2
	v_writelane_b32 v228, s9, 13
	v_and_or_b32 v5, v5, s11, v3
	v_and_or_b32 v3, v93, s2, v3
	s_ashr_i32 s2, s91, 31
	v_mul_f32_e32 v35, 0x4f7ffffe, v35
	v_writelane_b32 v228, s2, 14
	s_sub_i32 s2, 0, s59
	v_cvt_u32_f32_e32 v35, v35
	v_cvt_f32_u32_e32 v38, s96
	s_mul_i32 s2, s2, s14
	s_mul_hi_u32 s2, s14, s2
	s_add_i32 s2, s14, s2
	v_writelane_b32 v228, s2, 15
	s_ashr_i32 s2, s90, 31
	v_readfirstlane_b32 s15, v35
	v_rcp_iflag_f32_e32 v35, v38
	v_writelane_b32 v228, s2, 16
	s_sub_i32 s2, 0, s94
	s_mul_i32 s2, s2, s15
	s_mul_hi_u32 s2, s15, s2
	s_add_i32 s2, s15, s2
	v_mul_f32_e32 v35, 0x4f7ffffe, v35
	v_writelane_b32 v228, s2, 17
	s_ashr_i32 s2, s89, 31
	v_cvt_u32_f32_e32 v35, v35
	v_writelane_b32 v228, s2, 18
	s_sub_i32 s2, 0, s95
	s_mul_i32 s2, s2, s33
	s_mul_hi_u32 s2, s33, s2
	s_add_i32 s2, s33, s2
	v_readfirstlane_b32 s46, v35
	v_writelane_b32 v228, s2, 19
	s_sub_i32 s2, 0, s96
	s_mul_i32 s2, s2, s46
	s_mul_hi_u32 s2, s46, s2
	v_mul_lo_u32 v62, s34, v33
	s_add_i32 s2, s46, s2
	v_add_u32_e32 v64, s6, v62
	v_writelane_b32 v228, s2, 20
	s_mov_b32 s2, s64
	v_add_u32_e32 v66, s6, v64
	v_writelane_b32 v228, s2, 21
	v_mul_u32_u24_e32 v35, 0x110, v33
	v_lshlrev_b32_e32 v54, 4, v4
	v_add_u32_e32 v68, s6, v66
	v_writelane_b32 v228, s3, 22
	s_lshl_b64 s[8:9], s[64:65], 1
	s_mov_b32 s42, 0x10001
	v_ashrrev_i32_e32 v53, 31, v52
	v_add3_u32 v154, 0, v35, v54
	v_ashrrev_i32_e32 v57, 31, v56
	v_ashrrev_i32_e32 v59, 31, v58
	;; [unrolled: 1-line block ×3, first 2 shown]
	v_add_u32_e32 v155, 0, v6
	v_ashrrev_i32_e32 v63, 31, v62
	v_ashrrev_i32_e32 v65, 31, v64
	v_ashrrev_i32_e32 v67, 31, v66
	v_ashrrev_i32_e32 v69, 31, v68
	v_writelane_b32 v228, s8, 23
	v_and_b32_e32 v190, 7, v89
	v_and_b32_e32 v193, 7, v85
	;; [unrolled: 1-line block ×4, first 2 shown]
	v_cmp_gt_u32_e64 s[4:5], 4, v97
	v_cmp_gt_u32_e64 s[6:7], 16, v46
	v_mul_u32_u24_e32 v162, 0x110, v3
	v_mul_u32_u24_e32 v163, 0x110, v8
	v_mul_u32_u24_e32 v164, 0x110, v10
	v_mul_u32_u24_e32 v165, 0x110, v12
	v_lshrrev_b32_e32 v166, 3, v13
	v_mul_u32_u24_e32 v167, 0x110, v14
	v_mul_u32_u24_e32 v168, 0x110, v16
	v_mul_u32_u24_e32 v169, 0x110, v18
	v_mul_u32_u24_e32 v170, 0x110, v20
	v_lshrrev_b32_e32 v171, 3, v2
	;; [unrolled: 5-line block ×3, first 2 shown]
	v_mul_u32_u24_e32 v177, 0x110, v28
	v_mul_u32_u24_e32 v178, 0x110, v30
	;; [unrolled: 1-line block ×4, first 2 shown]
	v_writelane_b32 v228, s9, 24
	v_mov_b32_e32 v55, v51
	s_lshl_b64 s[70:71], s[34:35], 8
	s_lshl_b64 s[72:73], s[38:39], 8
	s_mov_b32 s47, 0x3fb8aa3b
	s_mov_b32 s2, 0xc2ce8ed0
	;; [unrolled: 1-line block ×5, first 2 shown]
	v_mul_lo_u32 v181, v91, s42
	v_lshl_add_u32 v182, v46, 2, 0
	v_mad_u32_u24 v183, v4, s10, v155
	v_lshlrev_b32_e32 v72, 2, v4
	v_add_u32_e32 v184, 0x1100, v154
	v_add_u32_e32 v185, 0x2200, v154
	;; [unrolled: 1-line block ×3, first 2 shown]
	v_bfe_u32 v187, v93, 3, 7
	v_mul_u32_u24_e32 v188, 0x110, v47
	v_lshrrev_b32_e32 v189, 3, v89
	v_lshrrev_b32_e32 v191, 3, v87
	;; [unrolled: 1-line block ×7, first 2 shown]
	v_bfe_u32 v200, v93, 4, 6
	v_lshrrev_b32_e32 v201, 3, v7
	v_and_b32_e32 v74, 7, v7
	v_lshrrev_b32_e32 v202, 3, v9
	v_and_b32_e32 v76, 7, v9
	;; [unrolled: 2-line block ×12, first 2 shown]
	v_mbcnt_hi_u32_b32 v213, -1, v75
	v_mov_b32_e32 v214, 0x7f800000
	v_and_b32_e32 v98, 7, v0
	v_mad_u64_u32 v[100:101], s[10:11], v79, s53, v[46:47]
	v_mad_u64_u32 v[102:103], s[10:11], v190, s53, v[46:47]
	;; [unrolled: 1-line block ×5, first 2 shown]
	v_bfe_u32 v110, v47, 1, 3
	v_lshl_add_u64 v[112:113], s[22:23], 0, v[50:51]
	v_lshl_add_u64 v[114:115], v[62:63], 2, s[20:21]
	;; [unrolled: 1-line block ×9, first 2 shown]
	v_writelane_b32 v228, s53, 25
	s_branch .LBB24_12
.LBB24_10:                              ;   in Loop: Header=BB24_12 Depth=1
	s_or_b64 exec, exec, s[76:77]
	s_barrier
.LBB24_11:                              ;   in Loop: Header=BB24_12 Depth=1
	s_add_i32 s10, s56, s92
	s_abs_i32 s14, s10
	s_mul_hi_u32 s15, s14, s52
	s_mul_i32 s15, s15, s93
	s_sub_i32 s14, s14, s15
	s_ashr_i32 s11, s10, 31
	s_sub_i32 s15, s14, s93
	s_cmp_ge_u32 s14, s93
	s_cselect_b32 s14, s15, s14
	s_sub_i32 s15, s14, s93
	s_cmp_ge_u32 s14, s93
	s_cselect_b32 s14, s15, s14
	s_xor_b32 s14, s14, s11
	s_sub_i32 s11, s11, s14
	s_add_i32 s56, s10, s11
	s_sub_i32 s14, s60, s56
	s_min_i32 s67, s92, s14
	s_cmp_gt_i32 s60, s56
	s_cselect_b64 s[10:11], -1, 0
	s_cmp_le_i32 s92, s14
	s_cselect_b64 s[14:15], -1, 0
	s_and_b64 s[14:15], s[14:15], s[10:11]
	s_mov_b32 s84, 0
	s_and_b64 vcc, exec, s[14:15]
	s_cbranch_vccz .LBB24_275
.LBB24_12:                              ; =>This Loop Header: Depth=1
                                        ;     Child Loop BB24_182 Depth 2
                                        ;     Child Loop BB24_50 Depth 2
	s_ashr_i32 s10, s56, 31
	v_readlane_b32 s11, v228, 14
	s_xor_b32 s10, s10, s11
	s_abs_i32 s11, s56
	v_readlane_b32 s14, v228, 15
	s_mul_hi_u32 s14, s11, s14
	s_mul_i32 s15, s14, s59
	s_sub_i32 s11, s11, s15
	s_add_i32 s15, s14, 1
	s_sub_i32 s42, s11, s59
	s_cmp_ge_u32 s11, s59
	s_cselect_b32 s14, s15, s14
	s_cselect_b32 s11, s42, s11
	s_add_i32 s15, s14, 1
	s_cmp_ge_u32 s11, s59
	s_cselect_b32 s11, s15, s14
	s_xor_b32 s11, s11, s10
	s_sub_i32 s10, s11, s10
	s_mul_i32 s11, s10, s91
	s_sub_i32 s14, s56, s11
	s_ashr_i32 s11, s14, 31
	v_readlane_b32 s15, v228, 16
	s_xor_b32 s11, s11, s15
	s_abs_i32 s15, s14
	v_readlane_b32 s42, v228, 17
	s_mul_hi_u32 s42, s15, s42
	s_mul_i32 s46, s42, s94
	s_sub_i32 s15, s15, s46
	s_add_i32 s46, s42, 1
	s_sub_i32 s53, s15, s94
	s_cmp_ge_u32 s15, s94
	s_cselect_b32 s42, s46, s42
	s_cselect_b32 s15, s53, s15
	s_add_i32 s46, s42, 1
	s_cmp_ge_u32 s15, s94
	s_cselect_b32 s15, s46, s42
	s_xor_b32 s15, s15, s11
	s_sub_i32 s11, s15, s11
	s_mul_i32 s15, s11, s90
	s_sub_i32 s15, s14, s15
	;; [unrolled: 20-line block ×3, first 2 shown]
	s_ashr_i32 s42, s15, 31
	v_readlane_b32 s46, v228, 3
	s_abs_i32 s15, s15
	s_xor_b32 s42, s42, s46
	s_mul_hi_u32 s46, s15, s52
	s_mul_i32 s53, s46, s93
	s_sub_i32 s15, s15, s53
	s_add_i32 s53, s46, 1
	s_sub_i32 s58, s15, s93
	s_cmp_ge_u32 s15, s93
	s_cselect_b32 s46, s53, s46
	s_cselect_b32 s15, s58, s15
	s_add_i32 s53, s46, 1
	s_cmp_ge_u32 s15, s93
	s_cselect_b32 s15, s53, s46
	v_readlane_b32 s64, v228, 7
	s_xor_b32 s15, s15, s42
	v_readlane_b32 s65, v228, 8
	s_andn2_b64 vcc, exec, s[64:65]
	s_sub_i32 s42, s15, s42
	s_cbranch_vccnz .LBB24_14
; %bb.13:                               ;   in Loop: Header=BB24_12 Depth=1
	v_readlane_b32 s15, v228, 0
	s_mul_i32 s15, s10, s15
	s_add_i32 s64, s42, s15
	s_ashr_i32 s65, s64, 31
	s_lshl_b64 s[64:65], s[64:65], 2
	s_add_u32 s64, s26, s64
	s_addc_u32 s65, s27, s65
	global_load_dword v2, v51, s[64:65]
	s_waitcnt vmcnt(0)
	v_readfirstlane_b32 s15, v2
	s_ashr_i32 s46, s15, 31
	s_lshr_b32 s46, s46, 26
	s_add_i32 s15, s15, s46
	s_ashr_i32 s15, s15, 6
	s_min_i32 s67, s67, s15
.LBB24_14:                              ;   in Loop: Header=BB24_12 Depth=1
	s_mul_i32 s15, s11, s3
	s_lshl_b32 s88, s14, 3
	s_add_i32 s14, s88, s15
	s_mul_i32 s15, s10, s55
	s_ashr_i32 s46, s15, 31
	s_add_u32 s15, s16, s15
	s_mul_i32 s53, s14, s54
	s_addc_u32 s46, s17, s46
	s_ashr_i32 s58, s53, 31
	s_add_u32 s82, s15, s53
	s_addc_u32 s83, s46, s58
	s_ashr_i32 s15, s10, 31
	s_mul_hi_u32 s46, s40, s10
	s_mul_i32 s53, s40, s15
	s_add_i32 s46, s46, s53
	s_mul_i32 s53, s41, s10
	v_readlane_b32 s64, v228, 1
	s_add_i32 s97, s46, s53
	s_mul_i32 s98, s40, s10
	v_readlane_b32 s65, v228, 2
	s_add_u32 s46, s18, s98
	s_mul_i32 s99, s11, s65
	s_addc_u32 s53, s19, s97
	s_ashr_i32 s58, s99, 31
	s_add_u32 s65, s46, s99
	s_addc_u32 s66, s53, s58
	s_abs_i32 s46, s10
	v_readlane_b32 s53, v228, 20
	s_mul_hi_u32 s53, s46, s53
	s_mul_i32 s53, s53, s96
	s_sub_i32 s46, s46, s53
	s_sub_i32 s53, s46, s96
	s_cmp_ge_u32 s46, s96
	s_cselect_b32 s46, s53, s46
	s_sub_i32 s53, s46, s96
	s_cmp_ge_u32 s46, s96
	s_cselect_b32 s46, s53, s46
	s_xor_b32 s46, s46, s15
	s_sub_i32 s46, s46, s15
	s_ashr_i32 s53, s46, 31
	s_mul_i32 s53, s50, s53
	s_mul_hi_u32 s61, s50, s46
	s_add_i32 s53, s61, s53
	s_mul_i32 s61, s51, s46
	s_add_i32 s81, s53, s61
	s_mul_i32 s80, s50, s46
	s_mul_i32 s46, s36, s37
	s_add_u32 s78, s22, s80
	s_mul_i32 s46, s46, s10
	s_addc_u32 s79, s23, s81
	s_add_i32 s46, s14, s46
	s_lshl_b32 s62, s46, 6
	s_lshl_b64 s[68:69], s[62:63], 3
	s_add_u32 s74, s28, s68
	s_mul_hi_u32 s46, s48, s10
	s_mul_i32 s15, s48, s15
	s_addc_u32 s75, s29, s69
	s_add_i32 s15, s46, s15
	s_mul_i32 s46, s49, s10
	s_add_i32 s62, s15, s46
	s_mul_i32 s68, s48, s10
	s_add_u32 s10, s20, s68
	s_mul_i32 s69, s11, s43
	s_addc_u32 s15, s21, s62
	s_ashr_i32 s61, s69, 31
	s_add_u32 s46, s10, s69
	s_addc_u32 s64, s15, s61
	s_ashr_i32 s15, s14, 31
	s_lshl_b64 s[10:11], s[14:15], 2
	s_add_u32 s14, s24, s10
	s_addc_u32 s15, s25, s11
	v_readlane_b32 s10, v228, 5
	v_readlane_b32 s11, v228, 6
	s_and_b64 s[10:11], s[10:11], exec
	s_cselect_b32 s77, 0, s15
	s_cselect_b32 s76, 0, s14
	s_cmp_lg_u32 s84, 0
	v_or_b32_e32 v101, s88, v79
	s_cbranch_scc0 .LBB24_52
; %bb.15:                               ;   in Loop: Header=BB24_12 Depth=1
	s_lshl_b32 s53, s42, 2
	v_add_u32_e32 v2, s53, v187
	v_cmp_le_i32_e64 s[10:11], s36, v2
	v_cmp_le_i32_e64 s[14:15], s3, v101
	v_cmp_gt_i32_e32 vcc, s3, v101
	s_or_b64 s[10:11], s[10:11], s[14:15]
	s_and_saveexec_b64 s[14:15], s[10:11]
	s_xor_b64 s[10:11], exec, s[14:15]
; %bb.16:                               ;   in Loop: Header=BB24_12 Depth=1
	v_add_u32_e32 v2, v182, v188
	ds_write_b32 v2, v51
                                        ; implicit-def: $vgpr2
; %bb.17:                               ;   in Loop: Header=BB24_12 Depth=1
	s_andn2_saveexec_b64 s[10:11], s[10:11]
	s_cbranch_execz .LBB24_19
; %bb.18:                               ;   in Loop: Header=BB24_12 Depth=1
	v_mad_u64_u32 v[2:3], s[14:15], v2, s57, v[100:101]
	v_ashrrev_i32_e32 v3, 31, v2
	v_lshl_add_u64 v[2:3], v[2:3], 3, s[82:83]
	global_load_dwordx2 v[2:3], v[2:3], off
	s_waitcnt vmcnt(0)
	v_cvt_pk_f16_f32 v2, v2, v3
	v_pk_mul_f16 v2, v2, v181
	v_add_u32_e32 v3, v182, v188
	ds_write_b32 v3, v2
.LBB24_19:                              ;   in Loop: Header=BB24_12 Depth=1
	s_or_b64 exec, exec, s[10:11]
	v_add_u32_e32 v2, s53, v189
	v_or_b32_e32 v3, s88, v190
	v_cmp_le_i32_e64 s[10:11], s36, v2
	v_cmp_le_i32_e64 s[14:15], s3, v3
	s_or_b64 s[10:11], s[10:11], s[14:15]
	s_and_saveexec_b64 s[14:15], s[10:11]
	s_xor_b64 s[10:11], exec, s[14:15]
; %bb.20:                               ;   in Loop: Header=BB24_12 Depth=1
	v_add_u32_e32 v2, v182, v188
	ds_write_b32 v2, v51 offset:1088
                                        ; implicit-def: $vgpr2
; %bb.21:                               ;   in Loop: Header=BB24_12 Depth=1
	s_andn2_saveexec_b64 s[10:11], s[10:11]
	s_cbranch_execz .LBB24_23
; %bb.22:                               ;   in Loop: Header=BB24_12 Depth=1
	v_mad_u64_u32 v[2:3], s[14:15], v2, s57, v[102:103]
	v_ashrrev_i32_e32 v3, 31, v2
	v_lshl_add_u64 v[2:3], v[2:3], 3, s[82:83]
	global_load_dwordx2 v[2:3], v[2:3], off
	s_waitcnt vmcnt(0)
	v_cvt_pk_f16_f32 v2, v2, v3
	v_pk_mul_f16 v2, v2, v181
	v_add_u32_e32 v3, v182, v188
	ds_write_b32 v3, v2 offset:1088
.LBB24_23:                              ;   in Loop: Header=BB24_12 Depth=1
	s_or_b64 exec, exec, s[10:11]
	v_add_u32_e32 v2, s53, v191
	v_cmp_le_i32_e64 s[10:11], s36, v2
	s_xor_b64 s[14:15], vcc, -1
	s_or_b64 s[10:11], s[10:11], s[14:15]
	s_and_saveexec_b64 s[86:87], s[10:11]
	s_xor_b64 s[10:11], exec, s[86:87]
; %bb.24:                               ;   in Loop: Header=BB24_12 Depth=1
	v_add_u32_e32 v2, v182, v188
	ds_write_b32 v2, v51 offset:2176
                                        ; implicit-def: $vgpr2
; %bb.25:                               ;   in Loop: Header=BB24_12 Depth=1
	s_andn2_saveexec_b64 s[10:11], s[10:11]
	s_cbranch_execz .LBB24_27
; %bb.26:                               ;   in Loop: Header=BB24_12 Depth=1
	v_mad_u64_u32 v[2:3], s[86:87], v2, s57, v[100:101]
	v_ashrrev_i32_e32 v3, 31, v2
	v_lshl_add_u64 v[2:3], v[2:3], 3, s[82:83]
	global_load_dwordx2 v[2:3], v[2:3], off
	s_waitcnt vmcnt(0)
	v_cvt_pk_f16_f32 v2, v2, v3
	v_pk_mul_f16 v2, v2, v181
	v_add_u32_e32 v3, v182, v188
	ds_write_b32 v3, v2 offset:2176
.LBB24_27:                              ;   in Loop: Header=BB24_12 Depth=1
	s_or_b64 exec, exec, s[10:11]
	v_add_u32_e32 v2, s53, v192
	v_or_b32_e32 v3, s88, v193
	v_cmp_le_i32_e32 vcc, s36, v2
	v_cmp_le_i32_e64 s[10:11], s3, v3
	s_or_b64 s[10:11], vcc, s[10:11]
	s_and_saveexec_b64 s[86:87], s[10:11]
	s_xor_b64 s[10:11], exec, s[86:87]
; %bb.28:                               ;   in Loop: Header=BB24_12 Depth=1
	v_add_u32_e32 v2, v182, v188
	ds_write_b32 v2, v51 offset:3264
                                        ; implicit-def: $vgpr2
; %bb.29:                               ;   in Loop: Header=BB24_12 Depth=1
	s_andn2_saveexec_b64 s[10:11], s[10:11]
	s_cbranch_execz .LBB24_31
; %bb.30:                               ;   in Loop: Header=BB24_12 Depth=1
	v_mad_u64_u32 v[2:3], s[86:87], v2, s57, v[104:105]
	v_ashrrev_i32_e32 v3, 31, v2
	v_lshl_add_u64 v[2:3], v[2:3], 3, s[82:83]
	global_load_dwordx2 v[2:3], v[2:3], off
	s_waitcnt vmcnt(0)
	v_cvt_pk_f16_f32 v2, v2, v3
	v_pk_mul_f16 v2, v2, v181
	v_add_u32_e32 v3, v182, v188
	ds_write_b32 v3, v2 offset:3264
.LBB24_31:                              ;   in Loop: Header=BB24_12 Depth=1
	s_or_b64 exec, exec, s[10:11]
	v_add_u32_e32 v2, s53, v194
	v_cmp_le_i32_e32 vcc, s36, v2
	s_or_b64 s[10:11], vcc, s[14:15]
	s_and_saveexec_b64 s[86:87], s[10:11]
	s_xor_b64 s[10:11], exec, s[86:87]
; %bb.32:                               ;   in Loop: Header=BB24_12 Depth=1
	v_add_u32_e32 v2, v182, v188
	ds_write_b32 v2, v51 offset:4352
                                        ; implicit-def: $vgpr2
; %bb.33:                               ;   in Loop: Header=BB24_12 Depth=1
	s_andn2_saveexec_b64 s[10:11], s[10:11]
	s_cbranch_execz .LBB24_35
; %bb.34:                               ;   in Loop: Header=BB24_12 Depth=1
	v_mad_u64_u32 v[2:3], s[86:87], v2, s57, v[100:101]
	v_ashrrev_i32_e32 v3, 31, v2
	v_lshl_add_u64 v[2:3], v[2:3], 3, s[82:83]
	global_load_dwordx2 v[2:3], v[2:3], off
	s_waitcnt vmcnt(0)
	v_cvt_pk_f16_f32 v2, v2, v3
	v_pk_mul_f16 v2, v2, v181
	v_add_u32_e32 v3, v182, v188
	ds_write_b32 v3, v2 offset:4352
.LBB24_35:                              ;   in Loop: Header=BB24_12 Depth=1
	s_or_b64 exec, exec, s[10:11]
	v_add_u32_e32 v2, s53, v195
	v_or_b32_e32 v3, s88, v196
	v_cmp_le_i32_e32 vcc, s36, v2
	v_cmp_le_i32_e64 s[10:11], s3, v3
	s_or_b64 s[10:11], vcc, s[10:11]
	s_and_saveexec_b64 s[86:87], s[10:11]
	s_xor_b64 s[10:11], exec, s[86:87]
; %bb.36:                               ;   in Loop: Header=BB24_12 Depth=1
	v_add_u32_e32 v2, v182, v188
	ds_write_b32 v2, v51 offset:5440
                                        ; implicit-def: $vgpr2
; %bb.37:                               ;   in Loop: Header=BB24_12 Depth=1
	s_andn2_saveexec_b64 s[10:11], s[10:11]
	s_cbranch_execz .LBB24_39
; %bb.38:                               ;   in Loop: Header=BB24_12 Depth=1
	v_mad_u64_u32 v[2:3], s[86:87], v2, s57, v[106:107]
	v_ashrrev_i32_e32 v3, 31, v2
	v_lshl_add_u64 v[2:3], v[2:3], 3, s[82:83]
	global_load_dwordx2 v[2:3], v[2:3], off
	s_waitcnt vmcnt(0)
	v_cvt_pk_f16_f32 v2, v2, v3
	v_pk_mul_f16 v2, v2, v181
	v_add_u32_e32 v3, v182, v188
	ds_write_b32 v3, v2 offset:5440
.LBB24_39:                              ;   in Loop: Header=BB24_12 Depth=1
	s_or_b64 exec, exec, s[10:11]
	v_add_u32_e32 v2, s53, v197
	v_cmp_le_i32_e32 vcc, s36, v2
	s_or_b64 s[10:11], vcc, s[14:15]
	s_and_saveexec_b64 s[14:15], s[10:11]
	s_xor_b64 s[10:11], exec, s[14:15]
; %bb.40:                               ;   in Loop: Header=BB24_12 Depth=1
	v_add_u32_e32 v2, v182, v188
	ds_write_b32 v2, v51 offset:6528
                                        ; implicit-def: $vgpr2
; %bb.41:                               ;   in Loop: Header=BB24_12 Depth=1
	s_andn2_saveexec_b64 s[10:11], s[10:11]
	s_cbranch_execz .LBB24_43
; %bb.42:                               ;   in Loop: Header=BB24_12 Depth=1
	v_mad_u64_u32 v[2:3], s[14:15], v2, s57, v[100:101]
	v_ashrrev_i32_e32 v3, 31, v2
	v_lshl_add_u64 v[2:3], v[2:3], 3, s[82:83]
	global_load_dwordx2 v[2:3], v[2:3], off
	s_waitcnt vmcnt(0)
	v_cvt_pk_f16_f32 v2, v2, v3
	v_pk_mul_f16 v2, v2, v181
	v_add_u32_e32 v3, v182, v188
	ds_write_b32 v3, v2 offset:6528
.LBB24_43:                              ;   in Loop: Header=BB24_12 Depth=1
	s_or_b64 exec, exec, s[10:11]
	v_add_u32_e32 v2, s53, v198
	v_or_b32_e32 v3, s88, v199
	v_cmp_le_i32_e32 vcc, s36, v2
	v_cmp_le_i32_e64 s[10:11], s3, v3
	s_or_b64 s[10:11], vcc, s[10:11]
	s_and_saveexec_b64 s[14:15], s[10:11]
	s_xor_b64 s[10:11], exec, s[14:15]
; %bb.44:                               ;   in Loop: Header=BB24_12 Depth=1
	v_add_u32_e32 v2, v182, v188
	ds_write_b32 v2, v51 offset:7616
                                        ; implicit-def: $vgpr2
; %bb.45:                               ;   in Loop: Header=BB24_12 Depth=1
	s_andn2_saveexec_b64 s[10:11], s[10:11]
	s_cbranch_execz .LBB24_47
; %bb.46:                               ;   in Loop: Header=BB24_12 Depth=1
	v_mad_u64_u32 v[2:3], s[14:15], v2, s57, v[108:109]
	v_ashrrev_i32_e32 v3, 31, v2
	v_lshl_add_u64 v[2:3], v[2:3], 3, s[82:83]
	global_load_dwordx2 v[2:3], v[2:3], off
	s_waitcnt vmcnt(0)
	v_cvt_pk_f16_f32 v2, v2, v3
	v_pk_mul_f16 v2, v2, v181
	v_add_u32_e32 v3, v182, v188
	ds_write_b32 v3, v2 offset:7616
.LBB24_47:                              ;   in Loop: Header=BB24_12 Depth=1
	s_or_b64 exec, exec, s[10:11]
	s_waitcnt lgkmcnt(0)
	s_barrier
	ds_read2_b64 v[14:17], v95 offset1:4
	ds_read2_b64 v[10:13], v95 offset0:8 offset1:12
	ds_read2_b64 v[6:9], v95 offset0:16 offset1:20
	;; [unrolled: 1-line block ×3, first 2 shown]
	s_add_i32 s85, s67, -1
	s_cmp_ge_i32 s84, s85
	s_waitcnt lgkmcnt(0)
	s_barrier
	s_cbranch_scc1 .LBB24_53
; %bb.48:                               ;   in Loop: Header=BB24_12 Depth=1
	v_add_u32_e32 v18, s53, v97
	v_mul_hi_u32 v19, s44, v18
	v_add_u32_e32 v19, v18, v19
	v_lshrrev_b32_e32 v19, s45, v19
	v_mul_lo_u32 v19, v19, s36
	v_readlane_b32 s10, v228, 21
	v_sub_u32_e32 v18, v18, v19
	v_readlane_b32 s11, v228, 22
	v_mad_i64_i32 v[18:19], s[10:11], v18, s10, 0
	v_lshl_add_u64 v[18:19], v[18:19], 1, s[78:79]
	v_lshlrev_b32_e32 v50, 1, v48
	v_lshl_add_u64 v[130:131], v[18:19], 0, v[50:51]
	v_and_b32_e32 v18, 64, v213
	v_add_u32_e32 v18, 64, v18
	v_xor_b32_e32 v19, 32, v213
	v_cmp_lt_i32_e32 vcc, v19, v18
	s_lshl_b32 s10, s84, 6
	v_mov_b32_e32 v132, 0
	v_cndmask_b32_e32 v19, v213, v19, vcc
	v_lshlrev_b32_e32 v107, 2, v19
	v_xor_b32_e32 v19, 16, v213
	v_cmp_lt_i32_e32 vcc, v19, v18
	v_mov_b32_e32 v21, 0xfeffffff
	v_mov_b32_e32 v20, 0
	v_cndmask_b32_e32 v18, v213, v19, vcc
	v_lshlrev_b32_e32 v109, 2, v18
	v_mov_b32_e32 v133, 0
	v_mov_b32_e32 v43, 0
	;; [unrolled: 1-line block ×15, first 2 shown]
	s_ashr_i32 s11, s10, 31
	s_and_saveexec_b64 s[14:15], s[4:5]
	s_cbranch_execz .LBB24_50
.LBB24_49:                              ;   in Loop: Header=BB24_12 Depth=1
	v_lshl_add_u64 v[24:25], s[10:11], 1, v[130:131]
	global_load_dword v24, v[24:25], off
	s_waitcnt vmcnt(0)
	ds_write_b32 v99, v24 offset:17408
.LBB24_50:                              ;   Parent Loop BB24_12 Depth=1
                                        ; =>  This Inner Loop Header: Depth=2
	s_or_b64 exec, exec, s[14:15]
	s_mul_hi_i32 s15, s10, s38
	s_mul_i32 s14, s10, s38
	s_lshl_b64 s[14:15], s[14:15], 2
	s_add_u32 s14, s65, s14
	s_addc_u32 s15, s66, s15
	v_lshl_add_u64 v[24:25], v[52:53], 2, s[14:15]
	v_lshlrev_b32_e32 v50, 2, v72
	v_lshl_add_u64 v[24:25], v[24:25], 0, v[50:51]
	global_load_dwordx4 v[134:137], v[24:25], off
	v_lshl_add_u64 v[28:29], v[56:57], 2, s[14:15]
	v_lshl_add_u64 v[28:29], v[28:29], 0, v[50:51]
	;; [unrolled: 1-line block ×6, first 2 shown]
	v_add_u32_e32 v24, v183, v156
	s_mul_hi_i32 s15, s10, s34
	s_mul_i32 s14, s10, s34
	s_lshl_b64 s[14:15], s[14:15], 2
	s_add_u32 s14, s46, s14
	s_addc_u32 s15, s64, s15
	s_add_i32 s84, s84, 1
	s_add_i32 s10, s10, 64
	s_cmp_lt_i32 s84, s85
	s_waitcnt vmcnt(0)
	ds_write_b128 v154, v[134:137]
	global_load_dwordx4 v[134:137], v[28:29], off
	s_waitcnt vmcnt(0)
	ds_write_b128 v184, v[134:137]
	global_load_dwordx4 v[134:137], v[32:33], off
	s_waitcnt vmcnt(0)
	ds_write_b128 v185, v[134:137]
	global_load_dwordx4 v[134:137], v[36:37], off
	s_waitcnt vmcnt(0)
	ds_write_b128 v186, v[134:137]
	s_waitcnt lgkmcnt(0)
	s_barrier
	ds_read2_b64 v[134:137], v24 offset1:4
	s_waitcnt lgkmcnt(0)
	v_mfma_f32_16x16x16_f16 v[138:141], v[134:135], v[14:15], 0
	v_mfma_f32_16x16x16_f16 v[134:137], v[136:137], v[16:17], v[138:141]
	s_nop 6
	ds_read2_b64 v[138:141], v24 offset0:8 offset1:12
	s_waitcnt lgkmcnt(0)
	v_mfma_f32_16x16x16_f16 v[134:137], v[138:139], v[10:11], v[134:137]
	v_mfma_f32_16x16x16_f16 v[134:137], v[140:141], v[12:13], v[134:137]
	ds_read2_b64 v[138:141], v24 offset0:16 offset1:20
	s_waitcnt lgkmcnt(0)
	v_mfma_f32_16x16x16_f16 v[134:137], v[138:139], v[6:7], v[134:137]
	v_mfma_f32_16x16x16_f16 v[134:137], v[140:141], v[8:9], v[134:137]
	ds_read2_b64 v[138:141], v24 offset0:24 offset1:28
	v_add_u32_e32 v24, 0x2000, v24
	s_waitcnt lgkmcnt(0)
	v_mfma_f32_16x16x16_f16 v[134:137], v[138:139], v[2:3], v[134:137]
	v_mfma_f32_16x16x16_f16 v[134:137], v[140:141], v[4:5], v[134:137]
	ds_read2_b64 v[138:141], v24 offset0:64 offset1:68
	s_waitcnt lgkmcnt(0)
	v_mfma_f32_16x16x16_f16 v[142:145], v[138:139], v[14:15], 0
	v_mfma_f32_16x16x16_f16 v[138:141], v[140:141], v[16:17], v[142:145]
	s_nop 6
	ds_read2_b64 v[142:145], v24 offset0:72 offset1:76
	s_waitcnt lgkmcnt(0)
	v_mfma_f32_16x16x16_f16 v[138:141], v[142:143], v[10:11], v[138:141]
	v_mfma_f32_16x16x16_f16 v[138:141], v[144:145], v[12:13], v[138:141]
	ds_read2_b64 v[142:145], v24 offset0:80 offset1:84
	s_waitcnt lgkmcnt(0)
	v_mfma_f32_16x16x16_f16 v[138:141], v[142:143], v[6:7], v[138:141]
	v_mfma_f32_16x16x16_f16 v[138:141], v[144:145], v[8:9], v[138:141]
	ds_read2_b64 v[142:145], v24 offset0:88 offset1:92
	v_add_u32_e32 v24, 0x4400, v111
	s_waitcnt lgkmcnt(0)
	s_barrier
	ds_read2_b32 v[24:25], v24 offset1:1
	v_mfma_f32_16x16x16_f16 v[138:141], v[142:143], v[2:3], v[138:141]
	s_waitcnt lgkmcnt(0)
	v_cvt_f32_f16_e32 v28, v24
	v_cvt_f32_f16_sdwa v24, v24 dst_sel:DWORD dst_unused:UNUSED_PAD src0_sel:WORD_1
	v_add_f32_e32 v28, v134, v28
	v_add_f32_e32 v29, v135, v24
	v_cvt_f32_f16_e32 v24, v25
	v_cvt_f32_f16_sdwa v25, v25 dst_sel:DWORD dst_unused:UNUSED_PAD src0_sel:WORD_1
	v_mfma_f32_16x16x16_f16 v[138:141], v[144:145], v[4:5], v[138:141]
	v_add_f32_e32 v32, v136, v24
	ds_read_b32 v24, v157 offset:17408
	v_add_f32_e32 v33, v137, v25
	v_add_f32_e32 v44, 0x40051340, v33
	s_waitcnt lgkmcnt(0)
	v_cvt_f32_f16_e32 v25, v24
	v_cvt_f32_f16_sdwa v24, v24 dst_sel:DWORD dst_unused:UNUSED_PAD src0_sel:WORD_1
	s_nop 0
	v_add_f32_e32 v36, v138, v25
	v_add_f32_e32 v37, v139, v24
	ds_read_b32 v24, v158 offset:17408
	s_waitcnt lgkmcnt(0)
	v_cvt_f32_f16_e32 v25, v24
	v_cvt_f32_f16_sdwa v24, v24 dst_sel:DWORD dst_unused:UNUSED_PAD src0_sel:WORD_1
	v_add_f32_e32 v40, v140, v25
	v_add_f32_e32 v41, v141, v24
	;; [unrolled: 1-line block ×4, first 2 shown]
	v_max3_f32 v24, v21, v24, v25
	v_add_f32_e32 v25, 0x40051340, v32
	v_max3_f32 v24, v24, v25, v44
	v_add_f32_e32 v25, 0x40051340, v36
	v_add_f32_e32 v44, 0x40051340, v37
	v_max3_f32 v24, v24, v25, v44
	v_add_f32_e32 v25, 0x40051340, v40
	v_add_f32_e32 v44, 0x40051340, v41
	v_max3_f32 v24, v24, v25, v44
	ds_bpermute_b32 v25, v107, v24
	s_waitcnt lgkmcnt(0)
	v_max_f32_e32 v25, v25, v25
	v_max_f32_e32 v24, v24, v25
	ds_bpermute_b32 v25, v109, v24
	s_waitcnt lgkmcnt(0)
	v_max_f32_e32 v25, v25, v25
	v_max_f32_e32 v103, v24, v25
	v_sub_f32_e32 v24, v28, v103
	v_mul_f32_e32 v25, 0x3fb8aa3b, v24
	v_fma_f32 v28, v24, s47, -v25
	v_rndne_f32_e32 v44, v25
	v_fmac_f32_e32 v28, 0x32a5705f, v24
	v_sub_f32_e32 v25, v25, v44
	v_add_f32_e32 v25, v25, v28
	v_exp_f32_e32 v25, v25
	v_cvt_i32_f32_e32 v28, v44
	v_cmp_ngt_f32_e32 vcc, s2, v24
	v_sub_f32_e32 v21, v21, v103
	v_ldexp_f32 v25, v25, v28
	v_cndmask_b32_e32 v25, 0, v25, vcc
	v_cmp_nlt_f32_e32 vcc, s33, v24
	s_nop 1
	v_cndmask_b32_e32 v24, v214, v25, vcc
	v_sub_f32_e32 v25, v29, v103
	v_mul_f32_e32 v28, 0x3fb8aa3b, v25
	v_fma_f32 v29, v25, s47, -v28
	v_rndne_f32_e32 v44, v28
	v_fmac_f32_e32 v29, 0x32a5705f, v25
	v_sub_f32_e32 v28, v28, v44
	v_add_f32_e32 v28, v28, v29
	v_exp_f32_e32 v28, v28
	v_cvt_i32_f32_e32 v29, v44
	v_cmp_ngt_f32_e32 vcc, s2, v25
	v_ldexp_f32 v28, v28, v29
	s_nop 0
	v_cndmask_b32_e32 v28, 0, v28, vcc
	v_cmp_nlt_f32_e32 vcc, s33, v25
	s_nop 1
	v_cndmask_b32_e32 v25, v214, v28, vcc
	v_sub_f32_e32 v28, v32, v103
	v_mul_f32_e32 v32, 0x3fb8aa3b, v28
	v_fma_f32 v44, v28, s47, -v32
	v_rndne_f32_e32 v45, v32
	v_fmac_f32_e32 v44, 0x32a5705f, v28
	v_sub_f32_e32 v32, v32, v45
	v_add_f32_e32 v32, v32, v44
	v_exp_f32_e32 v32, v32
	v_cvt_i32_f32_e32 v44, v45
	v_cmp_ngt_f32_e32 vcc, s2, v28
	v_add_f32_e32 v29, v24, v25
	v_ldexp_f32 v32, v32, v44
	v_cndmask_b32_e32 v32, 0, v32, vcc
	v_cmp_nlt_f32_e32 vcc, s33, v28
	s_nop 1
	v_cndmask_b32_e32 v28, v214, v32, vcc
	v_sub_f32_e32 v32, v33, v103
	v_mul_f32_e32 v33, 0x3fb8aa3b, v32
	v_fma_f32 v44, v32, s47, -v33
	v_rndne_f32_e32 v45, v33
	v_fmac_f32_e32 v44, 0x32a5705f, v32
	v_sub_f32_e32 v33, v33, v45
	v_add_f32_e32 v33, v33, v44
	v_exp_f32_e32 v33, v33
	v_cvt_i32_f32_e32 v44, v45
	v_cmp_ngt_f32_e32 vcc, s2, v32
	v_add_f32_e32 v29, v28, v29
	v_ldexp_f32 v33, v33, v44
	v_cndmask_b32_e32 v33, 0, v33, vcc
	v_cmp_nlt_f32_e32 vcc, s33, v32
	s_nop 1
	v_cndmask_b32_e32 v32, v214, v33, vcc
	v_add_f32_e32 v33, v32, v29
	v_sub_f32_e32 v29, v36, v103
	v_mul_f32_e32 v36, 0x3fb8aa3b, v29
	v_fma_f32 v44, v29, s47, -v36
	v_rndne_f32_e32 v45, v36
	v_fmac_f32_e32 v44, 0x32a5705f, v29
	v_sub_f32_e32 v36, v36, v45
	v_add_f32_e32 v36, v36, v44
	v_exp_f32_e32 v36, v36
	v_cvt_i32_f32_e32 v44, v45
	v_cmp_ngt_f32_e32 vcc, s2, v29
	v_ldexp_f32 v36, v36, v44
	s_nop 0
	v_cndmask_b32_e32 v36, 0, v36, vcc
	v_cmp_nlt_f32_e32 vcc, s33, v29
	s_nop 1
	v_cndmask_b32_e32 v29, v214, v36, vcc
	v_add_f32_e32 v36, v29, v33
	v_sub_f32_e32 v33, v37, v103
	v_mul_f32_e32 v37, 0x3fb8aa3b, v33
	v_fma_f32 v44, v33, s47, -v37
	v_rndne_f32_e32 v45, v37
	v_fmac_f32_e32 v44, 0x32a5705f, v33
	v_sub_f32_e32 v37, v37, v45
	v_add_f32_e32 v37, v37, v44
	v_exp_f32_e32 v37, v37
	v_cvt_i32_f32_e32 v44, v45
	v_cmp_ngt_f32_e32 vcc, s2, v33
	v_ldexp_f32 v37, v37, v44
	s_nop 0
	;; [unrolled: 17-line block ×4, first 2 shown]
	v_cndmask_b32_e32 v41, 0, v41, vcc
	v_cmp_nlt_f32_e32 vcc, s33, v37
	s_nop 1
	v_cndmask_b32_e32 v37, v214, v41, vcc
	v_add_f32_e32 v105, v37, v40
	v_mul_f32_e32 v40, 0x3fb8aa3b, v21
	v_fma_f32 v41, v21, s47, -v40
	v_rndne_f32_e32 v44, v40
	v_fmac_f32_e32 v41, 0x32a5705f, v21
	v_sub_f32_e32 v40, v40, v44
	v_add_f32_e32 v40, v40, v41
	v_exp_f32_e32 v40, v40
	v_cvt_i32_f32_e32 v41, v44
	v_cmp_ngt_f32_e32 vcc, s2, v21
	v_lshl_add_u64 v[44:45], v[66:67], 2, s[14:15]
	v_lshl_add_u64 v[44:45], v[44:45], 0, v[50:51]
	v_ldexp_f32 v40, v40, v41
	v_cndmask_b32_e32 v40, 0, v40, vcc
	v_cmp_nlt_f32_e32 vcc, s33, v21
	s_nop 1
	v_cndmask_b32_e32 v40, v214, v40, vcc
	v_cmp_le_f32_e32 vcc, s8, v21
	s_nop 1
	v_cndmask_b32_e32 v21, 0, v40, vcc
	v_fmac_f32_e32 v105, v20, v21
	v_cvt_f16_f32_e32 v20, v21
	v_mul_u32_u24_e32 v20, 0x10001, v20
	v_pk_mul_f16 v41, v19, v20
	v_pk_mul_f16 v40, v18, v20
	;; [unrolled: 1-line block ×16, first 2 shown]
	v_lshl_add_u64 v[18:19], v[62:63], 2, s[14:15]
	v_lshl_add_u64 v[20:21], v[64:65], 2, s[14:15]
	;; [unrolled: 1-line block ×6, first 2 shown]
	global_load_dwordx4 v[132:135], v[18:19], off
	v_cvt_f32_f16_e32 v140, v22
	global_load_dwordx4 v[18:21], v[20:21], off
	v_cvt_f32_f16_sdwa v141, v22 dst_sel:DWORD dst_unused:UNUSED_PAD src0_sel:WORD_1
	s_waitcnt vmcnt(1)
	ds_write_b128 v154, v[132:135]
	v_cvt_pk_f16_f32 v135, v28, v32
	s_waitcnt vmcnt(0)
	ds_write_b128 v184, v[18:21]
	global_load_dwordx4 v[18:21], v[44:45], off
	v_cvt_pk_f16_f32 v134, v24, v25
	v_cvt_pk_f16_f32 v133, v36, v37
	;; [unrolled: 1-line block ×3, first 2 shown]
	s_waitcnt vmcnt(0)
	ds_write_b128 v185, v[18:21]
	global_load_dwordx4 v[18:21], v[138:139], off
	v_cvt_f32_f16_e32 v138, v23
	v_cvt_f32_f16_sdwa v139, v23 dst_sel:DWORD dst_unused:UNUSED_PAD src0_sel:WORD_1
	s_waitcnt vmcnt(0)
	ds_write_b128 v186, v[18:21]
	s_waitcnt lgkmcnt(0)
	s_barrier
	ds_read_u16 v44, v152 offset:272
	ds_read_u16 v45, v152 offset:544
	v_cvt_f32_f16_e32 v20, v40
	v_cvt_f32_f16_sdwa v21, v40 dst_sel:DWORD dst_unused:UNUSED_PAD src0_sel:WORD_1
	ds_read_u16 v40, v153
	ds_read_u16 v50, v153 offset:32
	v_cvt_f32_f16_e32 v18, v41
	v_cvt_f32_f16_sdwa v19, v41 dst_sel:DWORD dst_unused:UNUSED_PAD src0_sel:WORD_1
	s_waitcnt lgkmcnt(1)
	v_perm_b32 v41, v40, v45, s9
	ds_read_u16 v40, v152
	ds_read_u16 v45, v152 offset:32
	ds_read_u16 v24, v152 offset:8704
	;; [unrolled: 1-line block ×5, first 2 shown]
	s_waitcnt lgkmcnt(5)
	v_perm_b32 v40, v44, v40, s9
	s_nop 1
	v_mfma_f32_16x16x16_f16 v[18:21], v[40:41], v[134:135], v[18:21]
	s_waitcnt lgkmcnt(0)
	v_perm_b32 v25, v32, v25, s9
	v_perm_b32 v24, v28, v24, s9
	s_nop 4
	v_cvt_f16_f32_e32 v18, v18
	v_cvt_f16_f32_e32 v19, v19
	;; [unrolled: 1-line block ×4, first 2 shown]
	v_cvt_f32_f16_e32 v18, v18
	v_cvt_f32_f16_e32 v19, v19
	;; [unrolled: 1-line block ×4, first 2 shown]
	s_nop 1
	v_mfma_f32_16x16x16_f16 v[18:21], v[24:25], v[132:133], v[18:21]
	ds_read_u16 v24, v152 offset:304
	ds_read_u16 v25, v152 offset:576
	;; [unrolled: 1-line block ×6, first 2 shown]
	s_nop 1
	v_cvt_pk_f16_f32 v19, v18, v19
	s_waitcnt lgkmcnt(5)
	v_perm_b32 v22, v24, v45, s9
	s_waitcnt lgkmcnt(4)
	v_perm_b32 v23, v50, v25, s9
	;; [unrolled: 2-line block ×3, first 2 shown]
	v_perm_b32 v28, v32, v28, s9
	v_mfma_f32_16x16x16_f16 v[22:25], v[22:23], v[134:135], v[138:141]
	v_cvt_pk_f16_f32 v18, v20, v21
	s_nop 1
	v_cvt_f32_f16_e32 v138, v27
	v_cvt_f32_f16_sdwa v139, v27 dst_sel:DWORD dst_unused:UNUSED_PAD src0_sel:WORD_1
	s_nop 2
	v_cvt_f16_f32_e32 v22, v22
	v_cvt_f16_f32_e32 v23, v23
	;; [unrolled: 1-line block ×4, first 2 shown]
	v_cvt_f32_f16_e32 v22, v22
	v_cvt_f32_f16_e32 v23, v23
	;; [unrolled: 1-line block ×5, first 2 shown]
	v_cvt_f32_f16_sdwa v141, v26 dst_sel:DWORD dst_unused:UNUSED_PAD src0_sel:WORD_1
	v_mfma_f32_16x16x16_f16 v[22:25], v[28:29], v[132:133], v[22:25]
	ds_read_u16 v28, v152 offset:64
	ds_read_u16 v29, v152 offset:336
	;; [unrolled: 1-line block ×4, first 2 shown]
	s_waitcnt lgkmcnt(2)
	v_perm_b32 v26, v29, v28, s9
	s_nop 1
	v_cvt_pk_f16_f32 v23, v22, v23
	s_waitcnt lgkmcnt(0)
	v_perm_b32 v27, v33, v32, s9
	ds_read_u16 v32, v152 offset:8768
	ds_read_u16 v36, v152 offset:9040
	ds_read_u16 v33, v152 offset:9312
	ds_read_u16 v37, v153 offset:8768
	v_mfma_f32_16x16x16_f16 v[26:29], v[26:27], v[134:135], v[138:141]
	s_waitcnt lgkmcnt(0)
	v_perm_b32 v33, v37, v33, s9
	v_perm_b32 v32, v36, v32, s9
	v_cvt_f32_f16_e32 v138, v31
	s_nop 3
	v_cvt_f16_f32_e32 v26, v26
	v_cvt_f16_f32_e32 v27, v27
	v_cvt_f16_f32_e32 v28, v28
	v_cvt_f16_f32_e32 v29, v29
	v_cvt_f32_f16_e32 v26, v26
	v_cvt_f32_f16_e32 v27, v27
	v_cvt_f32_f16_e32 v28, v28
	v_cvt_f32_f16_e32 v29, v29
	v_cvt_f32_f16_sdwa v139, v31 dst_sel:DWORD dst_unused:UNUSED_PAD src0_sel:WORD_1
	v_cvt_f32_f16_e32 v140, v30
	v_mfma_f32_16x16x16_f16 v[26:29], v[32:33], v[132:133], v[26:29]
	ds_read_u16 v32, v152 offset:96
	ds_read_u16 v33, v152 offset:368
	ds_read_u16 v36, v152 offset:640
	ds_read_u16 v37, v153 offset:96
	v_cvt_f32_f16_sdwa v141, v30 dst_sel:DWORD dst_unused:UNUSED_PAD src0_sel:WORD_1
	v_cvt_pk_f16_f32 v22, v24, v25
	s_waitcnt lgkmcnt(2)
	v_perm_b32 v30, v33, v32, s9
	v_cvt_pk_f16_f32 v27, v26, v27
	s_waitcnt lgkmcnt(0)
	v_perm_b32 v31, v37, v36, s9
	ds_read_u16 v36, v152 offset:8800
	ds_read_u16 v40, v152 offset:9072
	ds_read_u16 v37, v152 offset:9344
	ds_read_u16 v41, v153 offset:8800
	v_mfma_f32_16x16x16_f16 v[30:33], v[30:31], v[134:135], v[138:141]
	s_waitcnt lgkmcnt(0)
	v_perm_b32 v37, v41, v37, s9
	v_perm_b32 v36, v40, v36, s9
	v_cvt_f32_f16_e32 v138, v35
	s_nop 3
	v_cvt_f16_f32_e32 v30, v30
	v_cvt_f16_f32_e32 v31, v31
	v_cvt_f16_f32_e32 v32, v32
	v_cvt_f16_f32_e32 v33, v33
	v_cvt_f32_f16_e32 v30, v30
	v_cvt_f32_f16_e32 v31, v31
	v_cvt_f32_f16_e32 v32, v32
	v_cvt_f32_f16_e32 v33, v33
	v_cvt_f32_f16_sdwa v139, v35 dst_sel:DWORD dst_unused:UNUSED_PAD src0_sel:WORD_1
	v_cvt_f32_f16_e32 v140, v34
	v_mfma_f32_16x16x16_f16 v[30:33], v[36:37], v[132:133], v[30:33]
	ds_read_u16 v36, v152 offset:128
	ds_read_u16 v37, v152 offset:400
	ds_read_u16 v40, v152 offset:672
	ds_read_u16 v41, v153 offset:128
	v_cvt_f32_f16_sdwa v141, v34 dst_sel:DWORD dst_unused:UNUSED_PAD src0_sel:WORD_1
	v_cvt_pk_f16_f32 v26, v28, v29
	s_waitcnt lgkmcnt(2)
	v_perm_b32 v34, v37, v36, s9
	;; [unrolled: 32-line block ×3, first 2 shown]
	v_cvt_pk_f16_f32 v35, v34, v35
	s_waitcnt lgkmcnt(0)
	v_perm_b32 v39, v45, v44, s9
	v_cvt_pk_f16_f32 v34, v36, v37
	s_nop 0
	v_mfma_f32_16x16x16_f16 v[38:41], v[38:39], v[134:135], v[138:141]
	ds_read_u16 v44, v152 offset:8864
	ds_read_u16 v50, v152 offset:9136
	;; [unrolled: 1-line block ×4, first 2 shown]
	v_cvt_f32_f16_sdwa v139, v43 dst_sel:DWORD dst_unused:UNUSED_PAD src0_sel:WORD_1
	v_cvt_f32_f16_e32 v140, v42
	s_nop 1
	v_cvt_f16_f32_e32 v38, v38
	v_cvt_f16_f32_e32 v39, v39
	;; [unrolled: 1-line block ×4, first 2 shown]
	s_waitcnt lgkmcnt(0)
	v_perm_b32 v45, v138, v45, s9
	v_perm_b32 v44, v50, v44, s9
	v_cvt_f32_f16_e32 v38, v38
	v_cvt_f32_f16_e32 v39, v39
	;; [unrolled: 1-line block ×5, first 2 shown]
	v_cvt_f32_f16_sdwa v141, v42 dst_sel:DWORD dst_unused:UNUSED_PAD src0_sel:WORD_1
	v_mfma_f32_16x16x16_f16 v[38:41], v[44:45], v[132:133], v[38:41]
	ds_read_u16 v44, v152 offset:192
	ds_read_u16 v45, v152 offset:464
	;; [unrolled: 1-line block ×4, first 2 shown]
	s_waitcnt lgkmcnt(2)
	v_perm_b32 v42, v45, v44, s9
	s_nop 1
	v_cvt_pk_f16_f32 v39, v38, v39
	s_waitcnt lgkmcnt(0)
	v_perm_b32 v43, v142, v50, s9
	v_cvt_pk_f16_f32 v38, v40, v41
	s_nop 0
	v_mfma_f32_16x16x16_f16 v[42:45], v[42:43], v[134:135], v[138:141]
	ds_read_u16 v50, v152 offset:8896
	s_nop 1
	ds_read_u16 v138, v152 offset:9168
	ds_read_u16 v139, v152 offset:9440
	;; [unrolled: 1-line block ×3, first 2 shown]
	v_cvt_f32_f16_sdwa v141, v136 dst_sel:DWORD dst_unused:UNUSED_PAD src0_sel:WORD_1
	s_nop 0
	v_cvt_f16_f32_e32 v42, v42
	v_cvt_f16_f32_e32 v43, v43
	;; [unrolled: 1-line block ×4, first 2 shown]
	s_waitcnt lgkmcnt(0)
	v_perm_b32 v139, v140, v139, s9
	v_perm_b32 v138, v138, v50, s9
	ds_read_u16 v50, v152 offset:224
	ds_read_u16 v142, v152 offset:496
	;; [unrolled: 1-line block ×4, first 2 shown]
	v_cvt_f32_f16_e32 v42, v42
	v_cvt_f32_f16_e32 v43, v43
	;; [unrolled: 1-line block ×5, first 2 shown]
	s_waitcnt lgkmcnt(2)
	v_perm_b32 v136, v142, v50, s9
	v_mfma_f32_16x16x16_f16 v[42:45], v[138:139], v[132:133], v[42:45]
	v_cvt_f32_f16_e32 v138, v137
	v_cvt_f32_f16_sdwa v139, v137 dst_sel:DWORD dst_unused:UNUSED_PAD src0_sel:WORD_1
	s_waitcnt lgkmcnt(0)
	v_perm_b32 v137, v144, v143, s9
	s_nop 1
	v_mfma_f32_16x16x16_f16 v[136:139], v[136:137], v[134:135], v[138:141]
	s_nop 0
	v_cvt_pk_f16_f32 v43, v42, v43
	v_cvt_pk_f16_f32 v42, v44, v45
	s_nop 4
	v_cvt_f16_f32_e32 v135, v136
	v_cvt_f16_f32_e32 v136, v137
	;; [unrolled: 1-line block ×4, first 2 shown]
	ds_read_u16 v50, v152 offset:8928
	ds_read_u16 v134, v152 offset:9200
	;; [unrolled: 1-line block ×4, first 2 shown]
	v_cvt_f32_f16_e32 v140, v135
	v_cvt_f32_f16_e32 v141, v136
	s_waitcnt lgkmcnt(2)
	v_perm_b32 v134, v134, v50, s9
	v_cvt_f32_f16_e32 v142, v137
	s_waitcnt lgkmcnt(0)
	v_perm_b32 v135, v144, v139, s9
	v_cvt_f32_f16_e32 v143, v138
	s_barrier
	s_nop 0
	v_mfma_f32_16x16x16_f16 v[132:135], v[134:135], v[132:133], v[140:143]
	s_nop 7
	v_cvt_pk_f16_f32 v132, v132, v133
	v_cvt_pk_f16_f32 v133, v134, v135
	s_cbranch_scc0 .LBB24_54
; %bb.51:                               ;   in Loop: Header=BB24_50 Depth=2
	v_mov_b32_e32 v20, v105
	v_mov_b32_e32 v21, v103
	s_ashr_i32 s11, s10, 31
	s_and_saveexec_b64 s[14:15], s[4:5]
	s_cbranch_execnz .LBB24_49
	s_branch .LBB24_50
.LBB24_52:                              ;   in Loop: Header=BB24_12 Depth=1
	s_cbranch_execz .LBB24_11
	s_branch .LBB24_147
.LBB24_53:                              ;   in Loop: Header=BB24_12 Depth=1
	v_mov_b32_e32 v103, 0xfeffffff
	v_mov_b32_e32 v105, 0
	;; [unrolled: 1-line block ×18, first 2 shown]
.LBB24_54:                              ;   in Loop: Header=BB24_12 Depth=1
	s_lshl_b32 s10, s84, 6
	s_ashr_i32 s11, s10, 31
	s_and_saveexec_b64 s[14:15], s[4:5]
	s_cbranch_execz .LBB24_56
; %bb.55:                               ;   in Loop: Header=BB24_12 Depth=1
	v_or_b32_e32 v20, s53, v97
	v_mul_hi_u32 v21, s44, v20
	v_add_u32_e32 v21, v20, v21
	v_lshrrev_b32_e32 v21, s45, v21
	s_lshl_b64 s[84:85], s[10:11], 1
	v_mul_lo_u32 v21, v21, s36
	v_readlane_b32 s86, v228, 21
	s_add_u32 s84, s78, s84
	v_sub_u32_e32 v20, v20, v21
	v_readlane_b32 s87, v228, 22
	s_addc_u32 s85, s79, s85
	v_mad_i64_i32 v[20:21], s[86:87], v20, s86, 0
	v_lshl_add_u64 v[20:21], v[20:21], 1, s[84:85]
	v_lshlrev_b32_e32 v50, 1, v48
	v_lshl_add_u64 v[20:21], v[20:21], 0, v[50:51]
	global_load_dword v20, v[20:21], off
	s_waitcnt vmcnt(0)
	ds_write_b32 v99, v20 offset:17408
.LBB24_56:                              ;   in Loop: Header=BB24_12 Depth=1
	s_or_b64 exec, exec, s[14:15]
	s_mul_hi_i32 s15, s10, s38
	s_mul_i32 s14, s10, s38
	s_lshl_b64 s[14:15], s[14:15], 2
	s_add_u32 s14, s65, s14
	s_addc_u32 s15, s66, s15
	v_lshl_add_u64 v[20:21], v[52:53], 2, s[14:15]
	v_lshlrev_b32_e32 v50, 2, v72
	v_lshl_add_u64 v[20:21], v[20:21], 0, v[50:51]
	global_load_dwordx4 v[134:137], v[20:21], off
	v_lshl_add_u64 v[24:25], v[56:57], 2, s[14:15]
	v_lshl_add_u64 v[24:25], v[24:25], 0, v[50:51]
	;; [unrolled: 1-line block ×6, first 2 shown]
	v_add_u32_e32 v20, v183, v156
	s_mul_hi_i32 s11, s10, s34
	s_mul_i32 s10, s10, s34
	s_lshl_b64 s[10:11], s[10:11], 2
	s_add_u32 s10, s46, s10
	s_addc_u32 s11, s64, s11
	s_cmp_lg_u64 s[76:77], 0
	s_waitcnt vmcnt(0)
	ds_write_b128 v154, v[134:137]
	global_load_dwordx4 v[134:137], v[24:25], off
	s_waitcnt vmcnt(0)
	ds_write_b128 v184, v[134:137]
	global_load_dwordx4 v[134:137], v[28:29], off
	;; [unrolled: 3-line block ×3, first 2 shown]
	s_waitcnt vmcnt(0)
	ds_write_b128 v186, v[134:137]
	s_waitcnt lgkmcnt(0)
	s_barrier
	ds_read2_b64 v[134:137], v20 offset1:4
	s_waitcnt lgkmcnt(0)
	v_mfma_f32_16x16x16_f16 v[138:141], v[134:135], v[14:15], 0
	v_mfma_f32_16x16x16_f16 v[134:137], v[136:137], v[16:17], v[138:141]
	s_nop 6
	ds_read2_b64 v[138:141], v20 offset0:8 offset1:12
	s_waitcnt lgkmcnt(0)
	v_mfma_f32_16x16x16_f16 v[134:137], v[138:139], v[10:11], v[134:137]
	v_mfma_f32_16x16x16_f16 v[134:137], v[140:141], v[12:13], v[134:137]
	ds_read2_b64 v[138:141], v20 offset0:16 offset1:20
	s_waitcnt lgkmcnt(0)
	v_mfma_f32_16x16x16_f16 v[134:137], v[138:139], v[6:7], v[134:137]
	v_mfma_f32_16x16x16_f16 v[134:137], v[140:141], v[8:9], v[134:137]
	ds_read2_b64 v[138:141], v20 offset0:24 offset1:28
	v_add_u32_e32 v20, 0x2000, v20
	s_waitcnt lgkmcnt(0)
	v_mfma_f32_16x16x16_f16 v[134:137], v[138:139], v[2:3], v[134:137]
	v_mfma_f32_16x16x16_f16 v[134:137], v[140:141], v[4:5], v[134:137]
	ds_read2_b64 v[138:141], v20 offset0:64 offset1:68
	s_waitcnt lgkmcnt(0)
	v_mfma_f32_16x16x16_f16 v[142:145], v[138:139], v[14:15], 0
	v_mfma_f32_16x16x16_f16 v[14:17], v[140:141], v[16:17], v[142:145]
	ds_read2_b64 v[138:141], v20 offset0:72 offset1:76
	s_waitcnt lgkmcnt(0)
	v_mfma_f32_16x16x16_f16 v[14:17], v[138:139], v[10:11], v[14:17]
	v_mfma_f32_16x16x16_f16 v[10:13], v[140:141], v[12:13], v[14:17]
	s_nop 6
	ds_read2_b64 v[14:17], v20 offset0:80 offset1:84
	s_waitcnt lgkmcnt(0)
	v_mfma_f32_16x16x16_f16 v[10:13], v[14:15], v[6:7], v[10:13]
	v_mfma_f32_16x16x16_f16 v[6:9], v[16:17], v[8:9], v[10:13]
	s_nop 6
	ds_read2_b64 v[10:13], v20 offset0:88 offset1:92
	s_waitcnt lgkmcnt(0)
	v_mfma_f32_16x16x16_f16 v[6:9], v[10:11], v[2:3], v[6:9]
	v_add_u32_e32 v2, 0x4400, v111
	s_barrier
	ds_read2_b32 v[2:3], v2 offset1:1
	v_mfma_f32_16x16x16_f16 v[10:13], v[12:13], v[4:5], v[6:9]
	s_waitcnt lgkmcnt(0)
	v_cvt_f32_f16_e32 v4, v2
	v_cvt_f32_f16_sdwa v2, v2 dst_sel:DWORD dst_unused:UNUSED_PAD src0_sel:WORD_1
	s_nop 0
	v_add_f32_e32 v6, v134, v4
	v_add_f32_e32 v7, v135, v2
	v_cvt_f32_f16_e32 v2, v3
	v_cvt_f32_f16_sdwa v3, v3 dst_sel:DWORD dst_unused:UNUSED_PAD src0_sel:WORD_1
	v_add_f32_e32 v8, v136, v2
	ds_read_b32 v2, v157 offset:17408
	v_add_f32_e32 v9, v137, v3
	s_waitcnt lgkmcnt(0)
	v_cvt_f32_f16_e32 v3, v2
	v_cvt_f32_f16_sdwa v2, v2 dst_sel:DWORD dst_unused:UNUSED_PAD src0_sel:WORD_1
	v_add_f32_e32 v5, v10, v3
	v_add_f32_e32 v4, v11, v2
	ds_read_b32 v2, v158 offset:17408
	v_add_f32_e32 v10, 0x40051340, v6
	v_add_f32_e32 v11, 0x40051340, v7
	v_max3_f32 v10, v103, v10, v11
	v_add_f32_e32 v11, 0x40051340, v8
	s_waitcnt lgkmcnt(0)
	v_cvt_f32_f16_e32 v3, v2
	v_cvt_f32_f16_sdwa v2, v2 dst_sel:DWORD dst_unused:UNUSED_PAD src0_sel:WORD_1
	v_add_f32_e32 v3, v12, v3
	v_add_f32_e32 v12, 0x40051340, v9
	;; [unrolled: 1-line block ×3, first 2 shown]
	v_max3_f32 v10, v10, v11, v12
	v_add_f32_e32 v11, 0x40051340, v5
	v_add_f32_e32 v12, 0x40051340, v4
	v_max3_f32 v10, v10, v11, v12
	v_add_f32_e32 v11, 0x40051340, v3
	v_add_f32_e32 v12, 0x40051340, v2
	v_max3_f32 v10, v10, v11, v12
	v_and_b32_e32 v11, 64, v213
	v_add_u32_e32 v11, 64, v11
	v_xor_b32_e32 v12, 32, v213
	v_cmp_lt_i32_e32 vcc, v12, v11
	s_nop 1
	v_cndmask_b32_e32 v12, v213, v12, vcc
	v_lshlrev_b32_e32 v21, 2, v12
	ds_bpermute_b32 v12, v21, v10
	s_waitcnt lgkmcnt(0)
	v_max_f32_e32 v12, v12, v12
	v_max_f32_e32 v10, v10, v12
	v_xor_b32_e32 v12, 16, v213
	v_cmp_lt_i32_e32 vcc, v12, v11
	s_nop 1
	v_cndmask_b32_e32 v11, v213, v12, vcc
	v_lshlrev_b32_e32 v24, 2, v11
	ds_bpermute_b32 v11, v24, v10
	s_waitcnt lgkmcnt(0)
	v_max_f32_e32 v11, v11, v11
	v_max_f32_e32 v20, v10, v11
	v_sub_f32_e32 v6, v6, v20
	v_mul_f32_e32 v10, 0x3fb8aa3b, v6
	v_fma_f32 v11, v6, s47, -v10
	v_rndne_f32_e32 v12, v10
	v_fmac_f32_e32 v11, 0x32a5705f, v6
	v_sub_f32_e32 v10, v10, v12
	v_add_f32_e32 v10, v10, v11
	v_exp_f32_e32 v10, v10
	v_cvt_i32_f32_e32 v11, v12
	v_cmp_ngt_f32_e32 vcc, s2, v6
	v_sub_f32_e32 v7, v7, v20
	v_sub_f32_e32 v8, v8, v20
	v_ldexp_f32 v10, v10, v11
	v_cndmask_b32_e32 v10, 0, v10, vcc
	v_cmp_nlt_f32_e32 vcc, s33, v6
	v_sub_f32_e32 v9, v9, v20
	v_sub_f32_e32 v5, v5, v20
	v_cndmask_b32_e32 v6, v214, v10, vcc
	v_mul_f32_e32 v10, 0x3fb8aa3b, v7
	v_fma_f32 v11, v7, s47, -v10
	v_rndne_f32_e32 v12, v10
	v_fmac_f32_e32 v11, 0x32a5705f, v7
	v_sub_f32_e32 v10, v10, v12
	v_add_f32_e32 v10, v10, v11
	v_exp_f32_e32 v10, v10
	v_cvt_i32_f32_e32 v11, v12
	v_cmp_ngt_f32_e32 vcc, s2, v7
	v_sub_f32_e32 v4, v4, v20
	v_sub_f32_e32 v3, v3, v20
	v_ldexp_f32 v10, v10, v11
	v_mul_f32_e32 v11, 0x3fb8aa3b, v8
	v_fma_f32 v12, v8, s47, -v11
	v_rndne_f32_e32 v13, v11
	v_fmac_f32_e32 v12, 0x32a5705f, v8
	v_sub_f32_e32 v11, v11, v13
	v_add_f32_e32 v11, v11, v12
	v_exp_f32_e32 v11, v11
	v_cvt_i32_f32_e32 v12, v13
	v_cndmask_b32_e32 v10, 0, v10, vcc
	v_cmp_nlt_f32_e32 vcc, s33, v7
	v_sub_f32_e32 v2, v2, v20
	v_ldexp_f32 v11, v11, v12
	v_cndmask_b32_e32 v7, v214, v10, vcc
	v_cmp_ngt_f32_e32 vcc, s2, v8
	v_add_f32_e32 v10, v6, v7
	s_nop 0
	v_cndmask_b32_e32 v11, 0, v11, vcc
	v_cmp_nlt_f32_e32 vcc, s33, v8
	s_nop 1
	v_cndmask_b32_e32 v8, v214, v11, vcc
	v_mul_f32_e32 v11, 0x3fb8aa3b, v9
	v_fma_f32 v12, v9, s47, -v11
	v_rndne_f32_e32 v13, v11
	v_fmac_f32_e32 v12, 0x32a5705f, v9
	v_sub_f32_e32 v11, v11, v13
	v_add_f32_e32 v11, v11, v12
	v_exp_f32_e32 v11, v11
	v_cvt_i32_f32_e32 v12, v13
	v_cmp_ngt_f32_e32 vcc, s2, v9
	v_add_f32_e32 v10, v8, v10
	v_ldexp_f32 v11, v11, v12
	v_cndmask_b32_e32 v11, 0, v11, vcc
	v_cmp_nlt_f32_e32 vcc, s33, v9
	s_nop 1
	v_cndmask_b32_e32 v9, v214, v11, vcc
	v_mul_f32_e32 v11, 0x3fb8aa3b, v5
	v_fma_f32 v12, v5, s47, -v11
	v_rndne_f32_e32 v13, v11
	v_fmac_f32_e32 v12, 0x32a5705f, v5
	v_sub_f32_e32 v11, v11, v13
	v_add_f32_e32 v11, v11, v12
	v_exp_f32_e32 v11, v11
	v_cvt_i32_f32_e32 v12, v13
	v_cmp_ngt_f32_e32 vcc, s2, v5
	v_add_f32_e32 v10, v9, v10
	v_ldexp_f32 v11, v11, v12
	v_cndmask_b32_e32 v11, 0, v11, vcc
	v_cmp_nlt_f32_e32 vcc, s33, v5
	s_nop 1
	v_cndmask_b32_e32 v37, v214, v11, vcc
	v_add_f32_e32 v5, v37, v10
	v_mul_f32_e32 v10, 0x3fb8aa3b, v4
	v_fma_f32 v11, v4, s47, -v10
	v_rndne_f32_e32 v12, v10
	v_fmac_f32_e32 v11, 0x32a5705f, v4
	v_sub_f32_e32 v10, v10, v12
	v_add_f32_e32 v10, v10, v11
	v_exp_f32_e32 v10, v10
	v_cvt_i32_f32_e32 v11, v12
	v_cmp_ngt_f32_e32 vcc, s2, v4
	v_ldexp_f32 v10, v10, v11
	s_nop 0
	v_cndmask_b32_e32 v10, 0, v10, vcc
	v_cmp_nlt_f32_e32 vcc, s33, v4
	s_nop 1
	v_cndmask_b32_e32 v40, v214, v10, vcc
	v_add_f32_e32 v4, v40, v5
	v_mul_f32_e32 v5, 0x3fb8aa3b, v3
	v_fma_f32 v10, v3, s47, -v5
	v_rndne_f32_e32 v11, v5
	v_fmac_f32_e32 v10, 0x32a5705f, v3
	v_sub_f32_e32 v5, v5, v11
	v_add_f32_e32 v5, v5, v10
	v_exp_f32_e32 v5, v5
	v_cvt_i32_f32_e32 v10, v11
	v_cmp_ngt_f32_e32 vcc, s2, v3
	v_ldexp_f32 v5, v5, v10
	s_nop 0
	;; [unrolled: 16-line block ×3, first 2 shown]
	v_cndmask_b32_e32 v4, 0, v4, vcc
	v_cmp_nlt_f32_e32 vcc, s33, v2
	v_sub_f32_e32 v2, v103, v20
	s_nop 0
	v_cndmask_b32_e32 v44, v214, v4, vcc
	v_add_f32_e32 v25, v44, v3
	v_mul_f32_e32 v3, 0x3fb8aa3b, v2
	v_fma_f32 v4, v2, s47, -v3
	v_rndne_f32_e32 v5, v3
	v_fmac_f32_e32 v4, 0x32a5705f, v2
	v_sub_f32_e32 v3, v3, v5
	v_add_f32_e32 v3, v3, v4
	v_exp_f32_e32 v3, v3
	v_cvt_i32_f32_e32 v4, v5
	v_cmp_ngt_f32_e32 vcc, s2, v2
	v_ldexp_f32 v3, v3, v4
	s_nop 0
	v_cndmask_b32_e32 v3, 0, v3, vcc
	v_cmp_nlt_f32_e32 vcc, s33, v2
	v_lshl_add_u64 v[4:5], v[64:65], 2, s[10:11]
	s_nop 0
	v_cndmask_b32_e32 v3, v214, v3, vcc
	v_cmp_le_f32_e32 vcc, s8, v2
	s_nop 1
	v_cndmask_b32_e32 v2, 0, v3, vcc
	v_fmac_f32_e32 v25, v105, v2
	v_cvt_f16_f32_e32 v2, v2
	v_mul_u32_u24_e32 v2, 0x10001, v2
	v_pk_mul_f16 v19, v19, v2
	v_pk_mul_f16 v18, v18, v2
	v_pk_mul_f16 v36, v23, v2
	v_pk_mul_f16 v32, v22, v2
	v_pk_mul_f16 v29, v27, v2
	v_pk_mul_f16 v28, v26, v2
	v_pk_mul_f16 v11, v31, v2
	v_pk_mul_f16 v10, v30, v2
	v_pk_mul_f16 v13, v35, v2
	v_pk_mul_f16 v12, v34, v2
	v_pk_mul_f16 v15, v39, v2
	v_pk_mul_f16 v14, v38, v2
	v_pk_mul_f16 v17, v43, v2
	v_pk_mul_f16 v16, v42, v2
	v_pk_mul_f16 v34, v132, v2
	v_pk_mul_f16 v33, v133, v2
	v_lshl_add_u64 v[2:3], v[62:63], 2, s[10:11]
	v_lshl_add_u64 v[22:23], v[4:5], 0, v[50:51]
	;; [unrolled: 1-line block ×7, first 2 shown]
	global_load_dwordx4 v[2:5], v[2:3], off
	v_cvt_f32_f16_e32 v42, v10
	v_cvt_f32_f16_sdwa v43, v10 dst_sel:DWORD dst_unused:UNUSED_PAD src0_sel:WORD_1
	v_cvt_f32_f16_e32 v130, v13
	v_cvt_f32_f16_sdwa v131, v13 dst_sel:DWORD dst_unused:UNUSED_PAD src0_sel:WORD_1
	;; [unrolled: 2-line block ×3, first 2 shown]
	s_cselect_b64 s[10:11], -1, 0
	s_and_b64 s[14:15], s[0:1], s[10:11]
	s_waitcnt vmcnt(0)
	ds_write_b128 v154, v[2:5]
	global_load_dwordx4 v[2:5], v[22:23], off
	s_waitcnt vmcnt(0)
	ds_write_b128 v184, v[2:5]
	global_load_dwordx4 v[2:5], v[26:27], off
	;; [unrolled: 3-line block ×3, first 2 shown]
	s_waitcnt vmcnt(0)
	ds_write_b128 v186, v[2:5]
	s_waitcnt lgkmcnt(0)
	s_barrier
	ds_read_u16 v22, v152 offset:272
	ds_read_u16 v23, v152 offset:544
	v_cvt_f32_f16_e32 v4, v18
	v_cvt_f32_f16_sdwa v5, v18 dst_sel:DWORD dst_unused:UNUSED_PAD src0_sel:WORD_1
	ds_read_u16 v18, v153
	ds_read_u16 v27, v153 offset:32
	v_cvt_f32_f16_e32 v2, v19
	v_cvt_f32_f16_sdwa v3, v19 dst_sel:DWORD dst_unused:UNUSED_PAD src0_sel:WORD_1
	s_waitcnt lgkmcnt(1)
	v_perm_b32 v19, v18, v23, s9
	ds_read_u16 v18, v152
	ds_read_u16 v35, v152 offset:32
	v_cvt_pk_f16_f32 v23, v8, v9
	s_waitcnt lgkmcnt(1)
	v_perm_b32 v18, v22, v18, s9
	v_cvt_pk_f16_f32 v22, v6, v7
	ds_read_u16 v6, v152 offset:8704
	ds_read_u16 v8, v152 offset:8976
	ds_read_u16 v7, v152 offset:9248
	ds_read_u16 v9, v153 offset:8704
	v_mfma_f32_16x16x16_f16 v[2:5], v[18:19], v[22:23], v[2:5]
	s_waitcnt lgkmcnt(2)
	v_perm_b32 v6, v8, v6, s9
	s_waitcnt lgkmcnt(0)
	v_perm_b32 v7, v9, v7, s9
	v_cvt_pk_f16_f32 v19, v41, v44
	s_nop 2
	v_cvt_f16_f32_e32 v2, v2
	v_cvt_f16_f32_e32 v3, v3
	;; [unrolled: 1-line block ×4, first 2 shown]
	v_cvt_f32_f16_e32 v2, v2
	v_cvt_f32_f16_e32 v3, v3
	;; [unrolled: 1-line block ×4, first 2 shown]
	v_cvt_pk_f16_f32 v18, v37, v40
	ds_read_u16 v8, v152 offset:304
	ds_read_u16 v9, v152 offset:576
	v_mfma_f32_16x16x16_f16 v[2:5], v[6:7], v[18:19], v[2:5]
	v_cvt_f32_f16_e32 v6, v32
	s_waitcnt lgkmcnt(1)
	v_perm_b32 v8, v8, v35, s9
	s_waitcnt lgkmcnt(0)
	v_perm_b32 v9, v27, v9, s9
	v_cvt_f32_f16_sdwa v7, v32 dst_sel:DWORD dst_unused:UNUSED_PAD src0_sel:WORD_1
	s_nop 1
	v_cvt_f16_f32_e32 v4, v4
	v_cvt_f16_f32_e32 v5, v5
	v_cvt_f32_f16_e32 v40, v11
	v_cvt_f32_f16_sdwa v41, v11 dst_sel:DWORD dst_unused:UNUSED_PAD src0_sel:WORD_1
	v_cvt_f16_f32_e32 v30, v2
	v_perm_b32 v26, v5, v4, s9
	v_cvt_f32_f16_e32 v4, v36
	v_cvt_f32_f16_sdwa v5, v36 dst_sel:DWORD dst_unused:UNUSED_PAD src0_sel:WORD_1
	v_cvt_f16_f32_e32 v31, v3
	v_perm_b32 v30, v31, v30, s9
	v_mfma_f32_16x16x16_f16 v[4:7], v[8:9], v[22:23], v[4:7]
	ds_read_u16 v8, v152 offset:8736
	ds_read_u16 v27, v152 offset:9008
	ds_read_u16 v9, v152 offset:9280
	ds_read_u16 v32, v153 offset:8736
	s_waitcnt lgkmcnt(2)
	v_perm_b32 v8, v27, v8, s9
	s_nop 1
	v_cvt_f16_f32_e32 v4, v4
	v_cvt_f16_f32_e32 v5, v5
	;; [unrolled: 1-line block ×4, first 2 shown]
	s_waitcnt lgkmcnt(0)
	v_perm_b32 v9, v32, v9, s9
	v_cvt_f32_f16_e32 v4, v4
	v_cvt_f32_f16_e32 v5, v5
	;; [unrolled: 1-line block ×4, first 2 shown]
	ds_read_u16 v32, v152 offset:64
	ds_read_u16 v37, v152 offset:336
	;; [unrolled: 1-line block ×4, first 2 shown]
	v_mfma_f32_16x16x16_f16 v[4:7], v[8:9], v[18:19], v[4:7]
	v_cvt_f32_f16_e32 v8, v28
	v_cvt_f32_f16_sdwa v9, v28 dst_sel:DWORD dst_unused:UNUSED_PAD src0_sel:WORD_1
	s_waitcnt lgkmcnt(2)
	v_perm_b32 v28, v37, v32, s9
	s_nop 3
	v_cvt_f16_f32_e32 v6, v6
	v_cvt_f16_f32_e32 v7, v7
	;; [unrolled: 1-line block ×4, first 2 shown]
	v_perm_b32 v27, v7, v6, s9
	v_cvt_f32_f16_e32 v6, v29
	v_cvt_f32_f16_sdwa v7, v29 dst_sel:DWORD dst_unused:UNUSED_PAD src0_sel:WORD_1
	s_waitcnt lgkmcnt(0)
	v_perm_b32 v29, v39, v38, s9
	v_perm_b32 v35, v36, v35, s9
	s_nop 0
	v_mfma_f32_16x16x16_f16 v[6:9], v[28:29], v[22:23], v[6:9]
	ds_read_u16 v28, v152 offset:8768
	ds_read_u16 v32, v152 offset:9040
	;; [unrolled: 1-line block ×4, first 2 shown]
	s_nop 3
	v_cvt_f16_f32_e32 v6, v6
	v_cvt_f16_f32_e32 v7, v7
	;; [unrolled: 1-line block ×4, first 2 shown]
	s_waitcnt lgkmcnt(0)
	v_perm_b32 v29, v37, v29, s9
	v_perm_b32 v28, v32, v28, s9
	v_cvt_f32_f16_e32 v6, v6
	v_cvt_f32_f16_e32 v7, v7
	;; [unrolled: 1-line block ×4, first 2 shown]
	s_nop 1
	v_mfma_f32_16x16x16_f16 v[6:9], v[28:29], v[18:19], v[6:9]
	s_nop 7
	v_cvt_f16_f32_e32 v8, v8
	v_cvt_f16_f32_e32 v9, v9
	;; [unrolled: 1-line block ×4, first 2 shown]
	v_perm_b32 v28, v9, v8, s9
	ds_read_u16 v8, v152 offset:96
	ds_read_u16 v29, v152 offset:368
	;; [unrolled: 1-line block ×4, first 2 shown]
	s_waitcnt lgkmcnt(2)
	v_perm_b32 v8, v29, v8, s9
	s_waitcnt lgkmcnt(0)
	v_perm_b32 v9, v32, v9, s9
	s_nop 1
	v_mfma_f32_16x16x16_f16 v[8:11], v[8:9], v[22:23], v[40:43]
	ds_read_u16 v29, v152 offset:8800
	ds_read_u16 v32, v152 offset:9072
	;; [unrolled: 1-line block ×4, first 2 shown]
	s_nop 3
	v_cvt_f16_f32_e32 v8, v8
	v_cvt_f16_f32_e32 v9, v9
	;; [unrolled: 1-line block ×4, first 2 shown]
	s_waitcnt lgkmcnt(0)
	v_perm_b32 v41, v40, v37, s9
	v_perm_b32 v40, v32, v29, s9
	v_cvt_f32_f16_e32 v8, v8
	v_cvt_f32_f16_e32 v9, v9
	;; [unrolled: 1-line block ×4, first 2 shown]
	s_nop 1
	v_mfma_f32_16x16x16_f16 v[8:11], v[40:41], v[18:19], v[8:11]
	s_nop 7
	v_cvt_f16_f32_e32 v10, v10
	v_cvt_f16_f32_e32 v11, v11
	;; [unrolled: 1-line block ×4, first 2 shown]
	v_perm_b32 v29, v11, v10, s9
	ds_read_u16 v10, v152 offset:128
	ds_read_u16 v32, v152 offset:400
	;; [unrolled: 1-line block ×4, first 2 shown]
	s_waitcnt lgkmcnt(2)
	v_perm_b32 v10, v32, v10, s9
	s_waitcnt lgkmcnt(0)
	v_perm_b32 v11, v37, v11, s9
	ds_read_u16 v32, v152 offset:8832
	ds_read_u16 v37, v152 offset:9104
	;; [unrolled: 1-line block ×4, first 2 shown]
	v_mfma_f32_16x16x16_f16 v[10:13], v[10:11], v[22:23], v[130:133]
	s_waitcnt lgkmcnt(0)
	v_perm_b32 v45, v43, v40, s9
	v_perm_b32 v44, v37, v32, s9
	v_cvt_f32_f16_e32 v130, v15
	s_nop 3
	v_cvt_f16_f32_e32 v10, v10
	v_cvt_f16_f32_e32 v11, v11
	;; [unrolled: 1-line block ×4, first 2 shown]
	v_cvt_f32_f16_e32 v10, v10
	v_cvt_f32_f16_e32 v11, v11
	;; [unrolled: 1-line block ×4, first 2 shown]
	v_cvt_f32_f16_sdwa v131, v15 dst_sel:DWORD dst_unused:UNUSED_PAD src0_sel:WORD_1
	v_cvt_f32_f16_e32 v132, v14
	v_mfma_f32_16x16x16_f16 v[10:13], v[44:45], v[18:19], v[10:13]
	v_cvt_f32_f16_sdwa v133, v14 dst_sel:DWORD dst_unused:UNUSED_PAD src0_sel:WORD_1
	s_nop 6
	v_cvt_f16_f32_e32 v12, v12
	v_cvt_f16_f32_e32 v13, v13
	;; [unrolled: 1-line block ×4, first 2 shown]
	v_perm_b32 v32, v13, v12, s9
	ds_read_u16 v12, v152 offset:160
	ds_read_u16 v37, v152 offset:432
	;; [unrolled: 1-line block ×4, first 2 shown]
	s_waitcnt lgkmcnt(2)
	v_perm_b32 v12, v37, v12, s9
	s_waitcnt lgkmcnt(0)
	v_perm_b32 v13, v40, v13, s9
	ds_read_u16 v37, v152 offset:8864
	ds_read_u16 v40, v152 offset:9136
	;; [unrolled: 1-line block ×4, first 2 shown]
	v_mfma_f32_16x16x16_f16 v[12:15], v[12:13], v[22:23], v[130:133]
	s_waitcnt lgkmcnt(0)
	s_nop 1
	v_perm_b32 v131, v50, v45, s9
	v_perm_b32 v130, v40, v37, s9
	v_cvt_f32_f16_e32 v132, v16
	s_nop 1
	v_cvt_f16_f32_e32 v12, v12
	v_cvt_f16_f32_e32 v13, v13
	;; [unrolled: 1-line block ×4, first 2 shown]
	v_cvt_f32_f16_e32 v12, v12
	v_cvt_f32_f16_e32 v13, v13
	;; [unrolled: 1-line block ×4, first 2 shown]
	v_cvt_f32_f16_sdwa v133, v16 dst_sel:DWORD dst_unused:UNUSED_PAD src0_sel:WORD_1
	s_nop 0
	v_mfma_f32_16x16x16_f16 v[12:15], v[130:131], v[18:19], v[12:15]
	v_cvt_f32_f16_e32 v130, v17
	v_cvt_f32_f16_sdwa v131, v17 dst_sel:DWORD dst_unused:UNUSED_PAD src0_sel:WORD_1
	s_nop 5
	v_cvt_f16_f32_e32 v14, v14
	v_cvt_f16_f32_e32 v15, v15
	;; [unrolled: 1-line block ×4, first 2 shown]
	v_perm_b32 v37, v15, v14, s9
	ds_read_u16 v14, v152 offset:192
	ds_read_u16 v40, v152 offset:464
	;; [unrolled: 1-line block ×4, first 2 shown]
	s_waitcnt lgkmcnt(2)
	v_perm_b32 v14, v40, v14, s9
	s_waitcnt lgkmcnt(0)
	v_perm_b32 v15, v103, v15, s9
	ds_read_u16 v40, v152 offset:8896
	ds_read_u16 v103, v152 offset:9168
	;; [unrolled: 1-line block ×4, first 2 shown]
	v_mfma_f32_16x16x16_f16 v[14:17], v[14:15], v[22:23], v[130:133]
	s_waitcnt lgkmcnt(0)
	s_nop 1
	v_perm_b32 v131, v107, v105, s9
	v_perm_b32 v130, v103, v40, s9
	v_cvt_f32_f16_e32 v132, v33
	s_nop 1
	v_cvt_f16_f32_e32 v14, v14
	v_cvt_f16_f32_e32 v15, v15
	;; [unrolled: 1-line block ×4, first 2 shown]
	v_cvt_f32_f16_e32 v14, v14
	v_cvt_f32_f16_e32 v15, v15
	;; [unrolled: 1-line block ×4, first 2 shown]
	v_cvt_f32_f16_sdwa v133, v33 dst_sel:DWORD dst_unused:UNUSED_PAD src0_sel:WORD_1
	s_nop 0
	v_mfma_f32_16x16x16_f16 v[14:17], v[130:131], v[18:19], v[14:17]
	v_cvt_f32_f16_e32 v130, v34
	v_cvt_f32_f16_sdwa v131, v34 dst_sel:DWORD dst_unused:UNUSED_PAD src0_sel:WORD_1
	s_nop 5
	v_cvt_f16_f32_e32 v16, v16
	v_cvt_f16_f32_e32 v17, v17
	;; [unrolled: 1-line block ×4, first 2 shown]
	v_perm_b32 v40, v17, v16, s9
	ds_read_u16 v16, v152 offset:224
	ds_read_u16 v107, v152 offset:496
	;; [unrolled: 1-line block ×4, first 2 shown]
	s_waitcnt lgkmcnt(2)
	v_perm_b32 v16, v107, v16, s9
	s_waitcnt lgkmcnt(0)
	v_perm_b32 v17, v109, v17, s9
	s_nop 1
	v_mfma_f32_16x16x16_f16 v[130:133], v[16:17], v[22:23], v[130:133]
	ds_read_u16 v16, v152 offset:8928
	ds_read_u16 v17, v152 offset:9200
	;; [unrolled: 1-line block ×4, first 2 shown]
	s_waitcnt lgkmcnt(0)
	s_barrier
	s_nop 1
	v_cvt_f16_f32_e32 v22, v130
	v_cvt_f16_f32_e32 v23, v131
	v_cvt_f16_f32_e32 v33, v132
	v_cvt_f16_f32_e32 v34, v133
	v_cvt_f32_f16_e32 v130, v22
	v_cvt_f32_f16_e32 v131, v23
	v_perm_b32 v23, v109, v107, s9
	v_perm_b32 v22, v17, v16, s9
	v_cvt_f32_f16_e32 v132, v33
	v_cvt_f32_f16_e32 v133, v34
	v_perm_b32 v33, v42, v41, s9
	v_perm_b32 v34, v39, v38, s9
	v_mfma_f32_16x16x16_f16 v[16:19], v[22:23], v[18:19], v[130:133]
	s_nop 7
	v_cvt_f16_f32_e32 v18, v18
	v_cvt_f16_f32_e32 v19, v19
	;; [unrolled: 1-line block ×4, first 2 shown]
	v_perm_b32 v18, v19, v18, s9
	ds_bpermute_b32 v19, v21, v25
	s_waitcnt lgkmcnt(0)
	v_add_f32_e32 v19, v25, v19
	ds_bpermute_b32 v21, v24, v19
	v_perm_b32 v25, v44, v43, s9
	s_waitcnt lgkmcnt(0)
	v_add_f32_e32 v21, v19, v21
	v_perm_b32 v19, v23, v22, s9
	v_perm_b32 v22, v105, v103, s9
	;; [unrolled: 1-line block ×3, first 2 shown]
	s_and_saveexec_b64 s[10:11], s[14:15]
	s_cbranch_execz .LBB24_58
; %bb.57:                               ;   in Loop: Header=BB24_12 Depth=1
	v_cvt_pk_f16_f32 v3, v2, v3
	v_lshlrev_b32_e32 v2, 2, v98
	v_cvt_pk_f16_f32 v4, v4, v5
	v_cvt_pk_f16_f32 v5, v6, v7
	;; [unrolled: 1-line block ×3, first 2 shown]
	global_load_dword v11, v2, s[76:77]
	v_cvt_pk_f16_f32 v6, v8, v9
	v_cvt_pk_f16_f32 v8, v12, v13
	v_max_f32_e32 v12, v20, v20
	v_cvt_pk_f16_f32 v9, v14, v15
	v_cvt_pk_f16_f32 v10, v16, v17
	s_waitcnt vmcnt(0)
	v_max_f32_e32 v2, v11, v11
	v_max_f32_e32 v2, v12, v2
	v_sub_f32_e32 v12, v20, v2
	v_mul_f32_e32 v13, 0x3fb8aa3b, v12
	v_fma_f32 v14, v12, s47, -v13
	v_rndne_f32_e32 v15, v13
	v_fmac_f32_e32 v14, 0x32a5705f, v12
	v_sub_f32_e32 v13, v13, v15
	v_add_f32_e32 v13, v13, v14
	v_exp_f32_e32 v13, v13
	v_cvt_i32_f32_e32 v14, v15
	v_cmp_ngt_f32_e32 vcc, s2, v12
	v_sub_f32_e32 v11, v11, v2
	v_ldexp_f32 v13, v13, v14
	v_cndmask_b32_e32 v13, 0, v13, vcc
	v_cmp_nlt_f32_e32 vcc, s33, v12
	s_nop 1
	v_cndmask_b32_e32 v13, v214, v13, vcc
	v_cmp_le_f32_e32 vcc, s8, v12
	s_nop 1
	v_cndmask_b32_e32 v12, 0, v13, vcc
	v_cvt_f16_f32_e32 v13, v12
	v_cmp_ngt_f32_e32 vcc, s2, v11
	v_mul_u32_u24_e32 v13, 0x10001, v13
	v_pk_mul_f16 v30, v3, v13
	v_mul_f32_e32 v3, 0x3fb8aa3b, v11
	v_pk_mul_f16 v35, v4, v13
	v_pk_mul_f16 v34, v5, v13
	v_fma_f32 v4, v11, s47, -v3
	v_rndne_f32_e32 v5, v3
	v_fmac_f32_e32 v4, 0x32a5705f, v11
	v_sub_f32_e32 v3, v3, v5
	v_add_f32_e32 v3, v3, v4
	v_exp_f32_e32 v3, v3
	v_cvt_i32_f32_e32 v4, v5
	v_pk_mul_f16 v26, v26, v13
	v_pk_mul_f16 v27, v27, v13
	;; [unrolled: 1-line block ×3, first 2 shown]
	v_ldexp_f32 v3, v3, v4
	v_cndmask_b32_e32 v3, 0, v3, vcc
	v_cmp_nlt_f32_e32 vcc, s33, v11
	v_pk_mul_f16 v33, v6, v13
	v_pk_mul_f16 v29, v29, v13
	v_cndmask_b32_e32 v3, v214, v3, vcc
	v_fmac_f32_e32 v3, v21, v12
	v_pk_mul_f16 v25, v7, v13
	v_pk_mul_f16 v32, v32, v13
	v_pk_mul_f16 v23, v8, v13
	v_pk_mul_f16 v37, v37, v13
	v_pk_mul_f16 v22, v9, v13
	v_pk_mul_f16 v40, v40, v13
	v_pk_mul_f16 v19, v10, v13
	v_pk_mul_f16 v18, v18, v13
	v_mov_b64_e32 v[20:21], v[2:3]
.LBB24_58:                              ;   in Loop: Header=BB24_12 Depth=1
	s_or_b64 exec, exec, s[10:11]
	s_and_saveexec_b64 s[10:11], s[6:7]
; %bb.59:                               ;   in Loop: Header=BB24_12 Depth=1
	v_add_u32_e32 v2, 0, v159
	ds_write2_b32 v2, v20, v21 offset0:64 offset1:65
; %bb.60:                               ;   in Loop: Header=BB24_12 Depth=1
	s_or_b64 exec, exec, s[10:11]
	s_waitcnt lgkmcnt(0)
	s_barrier
	s_and_saveexec_b64 s[10:11], s[12:13]
	s_xor_b64 s[10:11], exec, s[10:11]
	s_cbranch_execz .LBB24_62
; %bb.61:                               ;   in Loop: Header=BB24_12 Depth=1
	s_barrier
                                        ; implicit-def: $vgpr24
.LBB24_62:                              ;   in Loop: Header=BB24_12 Depth=1
	s_andn2_saveexec_b64 s[10:11], s[10:11]
	s_cbranch_execz .LBB24_68
; %bb.63:                               ;   in Loop: Header=BB24_12 Depth=1
	v_add_u32_e32 v3, 0, v160
	ds_read_b64 v[6:7], v3 offset:256
	s_waitcnt lgkmcnt(0)
	s_barrier
	ds_bpermute_b32 v2, v24, v6
	v_max_f32_e32 v4, v6, v6
	s_waitcnt lgkmcnt(0)
	v_max_f32_e32 v2, v2, v2
	v_max_f32_e32 v2, v4, v2
	v_sub_f32_e32 v4, v6, v2
	v_mul_f32_e32 v5, 0x3fb8aa3b, v4
	v_fma_f32 v6, v4, s47, -v5
	v_rndne_f32_e32 v8, v5
	v_fmac_f32_e32 v6, 0x32a5705f, v4
	v_sub_f32_e32 v5, v5, v8
	v_add_f32_e32 v5, v5, v6
	v_cvt_i32_f32_e32 v8, v8
	v_exp_f32_e32 v5, v5
	v_cmp_ngt_f32_e32 vcc, s2, v4
	v_ldexp_f32 v5, v5, v8
	s_nop 0
	v_cndmask_b32_e32 v5, 0, v5, vcc
	v_cmp_nlt_f32_e32 vcc, s33, v4
	s_nop 1
	v_cndmask_b32_e32 v4, v214, v5, vcc
	v_mul_f32_e32 v5, v7, v4
	ds_bpermute_b32 v5, v24, v5
	s_waitcnt lgkmcnt(0)
	v_fmac_f32_e32 v5, v7, v4
	s_mov_b64 s[14:15], exec
	v_readlane_b32 s84, v228, 12
	v_readlane_b32 s85, v228, 13
	s_and_b64 s[84:85], s[14:15], s[84:85]
	s_mov_b64 exec, s[84:85]
; %bb.64:                               ;   in Loop: Header=BB24_12 Depth=1
	ds_write_b64 v3, v[4:5] offset:256
; %bb.65:                               ;   in Loop: Header=BB24_12 Depth=1
	s_or_b64 exec, exec, s[14:15]
	s_and_saveexec_b64 s[14:15], s[6:7]
	s_cbranch_execz .LBB24_67
; %bb.66:                               ;   in Loop: Header=BB24_12 Depth=1
	v_mov_b32_e32 v3, v5
	global_store_dwordx2 v[70:71], v[2:3], off
.LBB24_67:                              ;   in Loop: Header=BB24_12 Depth=1
	s_or_b64 exec, exec, s[14:15]
.LBB24_68:                              ;   in Loop: Header=BB24_12 Depth=1
	s_or_b64 exec, exec, s[10:11]
	v_add_u32_e32 v2, v155, v161
	ds_write2_b32 v2, v30, v26 offset1:1
	ds_write2_b32 v2, v35, v27 offset0:8 offset1:9
	ds_write2_b32 v2, v34, v28 offset0:16 offset1:17
	;; [unrolled: 1-line block ×7, first 2 shown]
	s_waitcnt lgkmcnt(0)
	s_barrier
	s_and_saveexec_b64 s[84:85], s[0:1]
	s_cbranch_execz .LBB24_146
; %bb.69:                               ;   in Loop: Header=BB24_12 Depth=1
	v_add_u32_e32 v3, s53, v200
	v_or_b32_e32 v2, s88, v110
	v_cmp_gt_i32_e64 s[10:11], s36, v3
	v_cmp_gt_i32_e32 vcc, s3, v2
	s_and_b64 s[14:15], s[10:11], vcc
	v_mov_b32_e32 v2, 0x47
	s_and_saveexec_b64 s[10:11], s[14:15]
	s_cbranch_execz .LBB24_71
; %bb.70:                               ;   in Loop: Header=BB24_12 Depth=1
	v_mad_u64_u32 v[2:3], s[14:15], v3, s37, v[110:111]
	v_add_u32_e32 v3, 0, v162
	ds_read2st64_b32 v[4:5], v3 offset0:1 offset1:18
	v_add_u32_e32 v3, v182, v162
	ds_read2st64_b32 v[6:7], v3 offset1:17
	v_lshl_add_u32 v2, v2, 6, v46
	v_ashrrev_i32_e32 v3, 31, v2
	v_lshl_add_u64 v[2:3], v[2:3], 3, s[74:75]
	s_waitcnt lgkmcnt(0)
	v_cvt_f32_f16_e32 v8, v6
	v_cvt_f32_f16_sdwa v9, v6 dst_sel:DWORD dst_unused:UNUSED_PAD src0_sel:WORD_1
	v_cvt_f32_f16_e32 v6, v7
	v_cvt_f32_f16_sdwa v7, v7 dst_sel:DWORD dst_unused:UNUSED_PAD src0_sel:WORD_1
	v_pk_fma_f32 v[8:9], v[4:5], v[8:9], 0 op_sel_hi:[0,1,0]
	v_mov_b32_e32 v4, v5
	v_pk_fma_f32 v[4:5], v[4:5], v[6:7], v[8:9] op_sel_hi:[0,1,1]
	global_store_dwordx2 v[2:3], v[4:5], off
	v_mov_b32_e32 v2, 0
.LBB24_71:                              ;   in Loop: Header=BB24_12 Depth=1
	s_or_b64 exec, exec, s[10:11]
	s_movk_i32 s10, 0x47
	v_cmp_gt_i32_e64 s[10:11], s10, v2
	s_mov_b64 s[14:15], -1
	s_and_saveexec_b64 s[86:87], s[10:11]
; %bb.72:                               ;   in Loop: Header=BB24_12 Depth=1
	v_cmp_eq_u32_e64 s[10:11], 0, v2
	s_orn2_b64 s[14:15], s[10:11], exec
; %bb.73:                               ;   in Loop: Header=BB24_12 Depth=1
	s_or_b64 exec, exec, s[86:87]
	s_and_b64 exec, exec, s[14:15]
	s_cbranch_execz .LBB24_146
; %bb.74:                               ;   in Loop: Header=BB24_12 Depth=1
	v_add_u32_e32 v3, s53, v201
	v_or_b32_e32 v2, s88, v74
	v_cmp_gt_i32_e64 s[10:11], s36, v3
	v_cmp_gt_i32_e64 s[14:15], s3, v2
	s_and_b64 s[14:15], s[10:11], s[14:15]
	v_mov_b32_e32 v2, 0x47
	s_and_saveexec_b64 s[10:11], s[14:15]
	s_cbranch_execz .LBB24_76
; %bb.75:                               ;   in Loop: Header=BB24_12 Depth=1
	v_mad_u64_u32 v[2:3], s[14:15], v3, s37, v[74:75]
	v_add_u32_e32 v3, 0, v163
	ds_read2st64_b32 v[4:5], v3 offset0:1 offset1:18
	v_add_u32_e32 v3, v182, v163
	ds_read2st64_b32 v[6:7], v3 offset1:17
	v_lshl_add_u32 v2, v2, 6, v46
	v_ashrrev_i32_e32 v3, 31, v2
	v_lshl_add_u64 v[2:3], v[2:3], 3, s[74:75]
	s_waitcnt lgkmcnt(0)
	v_cvt_f32_f16_e32 v8, v6
	v_cvt_f32_f16_sdwa v9, v6 dst_sel:DWORD dst_unused:UNUSED_PAD src0_sel:WORD_1
	v_cvt_f32_f16_e32 v6, v7
	v_cvt_f32_f16_sdwa v7, v7 dst_sel:DWORD dst_unused:UNUSED_PAD src0_sel:WORD_1
	v_pk_fma_f32 v[8:9], v[4:5], v[8:9], 0 op_sel_hi:[0,1,0]
	v_mov_b32_e32 v4, v5
	v_pk_fma_f32 v[4:5], v[4:5], v[6:7], v[8:9] op_sel_hi:[0,1,1]
	global_store_dwordx2 v[2:3], v[4:5], off
	v_mov_b32_e32 v2, 0
.LBB24_76:                              ;   in Loop: Header=BB24_12 Depth=1
	s_or_b64 exec, exec, s[10:11]
	s_movk_i32 s10, 0x47
	v_cmp_gt_i32_e64 s[10:11], s10, v2
	s_mov_b64 s[14:15], -1
	s_and_saveexec_b64 s[86:87], s[10:11]
; %bb.77:                               ;   in Loop: Header=BB24_12 Depth=1
	v_cmp_eq_u32_e64 s[10:11], 0, v2
	s_orn2_b64 s[14:15], s[10:11], exec
; %bb.78:                               ;   in Loop: Header=BB24_12 Depth=1
	s_or_b64 exec, exec, s[86:87]
	s_and_b64 exec, exec, s[14:15]
	s_cbranch_execz .LBB24_146
; %bb.79:                               ;   in Loop: Header=BB24_12 Depth=1
	v_add_u32_e32 v3, s53, v202
	v_or_b32_e32 v2, s88, v76
	v_cmp_gt_i32_e64 s[10:11], s36, v3
	v_cmp_gt_i32_e64 s[14:15], s3, v2
	s_and_b64 s[14:15], s[10:11], s[14:15]
	;; [unrolled: 41-line block ×3, first 2 shown]
	v_mov_b32_e32 v2, 0x47
	s_and_saveexec_b64 s[10:11], s[14:15]
	s_cbranch_execz .LBB24_86
; %bb.85:                               ;   in Loop: Header=BB24_12 Depth=1
	v_mad_u64_u32 v[2:3], s[14:15], v3, s37, v[78:79]
	v_add_u32_e32 v3, 0, v165
	ds_read2st64_b32 v[4:5], v3 offset0:1 offset1:18
	v_add_u32_e32 v3, v182, v165
	ds_read2st64_b32 v[6:7], v3 offset1:17
	v_lshl_add_u32 v2, v2, 6, v46
	v_ashrrev_i32_e32 v3, 31, v2
	v_lshl_add_u64 v[2:3], v[2:3], 3, s[74:75]
	s_waitcnt lgkmcnt(0)
	v_cvt_f32_f16_e32 v8, v6
	v_cvt_f32_f16_sdwa v9, v6 dst_sel:DWORD dst_unused:UNUSED_PAD src0_sel:WORD_1
	v_cvt_f32_f16_e32 v6, v7
	v_cvt_f32_f16_sdwa v7, v7 dst_sel:DWORD dst_unused:UNUSED_PAD src0_sel:WORD_1
	v_pk_fma_f32 v[8:9], v[4:5], v[8:9], 0 op_sel_hi:[0,1,0]
	v_mov_b32_e32 v4, v5
	v_pk_fma_f32 v[4:5], v[4:5], v[6:7], v[8:9] op_sel_hi:[0,1,1]
	global_store_dwordx2 v[2:3], v[4:5], off
	v_mov_b32_e32 v2, 0
.LBB24_86:                              ;   in Loop: Header=BB24_12 Depth=1
	s_or_b64 exec, exec, s[10:11]
	s_movk_i32 s10, 0x47
	v_cmp_gt_i32_e64 s[10:11], s10, v2
	s_mov_b64 s[14:15], -1
	s_and_saveexec_b64 s[86:87], s[10:11]
; %bb.87:                               ;   in Loop: Header=BB24_12 Depth=1
	v_cmp_eq_u32_e64 s[10:11], 0, v2
	s_orn2_b64 s[14:15], s[10:11], exec
; %bb.88:                               ;   in Loop: Header=BB24_12 Depth=1
	s_or_b64 exec, exec, s[86:87]
	s_and_b64 exec, exec, s[14:15]
	s_cbranch_execz .LBB24_146
; %bb.89:                               ;   in Loop: Header=BB24_12 Depth=1
	v_add_u32_e32 v3, s53, v166
	v_cmp_gt_i32_e64 s[10:11], s36, v3
	s_and_b64 s[14:15], s[10:11], vcc
	v_mov_b32_e32 v2, 0x47
	s_and_saveexec_b64 s[10:11], s[14:15]
	s_cbranch_execz .LBB24_91
; %bb.90:                               ;   in Loop: Header=BB24_12 Depth=1
	v_mad_u64_u32 v[2:3], s[14:15], v3, s37, v[110:111]
	v_add_u32_e32 v3, 0, v167
	ds_read2st64_b32 v[4:5], v3 offset0:1 offset1:18
	v_add_u32_e32 v3, v182, v167
	ds_read2st64_b32 v[6:7], v3 offset1:17
	v_lshl_add_u32 v2, v2, 6, v46
	v_ashrrev_i32_e32 v3, 31, v2
	v_lshl_add_u64 v[2:3], v[2:3], 3, s[74:75]
	s_waitcnt lgkmcnt(0)
	v_cvt_f32_f16_e32 v8, v6
	v_cvt_f32_f16_sdwa v9, v6 dst_sel:DWORD dst_unused:UNUSED_PAD src0_sel:WORD_1
	v_cvt_f32_f16_e32 v6, v7
	v_cvt_f32_f16_sdwa v7, v7 dst_sel:DWORD dst_unused:UNUSED_PAD src0_sel:WORD_1
	v_pk_fma_f32 v[8:9], v[4:5], v[8:9], 0 op_sel_hi:[0,1,0]
	v_mov_b32_e32 v4, v5
	v_pk_fma_f32 v[4:5], v[4:5], v[6:7], v[8:9] op_sel_hi:[0,1,1]
	global_store_dwordx2 v[2:3], v[4:5], off
	v_mov_b32_e32 v2, 0
.LBB24_91:                              ;   in Loop: Header=BB24_12 Depth=1
	s_or_b64 exec, exec, s[10:11]
	s_movk_i32 s10, 0x47
	v_cmp_gt_i32_e64 s[10:11], s10, v2
	s_mov_b64 s[14:15], -1
	s_and_saveexec_b64 s[86:87], s[10:11]
; %bb.92:                               ;   in Loop: Header=BB24_12 Depth=1
	v_cmp_eq_u32_e64 s[10:11], 0, v2
	s_orn2_b64 s[14:15], s[10:11], exec
; %bb.93:                               ;   in Loop: Header=BB24_12 Depth=1
	s_or_b64 exec, exec, s[86:87]
	s_and_b64 exec, exec, s[14:15]
	s_cbranch_execz .LBB24_146
; %bb.94:                               ;   in Loop: Header=BB24_12 Depth=1
	v_add_u32_e32 v3, s53, v204
	v_or_b32_e32 v2, s88, v80
	v_cmp_gt_i32_e64 s[10:11], s36, v3
	v_cmp_gt_i32_e64 s[14:15], s3, v2
	s_and_b64 s[14:15], s[10:11], s[14:15]
	v_mov_b32_e32 v2, 0x47
	s_and_saveexec_b64 s[10:11], s[14:15]
	s_cbranch_execz .LBB24_96
; %bb.95:                               ;   in Loop: Header=BB24_12 Depth=1
	v_mad_u64_u32 v[2:3], s[14:15], v3, s37, v[80:81]
	v_add_u32_e32 v3, 0, v168
	ds_read2st64_b32 v[4:5], v3 offset0:1 offset1:18
	v_add_u32_e32 v3, v182, v168
	ds_read2st64_b32 v[6:7], v3 offset1:17
	v_lshl_add_u32 v2, v2, 6, v46
	v_ashrrev_i32_e32 v3, 31, v2
	v_lshl_add_u64 v[2:3], v[2:3], 3, s[74:75]
	s_waitcnt lgkmcnt(0)
	v_cvt_f32_f16_e32 v8, v6
	v_cvt_f32_f16_sdwa v9, v6 dst_sel:DWORD dst_unused:UNUSED_PAD src0_sel:WORD_1
	v_cvt_f32_f16_e32 v6, v7
	v_cvt_f32_f16_sdwa v7, v7 dst_sel:DWORD dst_unused:UNUSED_PAD src0_sel:WORD_1
	v_pk_fma_f32 v[8:9], v[4:5], v[8:9], 0 op_sel_hi:[0,1,0]
	v_mov_b32_e32 v4, v5
	v_pk_fma_f32 v[4:5], v[4:5], v[6:7], v[8:9] op_sel_hi:[0,1,1]
	global_store_dwordx2 v[2:3], v[4:5], off
	v_mov_b32_e32 v2, 0
.LBB24_96:                              ;   in Loop: Header=BB24_12 Depth=1
	s_or_b64 exec, exec, s[10:11]
	s_movk_i32 s10, 0x47
	v_cmp_gt_i32_e64 s[10:11], s10, v2
	s_mov_b64 s[14:15], -1
	s_and_saveexec_b64 s[86:87], s[10:11]
; %bb.97:                               ;   in Loop: Header=BB24_12 Depth=1
	v_cmp_eq_u32_e64 s[10:11], 0, v2
	s_orn2_b64 s[14:15], s[10:11], exec
; %bb.98:                               ;   in Loop: Header=BB24_12 Depth=1
	s_or_b64 exec, exec, s[86:87]
	s_and_b64 exec, exec, s[14:15]
	s_cbranch_execz .LBB24_146
; %bb.99:                               ;   in Loop: Header=BB24_12 Depth=1
	v_add_u32_e32 v3, s53, v205
	v_or_b32_e32 v2, s88, v82
	v_cmp_gt_i32_e64 s[10:11], s36, v3
	v_cmp_gt_i32_e64 s[14:15], s3, v2
	s_and_b64 s[14:15], s[10:11], s[14:15]
	v_mov_b32_e32 v2, 0x47
	s_and_saveexec_b64 s[10:11], s[14:15]
	s_cbranch_execz .LBB24_101
; %bb.100:                              ;   in Loop: Header=BB24_12 Depth=1
	v_mad_u64_u32 v[2:3], s[14:15], v3, s37, v[82:83]
	v_add_u32_e32 v3, 0, v169
	ds_read2st64_b32 v[4:5], v3 offset0:1 offset1:18
	v_add_u32_e32 v3, v182, v169
	ds_read2st64_b32 v[6:7], v3 offset1:17
	v_lshl_add_u32 v2, v2, 6, v46
	v_ashrrev_i32_e32 v3, 31, v2
	v_lshl_add_u64 v[2:3], v[2:3], 3, s[74:75]
	s_waitcnt lgkmcnt(0)
	v_cvt_f32_f16_e32 v8, v6
	v_cvt_f32_f16_sdwa v9, v6 dst_sel:DWORD dst_unused:UNUSED_PAD src0_sel:WORD_1
	v_cvt_f32_f16_e32 v6, v7
	v_cvt_f32_f16_sdwa v7, v7 dst_sel:DWORD dst_unused:UNUSED_PAD src0_sel:WORD_1
	v_pk_fma_f32 v[8:9], v[4:5], v[8:9], 0 op_sel_hi:[0,1,0]
	v_mov_b32_e32 v4, v5
	v_pk_fma_f32 v[4:5], v[4:5], v[6:7], v[8:9] op_sel_hi:[0,1,1]
	global_store_dwordx2 v[2:3], v[4:5], off
	v_mov_b32_e32 v2, 0
.LBB24_101:                             ;   in Loop: Header=BB24_12 Depth=1
	s_or_b64 exec, exec, s[10:11]
	s_movk_i32 s10, 0x47
	v_cmp_gt_i32_e64 s[10:11], s10, v2
	s_mov_b64 s[14:15], -1
	s_and_saveexec_b64 s[86:87], s[10:11]
; %bb.102:                              ;   in Loop: Header=BB24_12 Depth=1
	v_cmp_eq_u32_e64 s[10:11], 0, v2
	s_orn2_b64 s[14:15], s[10:11], exec
; %bb.103:                              ;   in Loop: Header=BB24_12 Depth=1
	s_or_b64 exec, exec, s[86:87]
	s_and_b64 exec, exec, s[14:15]
	s_cbranch_execz .LBB24_146
; %bb.104:                              ;   in Loop: Header=BB24_12 Depth=1
	v_add_u32_e32 v3, s53, v206
	v_or_b32_e32 v2, s88, v84
	v_cmp_gt_i32_e64 s[10:11], s36, v3
	v_cmp_gt_i32_e64 s[14:15], s3, v2
	s_and_b64 s[14:15], s[10:11], s[14:15]
	v_mov_b32_e32 v2, 0x47
	s_and_saveexec_b64 s[10:11], s[14:15]
	s_cbranch_execz .LBB24_106
; %bb.105:                              ;   in Loop: Header=BB24_12 Depth=1
	v_mad_u64_u32 v[2:3], s[14:15], v3, s37, v[84:85]
	v_add_u32_e32 v3, 0, v170
	ds_read2st64_b32 v[4:5], v3 offset0:1 offset1:18
	v_add_u32_e32 v3, v182, v170
	ds_read2st64_b32 v[6:7], v3 offset1:17
	v_lshl_add_u32 v2, v2, 6, v46
	v_ashrrev_i32_e32 v3, 31, v2
	v_lshl_add_u64 v[2:3], v[2:3], 3, s[74:75]
	s_waitcnt lgkmcnt(0)
	v_cvt_f32_f16_e32 v8, v6
	v_cvt_f32_f16_sdwa v9, v6 dst_sel:DWORD dst_unused:UNUSED_PAD src0_sel:WORD_1
	v_cvt_f32_f16_e32 v6, v7
	v_cvt_f32_f16_sdwa v7, v7 dst_sel:DWORD dst_unused:UNUSED_PAD src0_sel:WORD_1
	v_pk_fma_f32 v[8:9], v[4:5], v[8:9], 0 op_sel_hi:[0,1,0]
	v_mov_b32_e32 v4, v5
	v_pk_fma_f32 v[4:5], v[4:5], v[6:7], v[8:9] op_sel_hi:[0,1,1]
	global_store_dwordx2 v[2:3], v[4:5], off
	v_mov_b32_e32 v2, 0
.LBB24_106:                             ;   in Loop: Header=BB24_12 Depth=1
	s_or_b64 exec, exec, s[10:11]
	s_movk_i32 s10, 0x47
	v_cmp_gt_i32_e64 s[10:11], s10, v2
	s_mov_b64 s[14:15], -1
	s_and_saveexec_b64 s[86:87], s[10:11]
; %bb.107:                              ;   in Loop: Header=BB24_12 Depth=1
	v_cmp_eq_u32_e64 s[10:11], 0, v2
	s_orn2_b64 s[14:15], s[10:11], exec
; %bb.108:                              ;   in Loop: Header=BB24_12 Depth=1
	s_or_b64 exec, exec, s[86:87]
	s_and_b64 exec, exec, s[14:15]
	s_cbranch_execz .LBB24_146
; %bb.109:                              ;   in Loop: Header=BB24_12 Depth=1
	v_add_u32_e32 v3, s53, v171
	v_cmp_gt_i32_e64 s[10:11], s36, v3
	s_and_b64 s[14:15], s[10:11], vcc
	v_mov_b32_e32 v2, 0x47
	s_and_saveexec_b64 s[10:11], s[14:15]
	s_cbranch_execz .LBB24_111
; %bb.110:                              ;   in Loop: Header=BB24_12 Depth=1
	v_mad_u64_u32 v[2:3], s[14:15], v3, s37, v[110:111]
	v_add_u32_e32 v3, 0, v172
	ds_read2st64_b32 v[4:5], v3 offset0:1 offset1:18
	v_add_u32_e32 v3, v182, v172
	ds_read2st64_b32 v[6:7], v3 offset1:17
	v_lshl_add_u32 v2, v2, 6, v46
	v_ashrrev_i32_e32 v3, 31, v2
	v_lshl_add_u64 v[2:3], v[2:3], 3, s[74:75]
	s_waitcnt lgkmcnt(0)
	v_cvt_f32_f16_e32 v8, v6
	v_cvt_f32_f16_sdwa v9, v6 dst_sel:DWORD dst_unused:UNUSED_PAD src0_sel:WORD_1
	v_cvt_f32_f16_e32 v6, v7
	v_cvt_f32_f16_sdwa v7, v7 dst_sel:DWORD dst_unused:UNUSED_PAD src0_sel:WORD_1
	v_pk_fma_f32 v[8:9], v[4:5], v[8:9], 0 op_sel_hi:[0,1,0]
	v_mov_b32_e32 v4, v5
	v_pk_fma_f32 v[4:5], v[4:5], v[6:7], v[8:9] op_sel_hi:[0,1,1]
	global_store_dwordx2 v[2:3], v[4:5], off
	v_mov_b32_e32 v2, 0
.LBB24_111:                             ;   in Loop: Header=BB24_12 Depth=1
	s_or_b64 exec, exec, s[10:11]
	s_movk_i32 s10, 0x47
	v_cmp_gt_i32_e64 s[10:11], s10, v2
	s_mov_b64 s[14:15], -1
	s_and_saveexec_b64 s[86:87], s[10:11]
; %bb.112:                              ;   in Loop: Header=BB24_12 Depth=1
	v_cmp_eq_u32_e64 s[10:11], 0, v2
	s_orn2_b64 s[14:15], s[10:11], exec
; %bb.113:                              ;   in Loop: Header=BB24_12 Depth=1
	s_or_b64 exec, exec, s[86:87]
	s_and_b64 exec, exec, s[14:15]
	s_cbranch_execz .LBB24_146
; %bb.114:                              ;   in Loop: Header=BB24_12 Depth=1
	v_add_u32_e32 v3, s53, v207
	v_or_b32_e32 v2, s88, v86
	v_cmp_gt_i32_e64 s[10:11], s36, v3
	v_cmp_gt_i32_e64 s[14:15], s3, v2
	s_and_b64 s[14:15], s[10:11], s[14:15]
	v_mov_b32_e32 v2, 0x47
	s_and_saveexec_b64 s[10:11], s[14:15]
	s_cbranch_execz .LBB24_116
; %bb.115:                              ;   in Loop: Header=BB24_12 Depth=1
	v_mad_u64_u32 v[2:3], s[14:15], v3, s37, v[86:87]
	v_add_u32_e32 v3, 0, v173
	ds_read2st64_b32 v[4:5], v3 offset0:1 offset1:18
	v_add_u32_e32 v3, v182, v173
	ds_read2st64_b32 v[6:7], v3 offset1:17
	v_lshl_add_u32 v2, v2, 6, v46
	v_ashrrev_i32_e32 v3, 31, v2
	v_lshl_add_u64 v[2:3], v[2:3], 3, s[74:75]
	s_waitcnt lgkmcnt(0)
	v_cvt_f32_f16_e32 v8, v6
	v_cvt_f32_f16_sdwa v9, v6 dst_sel:DWORD dst_unused:UNUSED_PAD src0_sel:WORD_1
	v_cvt_f32_f16_e32 v6, v7
	v_cvt_f32_f16_sdwa v7, v7 dst_sel:DWORD dst_unused:UNUSED_PAD src0_sel:WORD_1
	v_pk_fma_f32 v[8:9], v[4:5], v[8:9], 0 op_sel_hi:[0,1,0]
	v_mov_b32_e32 v4, v5
	v_pk_fma_f32 v[4:5], v[4:5], v[6:7], v[8:9] op_sel_hi:[0,1,1]
	global_store_dwordx2 v[2:3], v[4:5], off
	v_mov_b32_e32 v2, 0
.LBB24_116:                             ;   in Loop: Header=BB24_12 Depth=1
	s_or_b64 exec, exec, s[10:11]
	s_movk_i32 s10, 0x47
	v_cmp_gt_i32_e64 s[10:11], s10, v2
	s_mov_b64 s[14:15], -1
	s_and_saveexec_b64 s[86:87], s[10:11]
; %bb.117:                              ;   in Loop: Header=BB24_12 Depth=1
	v_cmp_eq_u32_e64 s[10:11], 0, v2
	s_orn2_b64 s[14:15], s[10:11], exec
; %bb.118:                              ;   in Loop: Header=BB24_12 Depth=1
	s_or_b64 exec, exec, s[86:87]
	s_and_b64 exec, exec, s[14:15]
	s_cbranch_execz .LBB24_146
; %bb.119:                              ;   in Loop: Header=BB24_12 Depth=1
	v_add_u32_e32 v3, s53, v208
	v_or_b32_e32 v2, s88, v88
	v_cmp_gt_i32_e64 s[10:11], s36, v3
	v_cmp_gt_i32_e64 s[14:15], s3, v2
	s_and_b64 s[14:15], s[10:11], s[14:15]
	;; [unrolled: 41-line block ×3, first 2 shown]
	v_mov_b32_e32 v2, 0x47
	s_and_saveexec_b64 s[10:11], s[14:15]
	s_cbranch_execz .LBB24_126
; %bb.125:                              ;   in Loop: Header=BB24_12 Depth=1
	v_mad_u64_u32 v[2:3], s[14:15], v3, s37, v[90:91]
	v_add_u32_e32 v3, 0, v175
	ds_read2st64_b32 v[4:5], v3 offset0:1 offset1:18
	v_add_u32_e32 v3, v182, v175
	ds_read2st64_b32 v[6:7], v3 offset1:17
	v_lshl_add_u32 v2, v2, 6, v46
	v_ashrrev_i32_e32 v3, 31, v2
	v_lshl_add_u64 v[2:3], v[2:3], 3, s[74:75]
	s_waitcnt lgkmcnt(0)
	v_cvt_f32_f16_e32 v8, v6
	v_cvt_f32_f16_sdwa v9, v6 dst_sel:DWORD dst_unused:UNUSED_PAD src0_sel:WORD_1
	v_cvt_f32_f16_e32 v6, v7
	v_cvt_f32_f16_sdwa v7, v7 dst_sel:DWORD dst_unused:UNUSED_PAD src0_sel:WORD_1
	v_pk_fma_f32 v[8:9], v[4:5], v[8:9], 0 op_sel_hi:[0,1,0]
	v_mov_b32_e32 v4, v5
	v_pk_fma_f32 v[4:5], v[4:5], v[6:7], v[8:9] op_sel_hi:[0,1,1]
	global_store_dwordx2 v[2:3], v[4:5], off
	v_mov_b32_e32 v2, 0
.LBB24_126:                             ;   in Loop: Header=BB24_12 Depth=1
	s_or_b64 exec, exec, s[10:11]
	s_movk_i32 s10, 0x47
	v_cmp_gt_i32_e64 s[10:11], s10, v2
	s_mov_b64 s[14:15], -1
	s_and_saveexec_b64 s[86:87], s[10:11]
; %bb.127:                              ;   in Loop: Header=BB24_12 Depth=1
	v_cmp_eq_u32_e64 s[10:11], 0, v2
	s_orn2_b64 s[14:15], s[10:11], exec
; %bb.128:                              ;   in Loop: Header=BB24_12 Depth=1
	s_or_b64 exec, exec, s[86:87]
	s_and_b64 exec, exec, s[14:15]
	s_cbranch_execz .LBB24_146
; %bb.129:                              ;   in Loop: Header=BB24_12 Depth=1
	v_add_u32_e32 v3, s53, v176
	v_cmp_gt_i32_e64 s[10:11], s36, v3
	s_and_b64 s[14:15], s[10:11], vcc
	v_mov_b32_e32 v2, 0x47
	s_and_saveexec_b64 s[10:11], s[14:15]
	s_cbranch_execz .LBB24_131
; %bb.130:                              ;   in Loop: Header=BB24_12 Depth=1
	v_mad_u64_u32 v[2:3], s[14:15], v3, s37, v[110:111]
	v_add_u32_e32 v3, 0, v177
	ds_read2st64_b32 v[4:5], v3 offset0:1 offset1:18
	v_add_u32_e32 v3, v182, v177
	ds_read2st64_b32 v[6:7], v3 offset1:17
	v_lshl_add_u32 v2, v2, 6, v46
	v_ashrrev_i32_e32 v3, 31, v2
	v_lshl_add_u64 v[2:3], v[2:3], 3, s[74:75]
	s_waitcnt lgkmcnt(0)
	v_cvt_f32_f16_e32 v8, v6
	v_cvt_f32_f16_sdwa v9, v6 dst_sel:DWORD dst_unused:UNUSED_PAD src0_sel:WORD_1
	v_cvt_f32_f16_e32 v6, v7
	v_cvt_f32_f16_sdwa v7, v7 dst_sel:DWORD dst_unused:UNUSED_PAD src0_sel:WORD_1
	v_pk_fma_f32 v[8:9], v[4:5], v[8:9], 0 op_sel_hi:[0,1,0]
	v_mov_b32_e32 v4, v5
	v_pk_fma_f32 v[4:5], v[4:5], v[6:7], v[8:9] op_sel_hi:[0,1,1]
	global_store_dwordx2 v[2:3], v[4:5], off
	v_mov_b32_e32 v2, 0
.LBB24_131:                             ;   in Loop: Header=BB24_12 Depth=1
	s_or_b64 exec, exec, s[10:11]
	s_movk_i32 s10, 0x47
	v_cmp_gt_i32_e32 vcc, s10, v2
	s_mov_b64 s[10:11], -1
	s_and_saveexec_b64 s[14:15], vcc
; %bb.132:                              ;   in Loop: Header=BB24_12 Depth=1
	v_cmp_eq_u32_e32 vcc, 0, v2
	s_orn2_b64 s[10:11], vcc, exec
; %bb.133:                              ;   in Loop: Header=BB24_12 Depth=1
	s_or_b64 exec, exec, s[14:15]
	s_and_b64 exec, exec, s[10:11]
	s_cbranch_execz .LBB24_146
; %bb.134:                              ;   in Loop: Header=BB24_12 Depth=1
	v_add_u32_e32 v3, s53, v210
	v_or_b32_e32 v2, s88, v92
	v_cmp_gt_i32_e32 vcc, s36, v3
	v_cmp_gt_i32_e64 s[10:11], s3, v2
	s_and_b64 s[14:15], vcc, s[10:11]
	v_mov_b32_e32 v2, 0x47
	s_and_saveexec_b64 s[10:11], s[14:15]
	s_cbranch_execz .LBB24_136
; %bb.135:                              ;   in Loop: Header=BB24_12 Depth=1
	v_mad_u64_u32 v[2:3], s[14:15], v3, s37, v[92:93]
	v_add_u32_e32 v3, 0, v178
	ds_read2st64_b32 v[4:5], v3 offset0:1 offset1:18
	v_add_u32_e32 v3, v182, v178
	ds_read2st64_b32 v[6:7], v3 offset1:17
	v_lshl_add_u32 v2, v2, 6, v46
	v_ashrrev_i32_e32 v3, 31, v2
	v_lshl_add_u64 v[2:3], v[2:3], 3, s[74:75]
	s_waitcnt lgkmcnt(0)
	v_cvt_f32_f16_e32 v8, v6
	v_cvt_f32_f16_sdwa v9, v6 dst_sel:DWORD dst_unused:UNUSED_PAD src0_sel:WORD_1
	v_cvt_f32_f16_e32 v6, v7
	v_cvt_f32_f16_sdwa v7, v7 dst_sel:DWORD dst_unused:UNUSED_PAD src0_sel:WORD_1
	v_pk_fma_f32 v[8:9], v[4:5], v[8:9], 0 op_sel_hi:[0,1,0]
	v_mov_b32_e32 v4, v5
	v_pk_fma_f32 v[4:5], v[4:5], v[6:7], v[8:9] op_sel_hi:[0,1,1]
	global_store_dwordx2 v[2:3], v[4:5], off
	v_mov_b32_e32 v2, 0
.LBB24_136:                             ;   in Loop: Header=BB24_12 Depth=1
	s_or_b64 exec, exec, s[10:11]
	s_movk_i32 s10, 0x47
	v_cmp_gt_i32_e32 vcc, s10, v2
	s_mov_b64 s[10:11], -1
	s_and_saveexec_b64 s[14:15], vcc
; %bb.137:                              ;   in Loop: Header=BB24_12 Depth=1
	v_cmp_eq_u32_e32 vcc, 0, v2
	s_orn2_b64 s[10:11], vcc, exec
; %bb.138:                              ;   in Loop: Header=BB24_12 Depth=1
	s_or_b64 exec, exec, s[14:15]
	s_and_b64 exec, exec, s[10:11]
	s_cbranch_execz .LBB24_146
; %bb.139:                              ;   in Loop: Header=BB24_12 Depth=1
	v_add_u32_e32 v3, s53, v211
	v_or_b32_e32 v2, s88, v94
	v_cmp_gt_i32_e32 vcc, s36, v3
	v_cmp_gt_i32_e64 s[10:11], s3, v2
	s_and_b64 s[14:15], vcc, s[10:11]
	;; [unrolled: 41-line block ×3, first 2 shown]
	s_and_b64 exec, exec, s[10:11]
	s_cbranch_execz .LBB24_146
; %bb.145:                              ;   in Loop: Header=BB24_12 Depth=1
	v_mad_u64_u32 v[2:3], s[10:11], v2, s37, v[96:97]
	v_add_u32_e32 v3, 0, v180
	ds_read2st64_b32 v[4:5], v3 offset0:1 offset1:18
	v_add_u32_e32 v3, v182, v180
	ds_read2st64_b32 v[6:7], v3 offset1:17
	v_lshl_add_u32 v2, v2, 6, v46
	v_ashrrev_i32_e32 v3, 31, v2
	v_lshl_add_u64 v[2:3], v[2:3], 3, s[74:75]
	s_waitcnt lgkmcnt(0)
	v_cvt_f32_f16_e32 v8, v6
	v_cvt_f32_f16_sdwa v9, v6 dst_sel:DWORD dst_unused:UNUSED_PAD src0_sel:WORD_1
	v_cvt_f32_f16_e32 v6, v7
	v_cvt_f32_f16_sdwa v7, v7 dst_sel:DWORD dst_unused:UNUSED_PAD src0_sel:WORD_1
	v_pk_fma_f32 v[8:9], v[4:5], v[8:9], 0 op_sel_hi:[0,1,0]
	v_mov_b32_e32 v4, v5
	v_pk_fma_f32 v[4:5], v[4:5], v[6:7], v[8:9] op_sel_hi:[0,1,1]
	global_store_dwordx2 v[2:3], v[4:5], off
.LBB24_146:                             ;   in Loop: Header=BB24_12 Depth=1
	s_or_b64 exec, exec, s[84:85]
	s_barrier
	s_branch .LBB24_11
.LBB24_147:                             ;   in Loop: Header=BB24_12 Depth=1
	s_lshl_b32 s84, s42, 2
	v_add_u32_e32 v2, s84, v187
	v_cmp_le_i32_e64 s[10:11], s36, v2
	v_cmp_le_i32_e64 s[14:15], s3, v101
	v_cmp_gt_i32_e32 vcc, s3, v101
	s_or_b64 s[10:11], s[10:11], s[14:15]
	s_and_saveexec_b64 s[14:15], s[10:11]
	s_xor_b64 s[10:11], exec, s[14:15]
; %bb.148:                              ;   in Loop: Header=BB24_12 Depth=1
	v_add_u32_e32 v2, v182, v188
	ds_write_b32 v2, v51
                                        ; implicit-def: $vgpr2
; %bb.149:                              ;   in Loop: Header=BB24_12 Depth=1
	s_andn2_saveexec_b64 s[10:11], s[10:11]
	s_cbranch_execz .LBB24_151
; %bb.150:                              ;   in Loop: Header=BB24_12 Depth=1
	v_mad_u64_u32 v[2:3], s[14:15], v2, s57, v[100:101]
	v_ashrrev_i32_e32 v3, 31, v2
	v_lshl_add_u64 v[2:3], v[2:3], 3, s[82:83]
	global_load_dwordx2 v[2:3], v[2:3], off
	s_waitcnt vmcnt(0)
	v_cvt_pk_f16_f32 v2, v2, v3
	v_pk_mul_f16 v2, v2, v181
	v_add_u32_e32 v3, v182, v188
	ds_write_b32 v3, v2
.LBB24_151:                             ;   in Loop: Header=BB24_12 Depth=1
	s_or_b64 exec, exec, s[10:11]
	v_add_u32_e32 v2, s84, v189
	v_or_b32_e32 v3, s88, v190
	v_cmp_le_i32_e64 s[10:11], s36, v2
	v_cmp_le_i32_e64 s[14:15], s3, v3
	s_or_b64 s[10:11], s[10:11], s[14:15]
	s_and_saveexec_b64 s[14:15], s[10:11]
	s_xor_b64 s[10:11], exec, s[14:15]
; %bb.152:                              ;   in Loop: Header=BB24_12 Depth=1
	v_add_u32_e32 v2, v182, v188
	ds_write_b32 v2, v51 offset:1088
                                        ; implicit-def: $vgpr2
; %bb.153:                              ;   in Loop: Header=BB24_12 Depth=1
	s_andn2_saveexec_b64 s[10:11], s[10:11]
	s_cbranch_execz .LBB24_155
; %bb.154:                              ;   in Loop: Header=BB24_12 Depth=1
	v_mad_u64_u32 v[2:3], s[14:15], v2, s57, v[102:103]
	v_ashrrev_i32_e32 v3, 31, v2
	v_lshl_add_u64 v[2:3], v[2:3], 3, s[82:83]
	global_load_dwordx2 v[2:3], v[2:3], off
	s_waitcnt vmcnt(0)
	v_cvt_pk_f16_f32 v2, v2, v3
	v_pk_mul_f16 v2, v2, v181
	v_add_u32_e32 v3, v182, v188
	ds_write_b32 v3, v2 offset:1088
.LBB24_155:                             ;   in Loop: Header=BB24_12 Depth=1
	s_or_b64 exec, exec, s[10:11]
	v_add_u32_e32 v2, s84, v191
	v_cmp_le_i32_e64 s[10:11], s36, v2
	s_xor_b64 s[14:15], vcc, -1
	s_or_b64 s[10:11], s[10:11], s[14:15]
	s_and_saveexec_b64 s[86:87], s[10:11]
	s_xor_b64 s[10:11], exec, s[86:87]
; %bb.156:                              ;   in Loop: Header=BB24_12 Depth=1
	v_add_u32_e32 v2, v182, v188
	ds_write_b32 v2, v51 offset:2176
                                        ; implicit-def: $vgpr2
; %bb.157:                              ;   in Loop: Header=BB24_12 Depth=1
	s_andn2_saveexec_b64 s[10:11], s[10:11]
	s_cbranch_execz .LBB24_159
; %bb.158:                              ;   in Loop: Header=BB24_12 Depth=1
	v_mad_u64_u32 v[2:3], s[86:87], v2, s57, v[100:101]
	v_ashrrev_i32_e32 v3, 31, v2
	v_lshl_add_u64 v[2:3], v[2:3], 3, s[82:83]
	global_load_dwordx2 v[2:3], v[2:3], off
	s_waitcnt vmcnt(0)
	v_cvt_pk_f16_f32 v2, v2, v3
	v_pk_mul_f16 v2, v2, v181
	v_add_u32_e32 v3, v182, v188
	ds_write_b32 v3, v2 offset:2176
.LBB24_159:                             ;   in Loop: Header=BB24_12 Depth=1
	s_or_b64 exec, exec, s[10:11]
	v_add_u32_e32 v2, s84, v192
	v_or_b32_e32 v3, s88, v193
	v_cmp_le_i32_e32 vcc, s36, v2
	v_cmp_le_i32_e64 s[10:11], s3, v3
	s_or_b64 s[10:11], vcc, s[10:11]
	s_and_saveexec_b64 s[86:87], s[10:11]
	s_xor_b64 s[10:11], exec, s[86:87]
; %bb.160:                              ;   in Loop: Header=BB24_12 Depth=1
	v_add_u32_e32 v2, v182, v188
	ds_write_b32 v2, v51 offset:3264
                                        ; implicit-def: $vgpr2
; %bb.161:                              ;   in Loop: Header=BB24_12 Depth=1
	s_andn2_saveexec_b64 s[10:11], s[10:11]
	s_cbranch_execz .LBB24_163
; %bb.162:                              ;   in Loop: Header=BB24_12 Depth=1
	v_mad_u64_u32 v[2:3], s[86:87], v2, s57, v[104:105]
	v_ashrrev_i32_e32 v3, 31, v2
	v_lshl_add_u64 v[2:3], v[2:3], 3, s[82:83]
	global_load_dwordx2 v[2:3], v[2:3], off
	s_waitcnt vmcnt(0)
	v_cvt_pk_f16_f32 v2, v2, v3
	v_pk_mul_f16 v2, v2, v181
	v_add_u32_e32 v3, v182, v188
	ds_write_b32 v3, v2 offset:3264
.LBB24_163:                             ;   in Loop: Header=BB24_12 Depth=1
	s_or_b64 exec, exec, s[10:11]
	v_add_u32_e32 v2, s84, v194
	v_cmp_le_i32_e32 vcc, s36, v2
	s_or_b64 s[10:11], vcc, s[14:15]
	s_and_saveexec_b64 s[86:87], s[10:11]
	s_xor_b64 s[10:11], exec, s[86:87]
; %bb.164:                              ;   in Loop: Header=BB24_12 Depth=1
	v_add_u32_e32 v2, v182, v188
	ds_write_b32 v2, v51 offset:4352
                                        ; implicit-def: $vgpr2
; %bb.165:                              ;   in Loop: Header=BB24_12 Depth=1
	s_andn2_saveexec_b64 s[10:11], s[10:11]
	s_cbranch_execz .LBB24_167
; %bb.166:                              ;   in Loop: Header=BB24_12 Depth=1
	v_mad_u64_u32 v[2:3], s[86:87], v2, s57, v[100:101]
	v_ashrrev_i32_e32 v3, 31, v2
	v_lshl_add_u64 v[2:3], v[2:3], 3, s[82:83]
	global_load_dwordx2 v[2:3], v[2:3], off
	s_waitcnt vmcnt(0)
	v_cvt_pk_f16_f32 v2, v2, v3
	v_pk_mul_f16 v2, v2, v181
	v_add_u32_e32 v3, v182, v188
	ds_write_b32 v3, v2 offset:4352
.LBB24_167:                             ;   in Loop: Header=BB24_12 Depth=1
	s_or_b64 exec, exec, s[10:11]
	v_add_u32_e32 v2, s84, v195
	v_or_b32_e32 v3, s88, v196
	v_cmp_le_i32_e32 vcc, s36, v2
	v_cmp_le_i32_e64 s[10:11], s3, v3
	s_or_b64 s[10:11], vcc, s[10:11]
	s_and_saveexec_b64 s[86:87], s[10:11]
	s_xor_b64 s[10:11], exec, s[86:87]
; %bb.168:                              ;   in Loop: Header=BB24_12 Depth=1
	v_add_u32_e32 v2, v182, v188
	ds_write_b32 v2, v51 offset:5440
                                        ; implicit-def: $vgpr2
; %bb.169:                              ;   in Loop: Header=BB24_12 Depth=1
	s_andn2_saveexec_b64 s[10:11], s[10:11]
	s_cbranch_execz .LBB24_171
; %bb.170:                              ;   in Loop: Header=BB24_12 Depth=1
	v_mad_u64_u32 v[2:3], s[86:87], v2, s57, v[106:107]
	v_ashrrev_i32_e32 v3, 31, v2
	v_lshl_add_u64 v[2:3], v[2:3], 3, s[82:83]
	global_load_dwordx2 v[2:3], v[2:3], off
	s_waitcnt vmcnt(0)
	v_cvt_pk_f16_f32 v2, v2, v3
	v_pk_mul_f16 v2, v2, v181
	v_add_u32_e32 v3, v182, v188
	ds_write_b32 v3, v2 offset:5440
.LBB24_171:                             ;   in Loop: Header=BB24_12 Depth=1
	s_or_b64 exec, exec, s[10:11]
	v_add_u32_e32 v2, s84, v197
	v_cmp_le_i32_e32 vcc, s36, v2
	s_or_b64 s[10:11], vcc, s[14:15]
	s_and_saveexec_b64 s[14:15], s[10:11]
	s_xor_b64 s[10:11], exec, s[14:15]
; %bb.172:                              ;   in Loop: Header=BB24_12 Depth=1
	v_add_u32_e32 v2, v182, v188
	ds_write_b32 v2, v51 offset:6528
                                        ; implicit-def: $vgpr2
; %bb.173:                              ;   in Loop: Header=BB24_12 Depth=1
	s_andn2_saveexec_b64 s[10:11], s[10:11]
	s_cbranch_execz .LBB24_175
; %bb.174:                              ;   in Loop: Header=BB24_12 Depth=1
	v_mad_u64_u32 v[2:3], s[14:15], v2, s57, v[100:101]
	v_ashrrev_i32_e32 v3, 31, v2
	v_lshl_add_u64 v[2:3], v[2:3], 3, s[82:83]
	global_load_dwordx2 v[2:3], v[2:3], off
	s_waitcnt vmcnt(0)
	v_cvt_pk_f16_f32 v2, v2, v3
	v_pk_mul_f16 v2, v2, v181
	v_add_u32_e32 v3, v182, v188
	ds_write_b32 v3, v2 offset:6528
.LBB24_175:                             ;   in Loop: Header=BB24_12 Depth=1
	s_or_b64 exec, exec, s[10:11]
	v_add_u32_e32 v2, s84, v198
	v_or_b32_e32 v3, s88, v199
	v_cmp_le_i32_e32 vcc, s36, v2
	v_cmp_le_i32_e64 s[10:11], s3, v3
	s_or_b64 s[10:11], vcc, s[10:11]
	s_and_saveexec_b64 s[14:15], s[10:11]
	s_xor_b64 s[10:11], exec, s[14:15]
; %bb.176:                              ;   in Loop: Header=BB24_12 Depth=1
	v_add_u32_e32 v2, v182, v188
	ds_write_b32 v2, v51 offset:7616
                                        ; implicit-def: $vgpr2
; %bb.177:                              ;   in Loop: Header=BB24_12 Depth=1
	s_andn2_saveexec_b64 s[10:11], s[10:11]
	s_cbranch_execz .LBB24_179
; %bb.178:                              ;   in Loop: Header=BB24_12 Depth=1
	v_mad_u64_u32 v[2:3], s[14:15], v2, s57, v[108:109]
	v_ashrrev_i32_e32 v3, 31, v2
	v_lshl_add_u64 v[2:3], v[2:3], 3, s[82:83]
	global_load_dwordx2 v[2:3], v[2:3], off
	s_waitcnt vmcnt(0)
	v_cvt_pk_f16_f32 v2, v2, v3
	v_pk_mul_f16 v2, v2, v181
	v_add_u32_e32 v3, v182, v188
	ds_write_b32 v3, v2 offset:7616
.LBB24_179:                             ;   in Loop: Header=BB24_12 Depth=1
	s_or_b64 exec, exec, s[10:11]
	s_waitcnt lgkmcnt(0)
	s_barrier
	ds_read2_b64 v[14:17], v95 offset1:4
	ds_read2_b64 v[10:13], v95 offset0:8 offset1:12
	ds_read2_b64 v[6:9], v95 offset0:16 offset1:20
	;; [unrolled: 1-line block ×3, first 2 shown]
	s_cmp_lt_i32 s67, 2
	s_waitcnt lgkmcnt(0)
	s_barrier
	s_cbranch_scc1 .LBB24_184
; %bb.180:                              ;   in Loop: Header=BB24_12 Depth=1
	v_add_u32_e32 v18, s84, v97
	v_mul_hi_u32 v19, s44, v18
	v_add_u32_e32 v19, v18, v19
	v_lshrrev_b32_e32 v19, s45, v19
	v_mul_lo_u32 v19, v19, s36
	v_sub_u32_e32 v20, v18, v19
	v_and_b32_e32 v18, 64, v213
	v_add_u32_e32 v18, 64, v18
	v_xor_b32_e32 v19, 32, v213
	v_cmp_lt_i32_e32 vcc, v19, v18
	v_readlane_b32 s10, v228, 23
	v_readlane_b32 s11, v228, 24
	v_cndmask_b32_e32 v19, v213, v19, vcc
	v_lshlrev_b32_e32 v50, 2, v19
	v_xor_b32_e32 v19, 16, v213
	v_cmp_lt_i32_e32 vcc, v19, v18
	s_add_i32 s14, s67, -1
	v_mov_b32_e32 v107, 0
	v_cndmask_b32_e32 v18, v213, v19, vcc
	v_lshlrev_b32_e32 v105, 2, v18
	v_mov_b64_e32 v[18:19], s[80:81]
	v_mad_i64_i32 v[18:19], s[10:11], s10, v20, v[18:19]
	s_add_u32 s10, s68, s69
	s_addc_u32 s11, s62, s61
	v_lshl_add_u64 v[132:133], v[114:115], 0, s[10:11]
	v_lshl_add_u64 v[134:135], v[116:117], 0, s[10:11]
	;; [unrolled: 1-line block ×4, first 2 shown]
	s_add_u32 s10, s98, s99
	s_addc_u32 s11, s97, s58
	v_lshl_add_u64 v[130:131], v[112:113], 0, v[18:19]
	v_lshl_add_u64 v[140:141], v[122:123], 0, s[10:11]
	;; [unrolled: 1-line block ×5, first 2 shown]
	v_mov_b32_e32 v21, 0xfeffffff
	v_mov_b32_e32 v20, 0
	s_mov_b32 s15, s14
	v_mov_b32_e32 v148, 0
	v_mov_b32_e32 v43, 0
	v_mov_b32_e32 v42, 0
	v_mov_b32_e32 v39, 0
	v_mov_b32_e32 v38, 0
	v_mov_b32_e32 v35, 0
	v_mov_b32_e32 v34, 0
	v_mov_b32_e32 v31, 0
	v_mov_b32_e32 v30, 0
	v_mov_b32_e32 v27, 0
	v_mov_b32_e32 v26, 0
	v_mov_b32_e32 v23, 0
	v_mov_b32_e32 v22, 0
	v_mov_b32_e32 v19, 0
	v_mov_b32_e32 v18, 0
	s_and_saveexec_b64 s[10:11], s[4:5]
	s_cbranch_execz .LBB24_182
.LBB24_181:                             ;   in Loop: Header=BB24_12 Depth=1
	global_load_dword v24, v[130:131], off
	s_waitcnt vmcnt(0)
	ds_write_b32 v99, v24 offset:17408
.LBB24_182:                             ;   Parent Loop BB24_12 Depth=1
                                        ; =>  This Inner Loop Header: Depth=2
	s_or_b64 exec, exec, s[10:11]
	v_lshl_add_u64 v[24:25], v[140:141], 0, v[54:55]
	global_load_dwordx4 v[216:219], v[24:25], off
	v_lshl_add_u64 v[28:29], v[142:143], 0, v[54:55]
	v_lshl_add_u64 v[32:33], v[144:145], 0, v[54:55]
	;; [unrolled: 1-line block ×3, first 2 shown]
	v_add_u32_e32 v24, v183, v156
	v_lshl_add_u64 v[150:151], v[138:139], 0, v[54:55]
	s_add_i32 s15, s15, -1
	s_mov_b64 s[10:11], 0x80
	v_lshl_add_u64 v[130:131], v[130:131], 0, s[10:11]
	v_lshl_add_u64 v[138:139], v[138:139], 0, s[70:71]
	;; [unrolled: 1-line block ×6, first 2 shown]
	s_cmp_lg_u32 s15, 0
	s_waitcnt vmcnt(0)
	ds_write_b128 v154, v[216:219]
	global_load_dwordx4 v[216:219], v[28:29], off
	s_waitcnt vmcnt(0)
	ds_write_b128 v184, v[216:219]
	global_load_dwordx4 v[216:219], v[32:33], off
	;; [unrolled: 3-line block ×3, first 2 shown]
	s_waitcnt vmcnt(0)
	ds_write_b128 v186, v[216:219]
	s_waitcnt lgkmcnt(0)
	s_barrier
	ds_read2_b64 v[216:219], v24 offset1:4
	s_waitcnt lgkmcnt(0)
	v_mfma_f32_16x16x16_f16 v[220:223], v[216:217], v[14:15], 0
	v_mfma_f32_16x16x16_f16 v[216:219], v[218:219], v[16:17], v[220:223]
	s_nop 6
	ds_read2_b64 v[220:223], v24 offset0:8 offset1:12
	s_waitcnt lgkmcnt(0)
	v_mfma_f32_16x16x16_f16 v[216:219], v[220:221], v[10:11], v[216:219]
	v_mfma_f32_16x16x16_f16 v[216:219], v[222:223], v[12:13], v[216:219]
	ds_read2_b64 v[220:223], v24 offset0:16 offset1:20
	s_waitcnt lgkmcnt(0)
	v_mfma_f32_16x16x16_f16 v[216:219], v[220:221], v[6:7], v[216:219]
	v_mfma_f32_16x16x16_f16 v[216:219], v[222:223], v[8:9], v[216:219]
	ds_read2_b64 v[220:223], v24 offset0:24 offset1:28
	v_add_u32_e32 v24, 0x2000, v24
	s_waitcnt lgkmcnt(0)
	v_mfma_f32_16x16x16_f16 v[216:219], v[220:221], v[2:3], v[216:219]
	v_mfma_f32_16x16x16_f16 v[216:219], v[222:223], v[4:5], v[216:219]
	ds_read2_b64 v[220:223], v24 offset0:64 offset1:68
	s_waitcnt lgkmcnt(0)
	v_mfma_f32_16x16x16_f16 v[224:227], v[220:221], v[14:15], 0
	v_mfma_f32_16x16x16_f16 v[220:223], v[222:223], v[16:17], v[224:227]
	s_nop 6
	ds_read2_b64 v[224:227], v24 offset0:72 offset1:76
	s_waitcnt lgkmcnt(0)
	v_mfma_f32_16x16x16_f16 v[220:223], v[224:225], v[10:11], v[220:223]
	v_mfma_f32_16x16x16_f16 v[220:223], v[226:227], v[12:13], v[220:223]
	ds_read2_b64 v[224:227], v24 offset0:80 offset1:84
	s_waitcnt lgkmcnt(0)
	v_mfma_f32_16x16x16_f16 v[220:223], v[224:225], v[6:7], v[220:223]
	v_mfma_f32_16x16x16_f16 v[220:223], v[226:227], v[8:9], v[220:223]
	ds_read2_b64 v[224:227], v24 offset0:88 offset1:92
	v_add_u32_e32 v24, 0x4400, v111
	s_waitcnt lgkmcnt(0)
	s_barrier
	ds_read2_b32 v[24:25], v24 offset1:1
	v_mfma_f32_16x16x16_f16 v[220:223], v[224:225], v[2:3], v[220:223]
	s_waitcnt lgkmcnt(0)
	v_cvt_f32_f16_e32 v28, v24
	v_cvt_f32_f16_sdwa v24, v24 dst_sel:DWORD dst_unused:UNUSED_PAD src0_sel:WORD_1
	v_add_f32_e32 v28, v216, v28
	v_add_f32_e32 v29, v217, v24
	v_cvt_f32_f16_e32 v24, v25
	v_cvt_f32_f16_sdwa v25, v25 dst_sel:DWORD dst_unused:UNUSED_PAD src0_sel:WORD_1
	v_mfma_f32_16x16x16_f16 v[220:223], v[226:227], v[4:5], v[220:223]
	v_add_f32_e32 v32, v218, v24
	ds_read_b32 v24, v157 offset:17408
	v_add_f32_e32 v33, v219, v25
	v_add_f32_e32 v44, 0x40051340, v33
	s_waitcnt lgkmcnt(0)
	v_cvt_f32_f16_e32 v25, v24
	v_cvt_f32_f16_sdwa v24, v24 dst_sel:DWORD dst_unused:UNUSED_PAD src0_sel:WORD_1
	s_nop 0
	v_add_f32_e32 v36, v220, v25
	v_add_f32_e32 v37, v221, v24
	ds_read_b32 v24, v158 offset:17408
	s_waitcnt lgkmcnt(0)
	v_cvt_f32_f16_e32 v25, v24
	v_cvt_f32_f16_sdwa v24, v24 dst_sel:DWORD dst_unused:UNUSED_PAD src0_sel:WORD_1
	v_add_f32_e32 v40, v222, v25
	v_add_f32_e32 v41, v223, v24
	;; [unrolled: 1-line block ×4, first 2 shown]
	v_max3_f32 v24, v21, v24, v25
	v_add_f32_e32 v25, 0x40051340, v32
	v_max3_f32 v24, v24, v25, v44
	v_add_f32_e32 v25, 0x40051340, v36
	v_add_f32_e32 v44, 0x40051340, v37
	v_max3_f32 v24, v24, v25, v44
	v_add_f32_e32 v25, 0x40051340, v40
	v_add_f32_e32 v44, 0x40051340, v41
	v_max3_f32 v24, v24, v25, v44
	ds_bpermute_b32 v25, v50, v24
	s_waitcnt lgkmcnt(0)
	v_max_f32_e32 v25, v25, v25
	v_max_f32_e32 v24, v24, v25
	ds_bpermute_b32 v25, v105, v24
	s_waitcnt lgkmcnt(0)
	v_max_f32_e32 v25, v25, v25
	v_max_f32_e32 v101, v24, v25
	v_sub_f32_e32 v24, v28, v101
	v_mul_f32_e32 v25, 0x3fb8aa3b, v24
	v_fma_f32 v28, v24, s47, -v25
	v_rndne_f32_e32 v44, v25
	v_fmac_f32_e32 v28, 0x32a5705f, v24
	v_sub_f32_e32 v25, v25, v44
	v_add_f32_e32 v25, v25, v28
	v_exp_f32_e32 v25, v25
	v_cvt_i32_f32_e32 v28, v44
	v_cmp_ngt_f32_e32 vcc, s2, v24
	v_sub_f32_e32 v21, v21, v101
	v_ldexp_f32 v25, v25, v28
	v_cndmask_b32_e32 v25, 0, v25, vcc
	v_cmp_nlt_f32_e32 vcc, s33, v24
	s_nop 1
	v_cndmask_b32_e32 v24, v214, v25, vcc
	v_sub_f32_e32 v25, v29, v101
	v_mul_f32_e32 v28, 0x3fb8aa3b, v25
	v_fma_f32 v29, v25, s47, -v28
	v_rndne_f32_e32 v44, v28
	v_fmac_f32_e32 v29, 0x32a5705f, v25
	v_sub_f32_e32 v28, v28, v44
	v_add_f32_e32 v28, v28, v29
	v_exp_f32_e32 v28, v28
	v_cvt_i32_f32_e32 v29, v44
	v_cmp_ngt_f32_e32 vcc, s2, v25
	v_ldexp_f32 v28, v28, v29
	s_nop 0
	v_cndmask_b32_e32 v28, 0, v28, vcc
	v_cmp_nlt_f32_e32 vcc, s33, v25
	s_nop 1
	v_cndmask_b32_e32 v25, v214, v28, vcc
	v_sub_f32_e32 v28, v32, v101
	v_mul_f32_e32 v32, 0x3fb8aa3b, v28
	v_fma_f32 v44, v28, s47, -v32
	v_rndne_f32_e32 v45, v32
	v_fmac_f32_e32 v44, 0x32a5705f, v28
	v_sub_f32_e32 v32, v32, v45
	v_add_f32_e32 v32, v32, v44
	v_exp_f32_e32 v32, v32
	v_cvt_i32_f32_e32 v44, v45
	v_cmp_ngt_f32_e32 vcc, s2, v28
	v_add_f32_e32 v29, v24, v25
	v_ldexp_f32 v32, v32, v44
	v_cndmask_b32_e32 v32, 0, v32, vcc
	v_cmp_nlt_f32_e32 vcc, s33, v28
	s_nop 1
	v_cndmask_b32_e32 v28, v214, v32, vcc
	v_sub_f32_e32 v32, v33, v101
	v_mul_f32_e32 v33, 0x3fb8aa3b, v32
	v_fma_f32 v44, v32, s47, -v33
	v_rndne_f32_e32 v45, v33
	v_fmac_f32_e32 v44, 0x32a5705f, v32
	v_sub_f32_e32 v33, v33, v45
	v_add_f32_e32 v33, v33, v44
	v_exp_f32_e32 v33, v33
	v_cvt_i32_f32_e32 v44, v45
	v_cmp_ngt_f32_e32 vcc, s2, v32
	v_add_f32_e32 v29, v28, v29
	v_ldexp_f32 v33, v33, v44
	v_cndmask_b32_e32 v33, 0, v33, vcc
	v_cmp_nlt_f32_e32 vcc, s33, v32
	s_nop 1
	v_cndmask_b32_e32 v32, v214, v33, vcc
	v_add_f32_e32 v33, v32, v29
	v_sub_f32_e32 v29, v36, v101
	v_mul_f32_e32 v36, 0x3fb8aa3b, v29
	v_fma_f32 v44, v29, s47, -v36
	v_rndne_f32_e32 v45, v36
	v_fmac_f32_e32 v44, 0x32a5705f, v29
	v_sub_f32_e32 v36, v36, v45
	v_add_f32_e32 v36, v36, v44
	v_exp_f32_e32 v36, v36
	v_cvt_i32_f32_e32 v44, v45
	v_cmp_ngt_f32_e32 vcc, s2, v29
	v_ldexp_f32 v36, v36, v44
	s_nop 0
	v_cndmask_b32_e32 v36, 0, v36, vcc
	v_cmp_nlt_f32_e32 vcc, s33, v29
	s_nop 1
	v_cndmask_b32_e32 v29, v214, v36, vcc
	v_add_f32_e32 v36, v29, v33
	v_sub_f32_e32 v33, v37, v101
	v_mul_f32_e32 v37, 0x3fb8aa3b, v33
	v_fma_f32 v44, v33, s47, -v37
	v_rndne_f32_e32 v45, v37
	v_fmac_f32_e32 v44, 0x32a5705f, v33
	v_sub_f32_e32 v37, v37, v45
	v_add_f32_e32 v37, v37, v44
	v_exp_f32_e32 v37, v37
	v_cvt_i32_f32_e32 v44, v45
	v_cmp_ngt_f32_e32 vcc, s2, v33
	v_ldexp_f32 v37, v37, v44
	s_nop 0
	;; [unrolled: 17-line block ×4, first 2 shown]
	v_cndmask_b32_e32 v41, 0, v41, vcc
	v_cmp_nlt_f32_e32 vcc, s33, v37
	s_nop 1
	v_cndmask_b32_e32 v37, v214, v41, vcc
	v_add_f32_e32 v103, v37, v40
	v_mul_f32_e32 v40, 0x3fb8aa3b, v21
	v_fma_f32 v41, v21, s47, -v40
	v_rndne_f32_e32 v44, v40
	v_fmac_f32_e32 v41, 0x32a5705f, v21
	v_sub_f32_e32 v40, v40, v44
	v_add_f32_e32 v40, v40, v41
	v_exp_f32_e32 v40, v40
	v_cvt_i32_f32_e32 v41, v44
	v_cmp_ngt_f32_e32 vcc, s2, v21
	v_lshl_add_u64 v[44:45], v[134:135], 0, v[54:55]
	v_lshl_add_u64 v[134:135], v[134:135], 0, s[70:71]
	v_ldexp_f32 v40, v40, v41
	v_cndmask_b32_e32 v40, 0, v40, vcc
	v_cmp_nlt_f32_e32 vcc, s33, v21
	s_nop 1
	v_cndmask_b32_e32 v40, v214, v40, vcc
	v_cmp_le_f32_e32 vcc, s8, v21
	s_nop 1
	v_cndmask_b32_e32 v21, 0, v40, vcc
	v_fmac_f32_e32 v103, v20, v21
	v_cvt_f16_f32_e32 v20, v21
	v_mul_u32_u24_e32 v20, 0x10001, v20
	v_pk_mul_f16 v41, v19, v20
	v_pk_mul_f16 v40, v18, v20
	v_lshl_add_u64 v[18:19], v[132:133], 0, v[54:55]
	v_pk_mul_f16 v23, v23, v20
	v_pk_mul_f16 v22, v22, v20
	;; [unrolled: 1-line block ×14, first 2 shown]
	global_load_dwordx4 v[18:21], v[18:19], off
	v_lshl_add_u64 v[148:149], v[136:137], 0, v[54:55]
	v_cvt_f32_f16_e32 v216, v23
	v_cvt_f32_f16_sdwa v217, v23 dst_sel:DWORD dst_unused:UNUSED_PAD src0_sel:WORD_1
	v_cvt_f32_f16_e32 v218, v22
	v_cvt_f32_f16_sdwa v219, v22 dst_sel:DWORD dst_unused:UNUSED_PAD src0_sel:WORD_1
	v_lshl_add_u64 v[132:133], v[132:133], 0, s[70:71]
	v_lshl_add_u64 v[136:137], v[136:137], 0, s[70:71]
	s_waitcnt vmcnt(0)
	ds_write_b128 v154, v[18:21]
	global_load_dwordx4 v[18:21], v[44:45], off
	s_waitcnt vmcnt(0)
	ds_write_b128 v184, v[18:21]
	global_load_dwordx4 v[18:21], v[148:149], off
	v_cvt_pk_f16_f32 v149, v36, v37
	v_cvt_pk_f16_f32 v148, v29, v33
	s_waitcnt vmcnt(0)
	ds_write_b128 v185, v[18:21]
	global_load_dwordx4 v[18:21], v[150:151], off
	v_cvt_pk_f16_f32 v151, v28, v32
	v_cvt_pk_f16_f32 v150, v24, v25
	s_waitcnt vmcnt(0)
	ds_write_b128 v186, v[18:21]
	s_waitcnt lgkmcnt(0)
	s_barrier
	ds_read_u16 v44, v152 offset:272
	ds_read_u16 v45, v152 offset:544
	v_cvt_f32_f16_e32 v20, v40
	v_cvt_f32_f16_sdwa v21, v40 dst_sel:DWORD dst_unused:UNUSED_PAD src0_sel:WORD_1
	ds_read_u16 v40, v153
	ds_read_u16 v215, v153 offset:32
	v_cvt_f32_f16_e32 v18, v41
	v_cvt_f32_f16_sdwa v19, v41 dst_sel:DWORD dst_unused:UNUSED_PAD src0_sel:WORD_1
	s_waitcnt lgkmcnt(1)
	v_perm_b32 v41, v40, v45, s9
	ds_read_u16 v40, v152
	ds_read_u16 v45, v152 offset:32
	ds_read_u16 v24, v152 offset:8704
	;; [unrolled: 1-line block ×5, first 2 shown]
	s_waitcnt lgkmcnt(5)
	v_perm_b32 v40, v44, v40, s9
	s_nop 1
	v_mfma_f32_16x16x16_f16 v[18:21], v[40:41], v[150:151], v[18:21]
	s_waitcnt lgkmcnt(0)
	v_perm_b32 v25, v32, v25, s9
	v_perm_b32 v24, v28, v24, s9
	s_nop 4
	v_cvt_f16_f32_e32 v18, v18
	v_cvt_f16_f32_e32 v19, v19
	;; [unrolled: 1-line block ×4, first 2 shown]
	v_cvt_f32_f16_e32 v18, v18
	v_cvt_f32_f16_e32 v19, v19
	;; [unrolled: 1-line block ×4, first 2 shown]
	s_nop 1
	v_mfma_f32_16x16x16_f16 v[18:21], v[24:25], v[148:149], v[18:21]
	ds_read_u16 v24, v152 offset:304
	ds_read_u16 v25, v152 offset:576
	;; [unrolled: 1-line block ×6, first 2 shown]
	s_nop 1
	v_cvt_pk_f16_f32 v19, v18, v19
	s_waitcnt lgkmcnt(5)
	v_perm_b32 v22, v24, v45, s9
	s_waitcnt lgkmcnt(4)
	v_perm_b32 v23, v215, v25, s9
	;; [unrolled: 2-line block ×3, first 2 shown]
	v_perm_b32 v28, v32, v28, s9
	v_mfma_f32_16x16x16_f16 v[22:25], v[22:23], v[150:151], v[216:219]
	v_cvt_pk_f16_f32 v18, v20, v21
	s_nop 1
	v_cvt_f32_f16_e32 v216, v27
	v_cvt_f32_f16_sdwa v217, v27 dst_sel:DWORD dst_unused:UNUSED_PAD src0_sel:WORD_1
	s_nop 2
	v_cvt_f16_f32_e32 v22, v22
	v_cvt_f16_f32_e32 v23, v23
	;; [unrolled: 1-line block ×4, first 2 shown]
	v_cvt_f32_f16_e32 v22, v22
	v_cvt_f32_f16_e32 v23, v23
	;; [unrolled: 1-line block ×5, first 2 shown]
	v_cvt_f32_f16_sdwa v219, v26 dst_sel:DWORD dst_unused:UNUSED_PAD src0_sel:WORD_1
	v_mfma_f32_16x16x16_f16 v[22:25], v[28:29], v[148:149], v[22:25]
	ds_read_u16 v28, v152 offset:64
	ds_read_u16 v29, v152 offset:336
	;; [unrolled: 1-line block ×4, first 2 shown]
	s_waitcnt lgkmcnt(2)
	v_perm_b32 v26, v29, v28, s9
	s_nop 1
	v_cvt_pk_f16_f32 v23, v22, v23
	s_waitcnt lgkmcnt(0)
	v_perm_b32 v27, v33, v32, s9
	ds_read_u16 v32, v152 offset:8768
	ds_read_u16 v36, v152 offset:9040
	ds_read_u16 v33, v152 offset:9312
	ds_read_u16 v37, v153 offset:8768
	v_mfma_f32_16x16x16_f16 v[26:29], v[26:27], v[150:151], v[216:219]
	s_waitcnt lgkmcnt(0)
	v_perm_b32 v33, v37, v33, s9
	v_perm_b32 v32, v36, v32, s9
	v_cvt_f32_f16_e32 v216, v31
	s_nop 3
	v_cvt_f16_f32_e32 v26, v26
	v_cvt_f16_f32_e32 v27, v27
	v_cvt_f16_f32_e32 v28, v28
	v_cvt_f16_f32_e32 v29, v29
	v_cvt_f32_f16_e32 v26, v26
	v_cvt_f32_f16_e32 v27, v27
	v_cvt_f32_f16_e32 v28, v28
	v_cvt_f32_f16_e32 v29, v29
	v_cvt_f32_f16_sdwa v217, v31 dst_sel:DWORD dst_unused:UNUSED_PAD src0_sel:WORD_1
	v_cvt_f32_f16_e32 v218, v30
	v_mfma_f32_16x16x16_f16 v[26:29], v[32:33], v[148:149], v[26:29]
	ds_read_u16 v32, v152 offset:96
	ds_read_u16 v33, v152 offset:368
	ds_read_u16 v36, v152 offset:640
	ds_read_u16 v37, v153 offset:96
	v_cvt_f32_f16_sdwa v219, v30 dst_sel:DWORD dst_unused:UNUSED_PAD src0_sel:WORD_1
	v_cvt_pk_f16_f32 v22, v24, v25
	s_waitcnt lgkmcnt(2)
	v_perm_b32 v30, v33, v32, s9
	v_cvt_pk_f16_f32 v27, v26, v27
	s_waitcnt lgkmcnt(0)
	v_perm_b32 v31, v37, v36, s9
	ds_read_u16 v36, v152 offset:8800
	ds_read_u16 v40, v152 offset:9072
	ds_read_u16 v37, v152 offset:9344
	ds_read_u16 v41, v153 offset:8800
	v_mfma_f32_16x16x16_f16 v[30:33], v[30:31], v[150:151], v[216:219]
	s_waitcnt lgkmcnt(0)
	v_perm_b32 v37, v41, v37, s9
	v_perm_b32 v36, v40, v36, s9
	v_cvt_f32_f16_e32 v216, v35
	s_nop 3
	v_cvt_f16_f32_e32 v30, v30
	v_cvt_f16_f32_e32 v31, v31
	v_cvt_f16_f32_e32 v32, v32
	v_cvt_f16_f32_e32 v33, v33
	v_cvt_f32_f16_e32 v30, v30
	v_cvt_f32_f16_e32 v31, v31
	v_cvt_f32_f16_e32 v32, v32
	v_cvt_f32_f16_e32 v33, v33
	v_cvt_f32_f16_sdwa v217, v35 dst_sel:DWORD dst_unused:UNUSED_PAD src0_sel:WORD_1
	v_cvt_f32_f16_e32 v218, v34
	v_mfma_f32_16x16x16_f16 v[30:33], v[36:37], v[148:149], v[30:33]
	ds_read_u16 v36, v152 offset:128
	ds_read_u16 v37, v152 offset:400
	ds_read_u16 v40, v152 offset:672
	ds_read_u16 v41, v153 offset:128
	v_cvt_f32_f16_sdwa v219, v34 dst_sel:DWORD dst_unused:UNUSED_PAD src0_sel:WORD_1
	v_cvt_pk_f16_f32 v26, v28, v29
	s_waitcnt lgkmcnt(2)
	v_perm_b32 v34, v37, v36, s9
	;; [unrolled: 32-line block ×3, first 2 shown]
	v_cvt_pk_f16_f32 v35, v34, v35
	s_waitcnt lgkmcnt(0)
	v_perm_b32 v39, v45, v44, s9
	v_cvt_pk_f16_f32 v34, v36, v37
	s_nop 0
	v_mfma_f32_16x16x16_f16 v[38:41], v[38:39], v[150:151], v[216:219]
	ds_read_u16 v44, v152 offset:8864
	ds_read_u16 v215, v152 offset:9136
	;; [unrolled: 1-line block ×4, first 2 shown]
	v_cvt_f32_f16_sdwa v217, v43 dst_sel:DWORD dst_unused:UNUSED_PAD src0_sel:WORD_1
	v_cvt_f32_f16_e32 v218, v42
	s_nop 1
	v_cvt_f16_f32_e32 v38, v38
	v_cvt_f16_f32_e32 v39, v39
	;; [unrolled: 1-line block ×4, first 2 shown]
	s_waitcnt lgkmcnt(0)
	v_perm_b32 v45, v216, v45, s9
	v_perm_b32 v44, v215, v44, s9
	v_cvt_f32_f16_e32 v38, v38
	v_cvt_f32_f16_e32 v39, v39
	;; [unrolled: 1-line block ×5, first 2 shown]
	v_cvt_f32_f16_sdwa v219, v42 dst_sel:DWORD dst_unused:UNUSED_PAD src0_sel:WORD_1
	v_mfma_f32_16x16x16_f16 v[38:41], v[44:45], v[148:149], v[38:41]
	ds_read_u16 v44, v152 offset:192
	ds_read_u16 v45, v152 offset:464
	ds_read_u16 v215, v152 offset:736
	ds_read_u16 v220, v153 offset:192
	s_waitcnt lgkmcnt(2)
	v_perm_b32 v42, v45, v44, s9
	s_nop 1
	v_cvt_pk_f16_f32 v39, v38, v39
	s_waitcnt lgkmcnt(0)
	v_perm_b32 v43, v220, v215, s9
	v_cvt_pk_f16_f32 v38, v40, v41
	s_nop 0
	v_mfma_f32_16x16x16_f16 v[42:45], v[42:43], v[150:151], v[216:219]
	ds_read_u16 v215, v152 offset:8896
	s_nop 1
	ds_read_u16 v216, v152 offset:9168
	ds_read_u16 v217, v152 offset:9440
	;; [unrolled: 1-line block ×3, first 2 shown]
	v_cvt_f32_f16_sdwa v219, v107 dst_sel:DWORD dst_unused:UNUSED_PAD src0_sel:WORD_1
	s_nop 0
	v_cvt_f16_f32_e32 v42, v42
	v_cvt_f16_f32_e32 v43, v43
	;; [unrolled: 1-line block ×4, first 2 shown]
	s_waitcnt lgkmcnt(2)
	v_perm_b32 v216, v216, v215, s9
	ds_read_u16 v215, v152 offset:224
	ds_read_u16 v220, v152 offset:496
	;; [unrolled: 1-line block ×4, first 2 shown]
	s_waitcnt lgkmcnt(4)
	v_perm_b32 v217, v218, v217, s9
	v_cvt_f32_f16_e32 v42, v42
	v_cvt_f32_f16_e32 v43, v43
	;; [unrolled: 1-line block ×4, first 2 shown]
	s_waitcnt lgkmcnt(0)
	v_perm_b32 v221, v222, v221, s9
	v_perm_b32 v220, v220, v215, s9
	v_mfma_f32_16x16x16_f16 v[42:45], v[216:217], v[148:149], v[42:45]
	v_cvt_f32_f16_e32 v216, v109
	v_cvt_f32_f16_sdwa v217, v109 dst_sel:DWORD dst_unused:UNUSED_PAD src0_sel:WORD_1
	v_cvt_f32_f16_e32 v218, v107
	s_nop 1
	v_mfma_f32_16x16x16_f16 v[216:219], v[220:221], v[150:151], v[216:219]
	s_nop 1
	v_cvt_pk_f16_f32 v43, v42, v43
	v_cvt_pk_f16_f32 v42, v44, v45
	s_nop 3
	v_cvt_f16_f32_e32 v151, v217
	ds_read_u16 v107, v152 offset:8928
	ds_read_u16 v109, v152 offset:9200
	;; [unrolled: 1-line block ×4, first 2 shown]
	v_cvt_f16_f32_e32 v150, v216
	v_cvt_f16_f32_e32 v215, v218
	;; [unrolled: 1-line block ×3, first 2 shown]
	v_cvt_f32_f16_e32 v219, v151
	v_cvt_f32_f16_e32 v218, v150
	s_waitcnt lgkmcnt(0)
	v_perm_b32 v151, v222, v217, s9
	v_perm_b32 v150, v109, v107, s9
	v_cvt_f32_f16_e32 v220, v215
	v_cvt_f32_f16_e32 v221, v216
	s_barrier
	s_nop 0
	v_mfma_f32_16x16x16_f16 v[148:151], v[150:151], v[148:149], v[218:221]
	s_nop 7
	v_cvt_pk_f16_f32 v107, v148, v149
	v_cvt_pk_f16_f32 v148, v150, v151
	s_cbranch_scc0 .LBB24_185
; %bb.183:                              ;   in Loop: Header=BB24_182 Depth=2
	v_mov_b32_e32 v20, v103
	v_mov_b32_e32 v21, v101
	s_and_saveexec_b64 s[10:11], s[4:5]
	s_cbranch_execnz .LBB24_181
	s_branch .LBB24_182
.LBB24_184:                             ;   in Loop: Header=BB24_12 Depth=1
	v_mov_b32_e32 v101, 0xfeffffff
	v_mov_b32_e32 v103, 0
	s_mov_b64 s[10:11], 0
	v_mov_b32_e32 v18, 0
	v_mov_b32_e32 v19, 0
	;; [unrolled: 1-line block ×16, first 2 shown]
	s_and_saveexec_b64 s[14:15], s[4:5]
	s_cbranch_execnz .LBB24_186
	s_branch .LBB24_187
.LBB24_185:                             ;   in Loop: Header=BB24_12 Depth=1
	s_lshl_b32 s62, s14, 6
	s_mov_b64 s[10:11], s[62:63]
	s_and_saveexec_b64 s[14:15], s[4:5]
	s_cbranch_execz .LBB24_187
.LBB24_186:                             ;   in Loop: Header=BB24_12 Depth=1
	v_or_b32_e32 v20, s84, v97
	v_mul_hi_u32 v21, s44, v20
	s_lshl_b64 s[68:69], s[10:11], 1
	v_add_u32_e32 v21, v20, v21
	s_add_u32 s68, s78, s68
	v_lshrrev_b32_e32 v21, s45, v21
	s_addc_u32 s69, s79, s69
	v_mul_lo_u32 v21, v21, s36
	v_readlane_b32 s78, v228, 21
	v_sub_u32_e32 v20, v20, v21
	v_readlane_b32 s79, v228, 22
	v_mad_i64_i32 v[20:21], s[78:79], v20, s78, 0
	v_lshl_add_u64 v[20:21], v[20:21], 1, s[68:69]
	v_lshlrev_b32_e32 v50, 1, v48
	v_lshl_add_u64 v[20:21], v[20:21], 0, v[50:51]
	global_load_dword v20, v[20:21], off
	s_waitcnt vmcnt(0)
	ds_write_b32 v99, v20 offset:17408
.LBB24_187:                             ;   in Loop: Header=BB24_12 Depth=1
	s_or_b64 exec, exec, s[14:15]
	s_mul_i32 s11, s10, s39
	s_mul_hi_u32 s14, s10, s38
	s_add_i32 s15, s14, s11
	s_mul_i32 s14, s10, s38
	s_lshl_b64 s[14:15], s[14:15], 2
	s_add_u32 s14, s65, s14
	s_addc_u32 s15, s66, s15
	v_lshl_add_u64 v[20:21], v[52:53], 2, s[14:15]
	v_lshlrev_b32_e32 v50, 2, v72
	v_lshl_add_u64 v[20:21], v[20:21], 0, v[50:51]
	global_load_dwordx4 v[130:133], v[20:21], off
	v_lshl_add_u64 v[24:25], v[56:57], 2, s[14:15]
	v_lshl_add_u64 v[24:25], v[24:25], 0, v[50:51]
	;; [unrolled: 1-line block ×6, first 2 shown]
	v_add_u32_e32 v20, v183, v156
	s_mul_i32 s11, s10, s35
	s_mul_hi_u32 s14, s10, s34
	s_add_i32 s11, s14, s11
	s_mul_i32 s10, s10, s34
	s_lshl_b64 s[10:11], s[10:11], 2
	s_add_u32 s10, s46, s10
	s_addc_u32 s11, s64, s11
	s_cmp_lg_u64 s[76:77], 0
	s_waitcnt vmcnt(0)
	ds_write_b128 v154, v[130:133]
	global_load_dwordx4 v[130:133], v[24:25], off
	s_waitcnt vmcnt(0)
	ds_write_b128 v184, v[130:133]
	global_load_dwordx4 v[130:133], v[28:29], off
	s_waitcnt vmcnt(0)
	ds_write_b128 v185, v[130:133]
	global_load_dwordx4 v[130:133], v[32:33], off
	s_waitcnt vmcnt(0)
	ds_write_b128 v186, v[130:133]
	s_waitcnt lgkmcnt(0)
	s_barrier
	ds_read2_b64 v[130:133], v20 offset1:4
	s_waitcnt lgkmcnt(0)
	v_mfma_f32_16x16x16_f16 v[134:137], v[130:131], v[14:15], 0
	v_mfma_f32_16x16x16_f16 v[130:133], v[132:133], v[16:17], v[134:137]
	s_nop 6
	ds_read2_b64 v[134:137], v20 offset0:8 offset1:12
	s_waitcnt lgkmcnt(0)
	v_mfma_f32_16x16x16_f16 v[130:133], v[134:135], v[10:11], v[130:133]
	v_mfma_f32_16x16x16_f16 v[130:133], v[136:137], v[12:13], v[130:133]
	ds_read2_b64 v[134:137], v20 offset0:16 offset1:20
	s_waitcnt lgkmcnt(0)
	v_mfma_f32_16x16x16_f16 v[130:133], v[134:135], v[6:7], v[130:133]
	v_mfma_f32_16x16x16_f16 v[130:133], v[136:137], v[8:9], v[130:133]
	ds_read2_b64 v[134:137], v20 offset0:24 offset1:28
	v_add_u32_e32 v20, 0x2000, v20
	s_waitcnt lgkmcnt(0)
	v_mfma_f32_16x16x16_f16 v[130:133], v[134:135], v[2:3], v[130:133]
	v_mfma_f32_16x16x16_f16 v[130:133], v[136:137], v[4:5], v[130:133]
	ds_read2_b64 v[134:137], v20 offset0:64 offset1:68
	s_waitcnt lgkmcnt(0)
	v_mfma_f32_16x16x16_f16 v[138:141], v[134:135], v[14:15], 0
	v_mfma_f32_16x16x16_f16 v[14:17], v[136:137], v[16:17], v[138:141]
	ds_read2_b64 v[134:137], v20 offset0:72 offset1:76
	s_waitcnt lgkmcnt(0)
	v_mfma_f32_16x16x16_f16 v[14:17], v[134:135], v[10:11], v[14:17]
	v_mfma_f32_16x16x16_f16 v[10:13], v[136:137], v[12:13], v[14:17]
	s_nop 6
	ds_read2_b64 v[14:17], v20 offset0:80 offset1:84
	s_waitcnt lgkmcnt(0)
	v_mfma_f32_16x16x16_f16 v[10:13], v[14:15], v[6:7], v[10:13]
	v_mfma_f32_16x16x16_f16 v[6:9], v[16:17], v[8:9], v[10:13]
	s_nop 6
	ds_read2_b64 v[10:13], v20 offset0:88 offset1:92
	s_waitcnt lgkmcnt(0)
	v_mfma_f32_16x16x16_f16 v[6:9], v[10:11], v[2:3], v[6:9]
	v_add_u32_e32 v2, 0x4400, v111
	s_barrier
	ds_read2_b32 v[2:3], v2 offset1:1
	v_mfma_f32_16x16x16_f16 v[10:13], v[12:13], v[4:5], v[6:9]
	s_waitcnt lgkmcnt(0)
	v_cvt_f32_f16_e32 v4, v2
	v_cvt_f32_f16_sdwa v2, v2 dst_sel:DWORD dst_unused:UNUSED_PAD src0_sel:WORD_1
	s_nop 0
	v_add_f32_e32 v6, v130, v4
	v_add_f32_e32 v7, v131, v2
	v_cvt_f32_f16_e32 v2, v3
	v_cvt_f32_f16_sdwa v3, v3 dst_sel:DWORD dst_unused:UNUSED_PAD src0_sel:WORD_1
	v_add_f32_e32 v8, v132, v2
	ds_read_b32 v2, v157 offset:17408
	v_add_f32_e32 v9, v133, v3
	s_waitcnt lgkmcnt(0)
	v_cvt_f32_f16_e32 v3, v2
	v_cvt_f32_f16_sdwa v2, v2 dst_sel:DWORD dst_unused:UNUSED_PAD src0_sel:WORD_1
	v_add_f32_e32 v5, v10, v3
	v_add_f32_e32 v4, v11, v2
	ds_read_b32 v2, v158 offset:17408
	v_add_f32_e32 v10, 0x40051340, v6
	v_add_f32_e32 v11, 0x40051340, v7
	v_max3_f32 v10, v101, v10, v11
	v_add_f32_e32 v11, 0x40051340, v8
	s_waitcnt lgkmcnt(0)
	v_cvt_f32_f16_e32 v3, v2
	v_cvt_f32_f16_sdwa v2, v2 dst_sel:DWORD dst_unused:UNUSED_PAD src0_sel:WORD_1
	v_add_f32_e32 v3, v12, v3
	v_add_f32_e32 v12, 0x40051340, v9
	;; [unrolled: 1-line block ×3, first 2 shown]
	v_max3_f32 v10, v10, v11, v12
	v_add_f32_e32 v11, 0x40051340, v5
	v_add_f32_e32 v12, 0x40051340, v4
	v_max3_f32 v10, v10, v11, v12
	v_add_f32_e32 v11, 0x40051340, v3
	v_add_f32_e32 v12, 0x40051340, v2
	v_max3_f32 v10, v10, v11, v12
	v_and_b32_e32 v11, 64, v213
	v_add_u32_e32 v11, 64, v11
	v_xor_b32_e32 v12, 32, v213
	v_cmp_lt_i32_e32 vcc, v12, v11
	s_nop 1
	v_cndmask_b32_e32 v12, v213, v12, vcc
	v_lshlrev_b32_e32 v21, 2, v12
	ds_bpermute_b32 v12, v21, v10
	s_waitcnt lgkmcnt(0)
	v_max_f32_e32 v12, v12, v12
	v_max_f32_e32 v10, v10, v12
	v_xor_b32_e32 v12, 16, v213
	v_cmp_lt_i32_e32 vcc, v12, v11
	s_nop 1
	v_cndmask_b32_e32 v11, v213, v12, vcc
	v_lshlrev_b32_e32 v24, 2, v11
	ds_bpermute_b32 v11, v24, v10
	s_waitcnt lgkmcnt(0)
	v_max_f32_e32 v11, v11, v11
	v_max_f32_e32 v20, v10, v11
	v_sub_f32_e32 v6, v6, v20
	v_mul_f32_e32 v10, 0x3fb8aa3b, v6
	v_fma_f32 v11, v6, s47, -v10
	v_rndne_f32_e32 v12, v10
	v_fmac_f32_e32 v11, 0x32a5705f, v6
	v_sub_f32_e32 v10, v10, v12
	v_add_f32_e32 v10, v10, v11
	v_exp_f32_e32 v10, v10
	v_cvt_i32_f32_e32 v11, v12
	v_cmp_ngt_f32_e32 vcc, s2, v6
	v_sub_f32_e32 v7, v7, v20
	v_sub_f32_e32 v8, v8, v20
	v_ldexp_f32 v10, v10, v11
	v_cndmask_b32_e32 v10, 0, v10, vcc
	v_cmp_nlt_f32_e32 vcc, s33, v6
	v_sub_f32_e32 v9, v9, v20
	v_sub_f32_e32 v5, v5, v20
	v_cndmask_b32_e32 v6, v214, v10, vcc
	v_mul_f32_e32 v10, 0x3fb8aa3b, v7
	v_fma_f32 v11, v7, s47, -v10
	v_rndne_f32_e32 v12, v10
	v_fmac_f32_e32 v11, 0x32a5705f, v7
	v_sub_f32_e32 v10, v10, v12
	v_add_f32_e32 v10, v10, v11
	v_exp_f32_e32 v10, v10
	v_cvt_i32_f32_e32 v11, v12
	v_cmp_ngt_f32_e32 vcc, s2, v7
	v_sub_f32_e32 v4, v4, v20
	v_sub_f32_e32 v3, v3, v20
	v_ldexp_f32 v10, v10, v11
	v_mul_f32_e32 v11, 0x3fb8aa3b, v8
	v_fma_f32 v12, v8, s47, -v11
	v_rndne_f32_e32 v13, v11
	v_fmac_f32_e32 v12, 0x32a5705f, v8
	v_sub_f32_e32 v11, v11, v13
	v_add_f32_e32 v11, v11, v12
	v_exp_f32_e32 v11, v11
	v_cvt_i32_f32_e32 v12, v13
	v_cndmask_b32_e32 v10, 0, v10, vcc
	v_cmp_nlt_f32_e32 vcc, s33, v7
	v_sub_f32_e32 v2, v2, v20
	v_ldexp_f32 v11, v11, v12
	v_cndmask_b32_e32 v7, v214, v10, vcc
	v_cmp_ngt_f32_e32 vcc, s2, v8
	v_add_f32_e32 v10, v6, v7
	s_nop 0
	v_cndmask_b32_e32 v11, 0, v11, vcc
	v_cmp_nlt_f32_e32 vcc, s33, v8
	s_nop 1
	v_cndmask_b32_e32 v8, v214, v11, vcc
	v_mul_f32_e32 v11, 0x3fb8aa3b, v9
	v_fma_f32 v12, v9, s47, -v11
	v_rndne_f32_e32 v13, v11
	v_fmac_f32_e32 v12, 0x32a5705f, v9
	v_sub_f32_e32 v11, v11, v13
	v_add_f32_e32 v11, v11, v12
	v_exp_f32_e32 v11, v11
	v_cvt_i32_f32_e32 v12, v13
	v_cmp_ngt_f32_e32 vcc, s2, v9
	v_add_f32_e32 v10, v8, v10
	v_ldexp_f32 v11, v11, v12
	v_cndmask_b32_e32 v11, 0, v11, vcc
	v_cmp_nlt_f32_e32 vcc, s33, v9
	s_nop 1
	v_cndmask_b32_e32 v9, v214, v11, vcc
	v_mul_f32_e32 v11, 0x3fb8aa3b, v5
	v_fma_f32 v12, v5, s47, -v11
	v_rndne_f32_e32 v13, v11
	v_fmac_f32_e32 v12, 0x32a5705f, v5
	v_sub_f32_e32 v11, v11, v13
	v_add_f32_e32 v11, v11, v12
	v_exp_f32_e32 v11, v11
	v_cvt_i32_f32_e32 v12, v13
	v_cmp_ngt_f32_e32 vcc, s2, v5
	v_add_f32_e32 v10, v9, v10
	v_ldexp_f32 v11, v11, v12
	v_cndmask_b32_e32 v11, 0, v11, vcc
	v_cmp_nlt_f32_e32 vcc, s33, v5
	s_nop 1
	v_cndmask_b32_e32 v28, v214, v11, vcc
	v_add_f32_e32 v5, v28, v10
	v_mul_f32_e32 v10, 0x3fb8aa3b, v4
	v_fma_f32 v11, v4, s47, -v10
	v_rndne_f32_e32 v12, v10
	v_fmac_f32_e32 v11, 0x32a5705f, v4
	v_sub_f32_e32 v10, v10, v12
	v_add_f32_e32 v10, v10, v11
	v_exp_f32_e32 v10, v10
	v_cvt_i32_f32_e32 v11, v12
	v_cmp_ngt_f32_e32 vcc, s2, v4
	v_ldexp_f32 v10, v10, v11
	s_nop 0
	v_cndmask_b32_e32 v10, 0, v10, vcc
	v_cmp_nlt_f32_e32 vcc, s33, v4
	s_nop 1
	v_cndmask_b32_e32 v29, v214, v10, vcc
	v_add_f32_e32 v4, v29, v5
	v_mul_f32_e32 v5, 0x3fb8aa3b, v3
	v_fma_f32 v10, v3, s47, -v5
	v_rndne_f32_e32 v11, v5
	v_fmac_f32_e32 v10, 0x32a5705f, v3
	v_sub_f32_e32 v5, v5, v11
	v_add_f32_e32 v5, v5, v10
	v_exp_f32_e32 v5, v5
	v_cvt_i32_f32_e32 v10, v11
	v_cmp_ngt_f32_e32 vcc, s2, v3
	v_ldexp_f32 v5, v5, v10
	s_nop 0
	;; [unrolled: 16-line block ×3, first 2 shown]
	v_cndmask_b32_e32 v4, 0, v4, vcc
	v_cmp_nlt_f32_e32 vcc, s33, v2
	v_sub_f32_e32 v2, v101, v20
	s_nop 0
	v_cndmask_b32_e32 v44, v214, v4, vcc
	v_add_f32_e32 v25, v44, v3
	v_mul_f32_e32 v3, 0x3fb8aa3b, v2
	v_fma_f32 v4, v2, s47, -v3
	v_rndne_f32_e32 v5, v3
	v_fmac_f32_e32 v4, 0x32a5705f, v2
	v_sub_f32_e32 v3, v3, v5
	v_add_f32_e32 v3, v3, v4
	v_exp_f32_e32 v3, v3
	v_cvt_i32_f32_e32 v4, v5
	v_cmp_ngt_f32_e32 vcc, s2, v2
	v_ldexp_f32 v3, v3, v4
	s_nop 0
	v_cndmask_b32_e32 v3, 0, v3, vcc
	v_cmp_nlt_f32_e32 vcc, s33, v2
	v_lshl_add_u64 v[4:5], v[64:65], 2, s[10:11]
	s_nop 0
	v_cndmask_b32_e32 v3, v214, v3, vcc
	v_cmp_le_f32_e32 vcc, s8, v2
	s_nop 1
	v_cndmask_b32_e32 v2, 0, v3, vcc
	v_fmac_f32_e32 v25, v103, v2
	v_cvt_f16_f32_e32 v2, v2
	v_mul_u32_u24_e32 v2, 0x10001, v2
	v_pk_mul_f16 v19, v19, v2
	v_pk_mul_f16 v18, v18, v2
	;; [unrolled: 1-line block ×16, first 2 shown]
	v_lshl_add_u64 v[2:3], v[62:63], 2, s[10:11]
	v_lshl_add_u64 v[22:23], v[4:5], 0, v[50:51]
	;; [unrolled: 1-line block ×7, first 2 shown]
	global_load_dwordx4 v[2:5], v[2:3], off
	v_cvt_f32_f16_sdwa v43, v13 dst_sel:DWORD dst_unused:UNUSED_PAD src0_sel:WORD_1
	v_cvt_f32_f16_sdwa v45, v12 dst_sel:DWORD dst_unused:UNUSED_PAD src0_sel:WORD_1
	v_cvt_f32_f16_e32 v130, v15
	v_cvt_f32_f16_sdwa v131, v15 dst_sel:DWORD dst_unused:UNUSED_PAD src0_sel:WORD_1
	v_cvt_f32_f16_e32 v132, v14
	v_cvt_f32_f16_sdwa v133, v14 dst_sel:DWORD dst_unused:UNUSED_PAD src0_sel:WORD_1
	s_cselect_b64 s[10:11], -1, 0
	s_and_b64 s[14:15], s[0:1], s[10:11]
	s_waitcnt vmcnt(0)
	ds_write_b128 v154, v[2:5]
	global_load_dwordx4 v[2:5], v[22:23], off
	s_waitcnt vmcnt(0)
	ds_write_b128 v184, v[2:5]
	global_load_dwordx4 v[2:5], v[26:27], off
	;; [unrolled: 3-line block ×3, first 2 shown]
	s_waitcnt vmcnt(0)
	ds_write_b128 v186, v[2:5]
	s_waitcnt lgkmcnt(0)
	s_barrier
	ds_read_u16 v22, v152 offset:272
	ds_read_u16 v23, v152 offset:544
	v_cvt_f32_f16_e32 v4, v18
	v_cvt_f32_f16_sdwa v5, v18 dst_sel:DWORD dst_unused:UNUSED_PAD src0_sel:WORD_1
	ds_read_u16 v18, v153
	ds_read_u16 v27, v153 offset:32
	v_cvt_f32_f16_e32 v2, v19
	v_cvt_f32_f16_sdwa v3, v19 dst_sel:DWORD dst_unused:UNUSED_PAD src0_sel:WORD_1
	s_waitcnt lgkmcnt(1)
	v_perm_b32 v19, v18, v23, s9
	ds_read_u16 v18, v152
	ds_read_u16 v30, v152 offset:32
	v_cvt_pk_f16_f32 v23, v8, v9
	s_waitcnt lgkmcnt(1)
	v_perm_b32 v18, v22, v18, s9
	v_cvt_pk_f16_f32 v22, v6, v7
	ds_read_u16 v6, v152 offset:8704
	ds_read_u16 v8, v152 offset:8976
	;; [unrolled: 1-line block ×4, first 2 shown]
	v_mfma_f32_16x16x16_f16 v[2:5], v[18:19], v[22:23], v[2:5]
	s_waitcnt lgkmcnt(2)
	v_perm_b32 v6, v8, v6, s9
	s_waitcnt lgkmcnt(0)
	v_perm_b32 v7, v9, v7, s9
	v_cvt_pk_f16_f32 v19, v41, v44
	s_nop 2
	v_cvt_f16_f32_e32 v2, v2
	v_cvt_f16_f32_e32 v3, v3
	;; [unrolled: 1-line block ×4, first 2 shown]
	v_cvt_f32_f16_e32 v2, v2
	v_cvt_f32_f16_e32 v3, v3
	;; [unrolled: 1-line block ×4, first 2 shown]
	v_cvt_pk_f16_f32 v18, v28, v29
	ds_read_u16 v8, v152 offset:304
	ds_read_u16 v9, v152 offset:576
	v_mfma_f32_16x16x16_f16 v[2:5], v[6:7], v[18:19], v[2:5]
	v_cvt_f32_f16_e32 v6, v33
	s_waitcnt lgkmcnt(1)
	v_perm_b32 v8, v8, v30, s9
	s_waitcnt lgkmcnt(0)
	v_perm_b32 v9, v27, v9, s9
	v_cvt_f32_f16_sdwa v7, v33 dst_sel:DWORD dst_unused:UNUSED_PAD src0_sel:WORD_1
	s_nop 1
	v_cvt_f16_f32_e32 v4, v4
	v_cvt_f16_f32_e32 v5, v5
	v_cvt_f32_f16_sdwa v41, v10 dst_sel:DWORD dst_unused:UNUSED_PAD src0_sel:WORD_1
	v_cvt_f32_f16_e32 v44, v12
	v_cvt_f16_f32_e32 v28, v2
	v_perm_b32 v26, v5, v4, s9
	v_cvt_f32_f16_e32 v4, v40
	v_cvt_f32_f16_sdwa v5, v40 dst_sel:DWORD dst_unused:UNUSED_PAD src0_sel:WORD_1
	v_cvt_f32_f16_e32 v40, v10
	v_cvt_f16_f32_e32 v29, v3
	v_mfma_f32_16x16x16_f16 v[4:7], v[8:9], v[22:23], v[4:7]
	ds_read_u16 v8, v152 offset:8736
	ds_read_u16 v27, v152 offset:9008
	;; [unrolled: 1-line block ×4, first 2 shown]
	v_perm_b32 v28, v29, v28, s9
	s_nop 2
	v_cvt_f16_f32_e32 v4, v4
	v_cvt_f16_f32_e32 v5, v5
	;; [unrolled: 1-line block ×4, first 2 shown]
	s_waitcnt lgkmcnt(0)
	v_perm_b32 v9, v30, v9, s9
	v_perm_b32 v8, v27, v8, s9
	v_cvt_f32_f16_e32 v4, v4
	v_cvt_f32_f16_e32 v5, v5
	;; [unrolled: 1-line block ×4, first 2 shown]
	ds_read_u16 v30, v152 offset:64
	ds_read_u16 v35, v152 offset:336
	;; [unrolled: 1-line block ×4, first 2 shown]
	v_mfma_f32_16x16x16_f16 v[4:7], v[8:9], v[18:19], v[4:7]
	v_cvt_f32_f16_e32 v8, v36
	v_cvt_f32_f16_sdwa v9, v36 dst_sel:DWORD dst_unused:UNUSED_PAD src0_sel:WORD_1
	s_waitcnt lgkmcnt(2)
	v_perm_b32 v36, v35, v30, s9
	s_nop 3
	v_cvt_f16_f32_e32 v6, v6
	v_cvt_f16_f32_e32 v7, v7
	;; [unrolled: 1-line block ×4, first 2 shown]
	v_perm_b32 v27, v7, v6, s9
	v_cvt_f32_f16_e32 v6, v37
	v_cvt_f32_f16_sdwa v7, v37 dst_sel:DWORD dst_unused:UNUSED_PAD src0_sel:WORD_1
	s_waitcnt lgkmcnt(0)
	v_perm_b32 v37, v39, v38, s9
	v_cvt_f32_f16_e32 v38, v11
	v_cvt_f32_f16_sdwa v39, v11 dst_sel:DWORD dst_unused:UNUSED_PAD src0_sel:WORD_1
	v_mfma_f32_16x16x16_f16 v[6:9], v[36:37], v[22:23], v[6:9]
	ds_read_u16 v30, v152 offset:8768
	ds_read_u16 v35, v152 offset:9040
	ds_read_u16 v36, v152 offset:9312
	ds_read_u16 v37, v153 offset:8768
	v_perm_b32 v33, v34, v33, s9
	s_nop 2
	v_cvt_f16_f32_e32 v6, v6
	v_cvt_f16_f32_e32 v7, v7
	;; [unrolled: 1-line block ×4, first 2 shown]
	s_waitcnt lgkmcnt(0)
	v_perm_b32 v37, v37, v36, s9
	v_perm_b32 v36, v35, v30, s9
	v_cvt_f32_f16_e32 v6, v6
	v_cvt_f32_f16_e32 v7, v7
	;; [unrolled: 1-line block ×4, first 2 shown]
	s_nop 1
	v_mfma_f32_16x16x16_f16 v[6:9], v[36:37], v[18:19], v[6:9]
	s_nop 7
	v_cvt_f16_f32_e32 v8, v8
	v_cvt_f16_f32_e32 v9, v9
	;; [unrolled: 1-line block ×4, first 2 shown]
	v_perm_b32 v30, v9, v8, s9
	ds_read_u16 v8, v152 offset:96
	ds_read_u16 v35, v152 offset:368
	;; [unrolled: 1-line block ×4, first 2 shown]
	s_waitcnt lgkmcnt(2)
	v_perm_b32 v8, v35, v8, s9
	s_waitcnt lgkmcnt(0)
	v_perm_b32 v9, v42, v9, s9
	v_cvt_f32_f16_e32 v42, v13
	s_nop 0
	v_mfma_f32_16x16x16_f16 v[8:11], v[8:9], v[22:23], v[38:41]
	ds_read_u16 v35, v152 offset:8800
	s_nop 1
	ds_read_u16 v38, v152 offset:9072
	ds_read_u16 v39, v152 offset:9344
	;; [unrolled: 1-line block ×3, first 2 shown]
	s_nop 1
	v_cvt_f16_f32_e32 v8, v8
	v_cvt_f16_f32_e32 v9, v9
	;; [unrolled: 1-line block ×4, first 2 shown]
	s_waitcnt lgkmcnt(0)
	v_perm_b32 v39, v40, v39, s9
	v_perm_b32 v38, v38, v35, s9
	v_cvt_f32_f16_e32 v8, v8
	v_cvt_f32_f16_e32 v9, v9
	v_cvt_f32_f16_e32 v10, v10
	v_cvt_f32_f16_e32 v11, v11
	s_nop 1
	v_mfma_f32_16x16x16_f16 v[8:11], v[38:39], v[18:19], v[8:11]
	s_nop 7
	v_cvt_f16_f32_e32 v10, v10
	v_cvt_f16_f32_e32 v11, v11
	v_cvt_f16_f32_e32 v39, v8
	v_cvt_f16_f32_e32 v40, v9
	v_perm_b32 v35, v11, v10, s9
	ds_read_u16 v10, v152 offset:128
	ds_read_u16 v38, v152 offset:400
	;; [unrolled: 1-line block ×4, first 2 shown]
	s_waitcnt lgkmcnt(2)
	v_perm_b32 v10, v38, v10, s9
	s_waitcnt lgkmcnt(0)
	v_perm_b32 v11, v41, v11, s9
	s_nop 1
	v_mfma_f32_16x16x16_f16 v[10:13], v[10:11], v[22:23], v[42:45]
	ds_read_u16 v38, v152 offset:8832
	ds_read_u16 v41, v152 offset:9104
	s_nop 0
	ds_read_u16 v42, v152 offset:9376
	ds_read_u16 v43, v153 offset:8832
	s_nop 2
	v_cvt_f16_f32_e32 v10, v10
	v_cvt_f16_f32_e32 v11, v11
	;; [unrolled: 1-line block ×4, first 2 shown]
	s_waitcnt lgkmcnt(0)
	v_perm_b32 v43, v43, v42, s9
	v_perm_b32 v42, v41, v38, s9
	v_cvt_f32_f16_e32 v10, v10
	v_cvt_f32_f16_e32 v11, v11
	;; [unrolled: 1-line block ×4, first 2 shown]
	s_nop 1
	v_mfma_f32_16x16x16_f16 v[10:13], v[42:43], v[18:19], v[10:13]
	s_nop 7
	v_cvt_f16_f32_e32 v12, v12
	v_cvt_f16_f32_e32 v13, v13
	;; [unrolled: 1-line block ×4, first 2 shown]
	v_perm_b32 v38, v13, v12, s9
	ds_read_u16 v12, v152 offset:160
	ds_read_u16 v41, v152 offset:432
	;; [unrolled: 1-line block ×4, first 2 shown]
	s_waitcnt lgkmcnt(2)
	v_perm_b32 v12, v41, v12, s9
	s_waitcnt lgkmcnt(0)
	v_perm_b32 v13, v44, v13, s9
	ds_read_u16 v41, v152 offset:8864
	ds_read_u16 v44, v152 offset:9136
	;; [unrolled: 1-line block ×4, first 2 shown]
	v_mfma_f32_16x16x16_f16 v[12:15], v[12:13], v[22:23], v[130:133]
	s_waitcnt lgkmcnt(0)
	v_perm_b32 v45, v50, v45, s9
	v_perm_b32 v44, v44, v41, s9
	v_cvt_f32_f16_e32 v130, v17
	s_nop 3
	v_cvt_f16_f32_e32 v12, v12
	v_cvt_f16_f32_e32 v13, v13
	v_cvt_f16_f32_e32 v14, v14
	v_cvt_f16_f32_e32 v15, v15
	v_cvt_f32_f16_e32 v12, v12
	v_cvt_f32_f16_e32 v13, v13
	;; [unrolled: 1-line block ×4, first 2 shown]
	v_cvt_f32_f16_sdwa v131, v17 dst_sel:DWORD dst_unused:UNUSED_PAD src0_sel:WORD_1
	v_cvt_f32_f16_e32 v132, v16
	v_mfma_f32_16x16x16_f16 v[12:15], v[44:45], v[18:19], v[12:15]
	v_cvt_f32_f16_sdwa v133, v16 dst_sel:DWORD dst_unused:UNUSED_PAD src0_sel:WORD_1
	s_nop 6
	v_cvt_f16_f32_e32 v14, v14
	v_cvt_f16_f32_e32 v15, v15
	;; [unrolled: 1-line block ×4, first 2 shown]
	v_perm_b32 v41, v15, v14, s9
	ds_read_u16 v14, v152 offset:192
	ds_read_u16 v44, v152 offset:464
	;; [unrolled: 1-line block ×4, first 2 shown]
	s_waitcnt lgkmcnt(2)
	v_perm_b32 v14, v44, v14, s9
	s_waitcnt lgkmcnt(0)
	v_perm_b32 v15, v101, v15, s9
	ds_read_u16 v44, v152 offset:8896
	ds_read_u16 v101, v152 offset:9168
	;; [unrolled: 1-line block ×4, first 2 shown]
	v_mfma_f32_16x16x16_f16 v[14:17], v[14:15], v[22:23], v[130:133]
	s_waitcnt lgkmcnt(0)
	s_nop 1
	v_perm_b32 v131, v105, v103, s9
	v_perm_b32 v130, v101, v44, s9
	v_cvt_f32_f16_e32 v132, v31
	s_nop 1
	v_cvt_f16_f32_e32 v14, v14
	v_cvt_f16_f32_e32 v15, v15
	;; [unrolled: 1-line block ×4, first 2 shown]
	v_cvt_f32_f16_e32 v14, v14
	v_cvt_f32_f16_e32 v15, v15
	v_cvt_f32_f16_e32 v16, v16
	v_cvt_f32_f16_e32 v17, v17
	v_cvt_f32_f16_sdwa v133, v31 dst_sel:DWORD dst_unused:UNUSED_PAD src0_sel:WORD_1
	s_nop 0
	v_mfma_f32_16x16x16_f16 v[14:17], v[130:131], v[18:19], v[14:17]
	v_cvt_f32_f16_e32 v130, v32
	v_cvt_f32_f16_sdwa v131, v32 dst_sel:DWORD dst_unused:UNUSED_PAD src0_sel:WORD_1
	s_nop 5
	v_cvt_f16_f32_e32 v16, v16
	v_cvt_f16_f32_e32 v17, v17
	;; [unrolled: 1-line block ×4, first 2 shown]
	v_perm_b32 v44, v17, v16, s9
	ds_read_u16 v16, v152 offset:224
	ds_read_u16 v105, v152 offset:496
	;; [unrolled: 1-line block ×4, first 2 shown]
	s_waitcnt lgkmcnt(2)
	v_perm_b32 v16, v105, v16, s9
	s_waitcnt lgkmcnt(0)
	v_perm_b32 v17, v107, v17, s9
	s_nop 1
	v_mfma_f32_16x16x16_f16 v[130:133], v[16:17], v[22:23], v[130:133]
	ds_read_u16 v16, v152 offset:8928
	ds_read_u16 v17, v152 offset:9200
	;; [unrolled: 1-line block ×4, first 2 shown]
	s_waitcnt lgkmcnt(0)
	s_barrier
	s_nop 1
	v_cvt_f16_f32_e32 v22, v130
	v_cvt_f16_f32_e32 v23, v131
	;; [unrolled: 1-line block ×4, first 2 shown]
	v_cvt_f32_f16_e32 v130, v22
	v_cvt_f32_f16_e32 v131, v23
	v_perm_b32 v23, v107, v105, s9
	v_perm_b32 v22, v17, v16, s9
	v_cvt_f32_f16_e32 v132, v31
	v_cvt_f32_f16_e32 v133, v32
	v_perm_b32 v31, v40, v39, s9
	v_perm_b32 v32, v37, v36, s9
	v_mfma_f32_16x16x16_f16 v[16:19], v[22:23], v[18:19], v[130:133]
	s_nop 7
	v_cvt_f16_f32_e32 v18, v18
	v_cvt_f16_f32_e32 v19, v19
	;; [unrolled: 1-line block ×4, first 2 shown]
	v_perm_b32 v18, v19, v18, s9
	ds_bpermute_b32 v19, v21, v25
	s_waitcnt lgkmcnt(0)
	v_add_f32_e32 v19, v25, v19
	ds_bpermute_b32 v21, v24, v19
	v_perm_b32 v25, v43, v42, s9
	s_waitcnt lgkmcnt(0)
	v_add_f32_e32 v21, v19, v21
	v_perm_b32 v19, v23, v22, s9
	v_perm_b32 v22, v103, v101, s9
	;; [unrolled: 1-line block ×3, first 2 shown]
	s_and_saveexec_b64 s[10:11], s[14:15]
	s_cbranch_execz .LBB24_189
; %bb.188:                              ;   in Loop: Header=BB24_12 Depth=1
	v_lshlrev_b32_e32 v19, 2, v98
	global_load_dword v19, v19, s[76:77]
	v_cvt_pk_f16_f32 v22, v2, v3
	v_max_f32_e32 v2, v20, v20
	v_cvt_pk_f16_f32 v4, v4, v5
	v_cvt_pk_f16_f32 v5, v6, v7
	;; [unrolled: 1-line block ×5, first 2 shown]
	s_waitcnt vmcnt(0)
	v_max_f32_e32 v3, v19, v19
	v_max_f32_e32 v2, v2, v3
	v_sub_f32_e32 v3, v20, v2
	v_sub_f32_e32 v9, v19, v2
	v_mul_f32_e32 v10, 0x3fb8aa3b, v3
	v_mul_f32_e32 v11, 0x3fb8aa3b, v9
	v_fma_f32 v12, v3, s47, -v10
	v_rndne_f32_e32 v13, v10
	v_fma_f32 v19, v9, s47, -v11
	v_rndne_f32_e32 v20, v11
	v_fmac_f32_e32 v12, 0x32a5705f, v3
	v_sub_f32_e32 v10, v10, v13
	v_fmac_f32_e32 v19, 0x32a5705f, v9
	v_sub_f32_e32 v11, v11, v20
	v_add_f32_e32 v10, v10, v12
	v_cvt_i32_f32_e32 v13, v13
	v_add_f32_e32 v11, v11, v19
	v_exp_f32_e32 v10, v10
	v_cvt_i32_f32_e32 v20, v20
	v_exp_f32_e32 v11, v11
	v_cmp_ngt_f32_e32 vcc, s2, v3
	v_ldexp_f32 v10, v10, v13
	v_cvt_pk_f16_f32 v12, v14, v15
	v_ldexp_f32 v11, v11, v20
	v_cndmask_b32_e32 v10, 0, v10, vcc
	v_cmp_ngt_f32_e32 vcc, s2, v9
	v_cvt_pk_f16_f32 v14, v16, v17
	s_nop 0
	v_cndmask_b32_e32 v11, 0, v11, vcc
	v_cmp_nlt_f32_e32 vcc, s33, v3
	s_nop 1
	v_cndmask_b32_e32 v10, v214, v10, vcc
	v_cmp_le_f32_e32 vcc, s8, v3
	s_nop 1
	v_cndmask_b32_e32 v10, 0, v10, vcc
	v_cvt_f16_f32_e32 v13, v10
	v_cmp_nlt_f32_e32 vcc, s33, v9
	v_mul_u32_u24_e32 v9, 0x10001, v13
	s_nop 0
	v_cndmask_b32_e32 v3, v214, v11, vcc
	v_fmac_f32_e32 v3, v21, v10
	v_pk_mul_f16 v28, v22, v9
	v_pk_mul_f16 v26, v26, v9
	;; [unrolled: 1-line block ×16, first 2 shown]
	v_mov_b64_e32 v[20:21], v[2:3]
.LBB24_189:                             ;   in Loop: Header=BB24_12 Depth=1
	s_or_b64 exec, exec, s[10:11]
	s_and_saveexec_b64 s[10:11], s[6:7]
; %bb.190:                              ;   in Loop: Header=BB24_12 Depth=1
	v_add_u32_e32 v2, 0, v159
	ds_write2_b32 v2, v20, v21 offset0:64 offset1:65
; %bb.191:                              ;   in Loop: Header=BB24_12 Depth=1
	s_or_b64 exec, exec, s[10:11]
	s_waitcnt lgkmcnt(0)
	s_barrier
	s_and_saveexec_b64 s[10:11], s[12:13]
	s_xor_b64 s[10:11], exec, s[10:11]
	s_cbranch_execz .LBB24_193
; %bb.192:                              ;   in Loop: Header=BB24_12 Depth=1
	s_barrier
                                        ; implicit-def: $vgpr24
.LBB24_193:                             ;   in Loop: Header=BB24_12 Depth=1
	s_andn2_saveexec_b64 s[10:11], s[10:11]
	s_cbranch_execz .LBB24_197
; %bb.194:                              ;   in Loop: Header=BB24_12 Depth=1
	v_add_u32_e32 v4, 0, v160
	ds_read_b64 v[2:3], v4 offset:256
	s_waitcnt lgkmcnt(0)
	s_barrier
	ds_bpermute_b32 v5, v24, v2
	v_max_f32_e32 v6, v2, v2
	s_waitcnt lgkmcnt(0)
	v_max_f32_e32 v5, v5, v5
	v_max_f32_e32 v5, v6, v5
	v_sub_f32_e32 v2, v2, v5
	v_mul_f32_e32 v5, 0x3fb8aa3b, v2
	v_fma_f32 v6, v2, s47, -v5
	v_rndne_f32_e32 v7, v5
	v_fmac_f32_e32 v6, 0x32a5705f, v2
	v_sub_f32_e32 v5, v5, v7
	v_add_f32_e32 v5, v5, v6
	v_cvt_i32_f32_e32 v7, v7
	v_exp_f32_e32 v5, v5
	v_cmp_ngt_f32_e32 vcc, s2, v2
	v_ldexp_f32 v5, v5, v7
	s_nop 0
	v_cndmask_b32_e32 v5, 0, v5, vcc
	v_cmp_nlt_f32_e32 vcc, s33, v2
	s_nop 1
	v_cndmask_b32_e32 v2, v214, v5, vcc
	v_mul_f32_e32 v3, v3, v2
	ds_bpermute_b32 v5, v24, v3
	s_mov_b64 s[14:15], exec
	v_readlane_b32 s64, v228, 12
	v_readlane_b32 s65, v228, 13
	s_and_b64 s[64:65], s[14:15], s[64:65]
	s_mov_b64 exec, s[64:65]
	s_cbranch_execz .LBB24_196
; %bb.195:                              ;   in Loop: Header=BB24_12 Depth=1
	s_waitcnt lgkmcnt(0)
	v_add_f32_e32 v3, v3, v5
	ds_write_b64 v4, v[2:3] offset:256
.LBB24_196:                             ;   in Loop: Header=BB24_12 Depth=1
	s_or_b64 exec, exec, s[14:15]
.LBB24_197:                             ;   in Loop: Header=BB24_12 Depth=1
	s_or_b64 exec, exec, s[10:11]
	v_add_u32_e32 v2, v155, v161
	ds_write2_b32 v2, v28, v26 offset1:1
	ds_write2_b32 v2, v33, v27 offset0:8 offset1:9
	ds_write2_b32 v2, v32, v30 offset0:16 offset1:17
	;; [unrolled: 1-line block ×7, first 2 shown]
	s_waitcnt lgkmcnt(0)
	s_barrier
	s_and_saveexec_b64 s[76:77], s[0:1]
	s_cbranch_execz .LBB24_10
; %bb.198:                              ;   in Loop: Header=BB24_12 Depth=1
	v_add_u32_e32 v3, s84, v200
	v_or_b32_e32 v2, s88, v110
	v_cmp_gt_i32_e32 vcc, s36, v3
	v_cmp_gt_i32_e64 s[10:11], s3, v2
	s_and_b64 s[64:65], vcc, s[10:11]
	v_mov_b32_e32 v2, 0x47
	s_and_saveexec_b64 s[14:15], s[64:65]
	s_cbranch_execz .LBB24_200
; %bb.199:                              ;   in Loop: Header=BB24_12 Depth=1
	v_mad_u64_u32 v[2:3], s[64:65], v3, s37, v[110:111]
	v_add_u32_e32 v8, 0, v162
	v_add_u32_e32 v3, v182, v162
	ds_read2_b32 v[4:5], v8 offset0:64 offset1:65
	ds_read2st64_b32 v[6:7], v3 offset1:17
	ds_read_b32 v8, v8 offset:4608
	v_lshl_add_u32 v2, v2, 6, v46
	v_ashrrev_i32_e32 v3, 31, v2
	v_lshl_add_u64 v[2:3], v[2:3], 3, s[74:75]
	s_waitcnt lgkmcnt(1)
	v_cvt_f32_f16_e32 v10, v6
	v_cvt_f32_f16_sdwa v11, v6 dst_sel:DWORD dst_unused:UNUSED_PAD src0_sel:WORD_1
	v_cvt_f32_f16_e32 v6, v7
	v_cvt_f32_f16_sdwa v7, v7 dst_sel:DWORD dst_unused:UNUSED_PAD src0_sel:WORD_1
	v_pk_fma_f32 v[10:11], v[4:5], v[10:11], 0 op_sel_hi:[0,1,0]
	s_waitcnt lgkmcnt(0)
	v_pk_fma_f32 v[6:7], v[8:9], v[6:7], v[10:11] op_sel_hi:[0,1,1]
	v_div_scale_f32 v4, s[64:65], v5, v5, v7
	v_rcp_f32_e32 v8, v4
	s_nop 0
	v_fma_f32 v9, -v4, v8, 1.0
	v_fmac_f32_e32 v8, v9, v8
	v_div_scale_f32 v9, vcc, v7, v5, v7
	v_mul_f32_e32 v10, v9, v8
	v_fma_f32 v11, -v4, v10, v9
	v_fmac_f32_e32 v10, v11, v8
	v_fma_f32 v4, -v4, v10, v9
	v_div_fmas_f32 v4, v4, v8, v10
	v_div_fixup_f32 v7, v4, v5, v7
	v_div_scale_f32 v4, s[64:65], v5, v5, v6
	v_rcp_f32_e32 v8, v4
	s_nop 0
	v_fma_f32 v9, -v4, v8, 1.0
	v_fmac_f32_e32 v8, v9, v8
	v_div_scale_f32 v9, vcc, v6, v5, v6
	v_mul_f32_e32 v10, v9, v8
	v_fma_f32 v11, -v4, v10, v9
	v_fmac_f32_e32 v10, v11, v8
	v_fma_f32 v4, -v4, v10, v9
	v_div_fmas_f32 v4, v4, v8, v10
	v_div_fixup_f32 v6, v4, v5, v6
	global_store_dwordx2 v[2:3], v[6:7], off
	v_mov_b32_e32 v2, 0
.LBB24_200:                             ;   in Loop: Header=BB24_12 Depth=1
	s_or_b64 exec, exec, s[14:15]
	s_movk_i32 s14, 0x47
	v_cmp_gt_i32_e32 vcc, s14, v2
	s_mov_b64 s[14:15], -1
	s_and_saveexec_b64 s[78:79], vcc
; %bb.201:                              ;   in Loop: Header=BB24_12 Depth=1
	v_cmp_eq_u32_e32 vcc, 0, v2
	s_orn2_b64 s[14:15], vcc, exec
; %bb.202:                              ;   in Loop: Header=BB24_12 Depth=1
	s_or_b64 exec, exec, s[78:79]
	s_and_b64 exec, exec, s[14:15]
	s_cbranch_execz .LBB24_10
; %bb.203:                              ;   in Loop: Header=BB24_12 Depth=1
	v_add_u32_e32 v3, s84, v201
	v_or_b32_e32 v2, s88, v74
	v_cmp_gt_i32_e32 vcc, s36, v3
	v_cmp_gt_i32_e64 s[14:15], s3, v2
	s_and_b64 s[64:65], vcc, s[14:15]
	v_mov_b32_e32 v2, 0x47
	s_and_saveexec_b64 s[14:15], s[64:65]
	s_cbranch_execz .LBB24_205
; %bb.204:                              ;   in Loop: Header=BB24_12 Depth=1
	v_mad_u64_u32 v[2:3], s[64:65], v3, s37, v[74:75]
	v_add_u32_e32 v8, 0, v163
	v_add_u32_e32 v3, v182, v163
	ds_read2_b32 v[4:5], v8 offset0:64 offset1:65
	ds_read2st64_b32 v[6:7], v3 offset1:17
	ds_read_b32 v8, v8 offset:4608
	v_lshl_add_u32 v2, v2, 6, v46
	v_ashrrev_i32_e32 v3, 31, v2
	v_lshl_add_u64 v[2:3], v[2:3], 3, s[74:75]
	s_waitcnt lgkmcnt(1)
	v_cvt_f32_f16_e32 v10, v6
	v_cvt_f32_f16_sdwa v11, v6 dst_sel:DWORD dst_unused:UNUSED_PAD src0_sel:WORD_1
	v_cvt_f32_f16_e32 v6, v7
	v_cvt_f32_f16_sdwa v7, v7 dst_sel:DWORD dst_unused:UNUSED_PAD src0_sel:WORD_1
	v_pk_fma_f32 v[10:11], v[4:5], v[10:11], 0 op_sel_hi:[0,1,0]
	s_waitcnt lgkmcnt(0)
	v_pk_fma_f32 v[6:7], v[8:9], v[6:7], v[10:11] op_sel_hi:[0,1,1]
	v_div_scale_f32 v4, s[64:65], v5, v5, v7
	v_rcp_f32_e32 v8, v4
	s_nop 0
	v_fma_f32 v9, -v4, v8, 1.0
	v_fmac_f32_e32 v8, v9, v8
	v_div_scale_f32 v9, vcc, v7, v5, v7
	v_mul_f32_e32 v10, v9, v8
	v_fma_f32 v11, -v4, v10, v9
	v_fmac_f32_e32 v10, v11, v8
	v_fma_f32 v4, -v4, v10, v9
	v_div_fmas_f32 v4, v4, v8, v10
	v_div_fixup_f32 v7, v4, v5, v7
	v_div_scale_f32 v4, s[64:65], v5, v5, v6
	v_rcp_f32_e32 v8, v4
	s_nop 0
	v_fma_f32 v9, -v4, v8, 1.0
	v_fmac_f32_e32 v8, v9, v8
	v_div_scale_f32 v9, vcc, v6, v5, v6
	v_mul_f32_e32 v10, v9, v8
	v_fma_f32 v11, -v4, v10, v9
	v_fmac_f32_e32 v10, v11, v8
	v_fma_f32 v4, -v4, v10, v9
	v_div_fmas_f32 v4, v4, v8, v10
	v_div_fixup_f32 v6, v4, v5, v6
	global_store_dwordx2 v[2:3], v[6:7], off
	v_mov_b32_e32 v2, 0
.LBB24_205:                             ;   in Loop: Header=BB24_12 Depth=1
	s_or_b64 exec, exec, s[14:15]
	s_movk_i32 s14, 0x47
	v_cmp_gt_i32_e32 vcc, s14, v2
	s_mov_b64 s[14:15], -1
	s_and_saveexec_b64 s[78:79], vcc
; %bb.206:                              ;   in Loop: Header=BB24_12 Depth=1
	v_cmp_eq_u32_e32 vcc, 0, v2
	s_orn2_b64 s[14:15], vcc, exec
; %bb.207:                              ;   in Loop: Header=BB24_12 Depth=1
	s_or_b64 exec, exec, s[78:79]
	s_and_b64 exec, exec, s[14:15]
	s_cbranch_execz .LBB24_10
; %bb.208:                              ;   in Loop: Header=BB24_12 Depth=1
	v_add_u32_e32 v3, s84, v202
	v_or_b32_e32 v2, s88, v76
	v_cmp_gt_i32_e32 vcc, s36, v3
	v_cmp_gt_i32_e64 s[14:15], s3, v2
	s_and_b64 s[64:65], vcc, s[14:15]
	v_mov_b32_e32 v2, 0x47
	s_and_saveexec_b64 s[14:15], s[64:65]
	s_cbranch_execz .LBB24_210
; %bb.209:                              ;   in Loop: Header=BB24_12 Depth=1
	v_mad_u64_u32 v[2:3], s[64:65], v3, s37, v[76:77]
	v_add_u32_e32 v8, 0, v164
	v_add_u32_e32 v3, v182, v164
	ds_read2_b32 v[4:5], v8 offset0:64 offset1:65
	ds_read2st64_b32 v[6:7], v3 offset1:17
	ds_read_b32 v8, v8 offset:4608
	v_lshl_add_u32 v2, v2, 6, v46
	v_ashrrev_i32_e32 v3, 31, v2
	v_lshl_add_u64 v[2:3], v[2:3], 3, s[74:75]
	s_waitcnt lgkmcnt(1)
	v_cvt_f32_f16_e32 v10, v6
	v_cvt_f32_f16_sdwa v11, v6 dst_sel:DWORD dst_unused:UNUSED_PAD src0_sel:WORD_1
	v_cvt_f32_f16_e32 v6, v7
	v_cvt_f32_f16_sdwa v7, v7 dst_sel:DWORD dst_unused:UNUSED_PAD src0_sel:WORD_1
	v_pk_fma_f32 v[10:11], v[4:5], v[10:11], 0 op_sel_hi:[0,1,0]
	s_waitcnt lgkmcnt(0)
	v_pk_fma_f32 v[6:7], v[8:9], v[6:7], v[10:11] op_sel_hi:[0,1,1]
	v_div_scale_f32 v4, s[64:65], v5, v5, v7
	v_rcp_f32_e32 v8, v4
	s_nop 0
	v_fma_f32 v9, -v4, v8, 1.0
	v_fmac_f32_e32 v8, v9, v8
	v_div_scale_f32 v9, vcc, v7, v5, v7
	v_mul_f32_e32 v10, v9, v8
	v_fma_f32 v11, -v4, v10, v9
	v_fmac_f32_e32 v10, v11, v8
	v_fma_f32 v4, -v4, v10, v9
	v_div_fmas_f32 v4, v4, v8, v10
	v_div_fixup_f32 v7, v4, v5, v7
	v_div_scale_f32 v4, s[64:65], v5, v5, v6
	v_rcp_f32_e32 v8, v4
	s_nop 0
	v_fma_f32 v9, -v4, v8, 1.0
	v_fmac_f32_e32 v8, v9, v8
	v_div_scale_f32 v9, vcc, v6, v5, v6
	v_mul_f32_e32 v10, v9, v8
	v_fma_f32 v11, -v4, v10, v9
	v_fmac_f32_e32 v10, v11, v8
	v_fma_f32 v4, -v4, v10, v9
	v_div_fmas_f32 v4, v4, v8, v10
	v_div_fixup_f32 v6, v4, v5, v6
	global_store_dwordx2 v[2:3], v[6:7], off
	v_mov_b32_e32 v2, 0
.LBB24_210:                             ;   in Loop: Header=BB24_12 Depth=1
	s_or_b64 exec, exec, s[14:15]
	s_movk_i32 s14, 0x47
	v_cmp_gt_i32_e32 vcc, s14, v2
	s_mov_b64 s[14:15], -1
	s_and_saveexec_b64 s[78:79], vcc
; %bb.211:                              ;   in Loop: Header=BB24_12 Depth=1
	v_cmp_eq_u32_e32 vcc, 0, v2
	s_orn2_b64 s[14:15], vcc, exec
; %bb.212:                              ;   in Loop: Header=BB24_12 Depth=1
	s_or_b64 exec, exec, s[78:79]
	s_and_b64 exec, exec, s[14:15]
	s_cbranch_execz .LBB24_10
; %bb.213:                              ;   in Loop: Header=BB24_12 Depth=1
	v_add_u32_e32 v3, s84, v203
	v_or_b32_e32 v2, s88, v78
	v_cmp_gt_i32_e32 vcc, s36, v3
	v_cmp_gt_i32_e64 s[14:15], s3, v2
	s_and_b64 s[64:65], vcc, s[14:15]
	v_mov_b32_e32 v2, 0x47
	s_and_saveexec_b64 s[14:15], s[64:65]
	s_cbranch_execz .LBB24_215
; %bb.214:                              ;   in Loop: Header=BB24_12 Depth=1
	v_mad_u64_u32 v[2:3], s[64:65], v3, s37, v[78:79]
	v_add_u32_e32 v8, 0, v165
	v_add_u32_e32 v3, v182, v165
	ds_read2_b32 v[4:5], v8 offset0:64 offset1:65
	ds_read2st64_b32 v[6:7], v3 offset1:17
	ds_read_b32 v8, v8 offset:4608
	v_lshl_add_u32 v2, v2, 6, v46
	v_ashrrev_i32_e32 v3, 31, v2
	v_lshl_add_u64 v[2:3], v[2:3], 3, s[74:75]
	s_waitcnt lgkmcnt(1)
	v_cvt_f32_f16_e32 v10, v6
	v_cvt_f32_f16_sdwa v11, v6 dst_sel:DWORD dst_unused:UNUSED_PAD src0_sel:WORD_1
	v_cvt_f32_f16_e32 v6, v7
	v_cvt_f32_f16_sdwa v7, v7 dst_sel:DWORD dst_unused:UNUSED_PAD src0_sel:WORD_1
	v_pk_fma_f32 v[10:11], v[4:5], v[10:11], 0 op_sel_hi:[0,1,0]
	s_waitcnt lgkmcnt(0)
	v_pk_fma_f32 v[6:7], v[8:9], v[6:7], v[10:11] op_sel_hi:[0,1,1]
	v_div_scale_f32 v4, s[64:65], v5, v5, v7
	v_rcp_f32_e32 v8, v4
	s_nop 0
	v_fma_f32 v9, -v4, v8, 1.0
	v_fmac_f32_e32 v8, v9, v8
	v_div_scale_f32 v9, vcc, v7, v5, v7
	v_mul_f32_e32 v10, v9, v8
	v_fma_f32 v11, -v4, v10, v9
	v_fmac_f32_e32 v10, v11, v8
	v_fma_f32 v4, -v4, v10, v9
	v_div_fmas_f32 v4, v4, v8, v10
	v_div_fixup_f32 v7, v4, v5, v7
	v_div_scale_f32 v4, s[64:65], v5, v5, v6
	v_rcp_f32_e32 v8, v4
	s_nop 0
	v_fma_f32 v9, -v4, v8, 1.0
	v_fmac_f32_e32 v8, v9, v8
	v_div_scale_f32 v9, vcc, v6, v5, v6
	v_mul_f32_e32 v10, v9, v8
	v_fma_f32 v11, -v4, v10, v9
	v_fmac_f32_e32 v10, v11, v8
	v_fma_f32 v4, -v4, v10, v9
	v_div_fmas_f32 v4, v4, v8, v10
	v_div_fixup_f32 v6, v4, v5, v6
	global_store_dwordx2 v[2:3], v[6:7], off
	v_mov_b32_e32 v2, 0
.LBB24_215:                             ;   in Loop: Header=BB24_12 Depth=1
	s_or_b64 exec, exec, s[14:15]
	s_movk_i32 s14, 0x47
	v_cmp_gt_i32_e32 vcc, s14, v2
	s_mov_b64 s[14:15], -1
	s_and_saveexec_b64 s[78:79], vcc
; %bb.216:                              ;   in Loop: Header=BB24_12 Depth=1
	v_cmp_eq_u32_e32 vcc, 0, v2
	s_orn2_b64 s[14:15], vcc, exec
; %bb.217:                              ;   in Loop: Header=BB24_12 Depth=1
	s_or_b64 exec, exec, s[78:79]
	s_and_b64 exec, exec, s[14:15]
	s_cbranch_execz .LBB24_10
; %bb.218:                              ;   in Loop: Header=BB24_12 Depth=1
	v_add_u32_e32 v3, s84, v166
	v_cmp_gt_i32_e32 vcc, s36, v3
	s_and_b64 s[64:65], vcc, s[10:11]
	v_mov_b32_e32 v2, 0x47
	s_and_saveexec_b64 s[14:15], s[64:65]
	s_cbranch_execz .LBB24_220
; %bb.219:                              ;   in Loop: Header=BB24_12 Depth=1
	v_mad_u64_u32 v[2:3], s[64:65], v3, s37, v[110:111]
	v_add_u32_e32 v8, 0, v167
	v_add_u32_e32 v3, v182, v167
	ds_read2_b32 v[4:5], v8 offset0:64 offset1:65
	ds_read2st64_b32 v[6:7], v3 offset1:17
	ds_read_b32 v8, v8 offset:4608
	v_lshl_add_u32 v2, v2, 6, v46
	v_ashrrev_i32_e32 v3, 31, v2
	v_lshl_add_u64 v[2:3], v[2:3], 3, s[74:75]
	s_waitcnt lgkmcnt(1)
	v_cvt_f32_f16_e32 v10, v6
	v_cvt_f32_f16_sdwa v11, v6 dst_sel:DWORD dst_unused:UNUSED_PAD src0_sel:WORD_1
	v_cvt_f32_f16_e32 v6, v7
	v_cvt_f32_f16_sdwa v7, v7 dst_sel:DWORD dst_unused:UNUSED_PAD src0_sel:WORD_1
	v_pk_fma_f32 v[10:11], v[4:5], v[10:11], 0 op_sel_hi:[0,1,0]
	s_waitcnt lgkmcnt(0)
	v_pk_fma_f32 v[6:7], v[8:9], v[6:7], v[10:11] op_sel_hi:[0,1,1]
	v_div_scale_f32 v4, s[64:65], v5, v5, v7
	v_rcp_f32_e32 v8, v4
	s_nop 0
	v_fma_f32 v9, -v4, v8, 1.0
	v_fmac_f32_e32 v8, v9, v8
	v_div_scale_f32 v9, vcc, v7, v5, v7
	v_mul_f32_e32 v10, v9, v8
	v_fma_f32 v11, -v4, v10, v9
	v_fmac_f32_e32 v10, v11, v8
	v_fma_f32 v4, -v4, v10, v9
	v_div_fmas_f32 v4, v4, v8, v10
	v_div_fixup_f32 v7, v4, v5, v7
	v_div_scale_f32 v4, s[64:65], v5, v5, v6
	v_rcp_f32_e32 v8, v4
	s_nop 0
	v_fma_f32 v9, -v4, v8, 1.0
	v_fmac_f32_e32 v8, v9, v8
	v_div_scale_f32 v9, vcc, v6, v5, v6
	v_mul_f32_e32 v10, v9, v8
	v_fma_f32 v11, -v4, v10, v9
	v_fmac_f32_e32 v10, v11, v8
	v_fma_f32 v4, -v4, v10, v9
	v_div_fmas_f32 v4, v4, v8, v10
	v_div_fixup_f32 v6, v4, v5, v6
	global_store_dwordx2 v[2:3], v[6:7], off
	v_mov_b32_e32 v2, 0
.LBB24_220:                             ;   in Loop: Header=BB24_12 Depth=1
	s_or_b64 exec, exec, s[14:15]
	s_movk_i32 s14, 0x47
	v_cmp_gt_i32_e32 vcc, s14, v2
	s_mov_b64 s[14:15], -1
	s_and_saveexec_b64 s[78:79], vcc
; %bb.221:                              ;   in Loop: Header=BB24_12 Depth=1
	v_cmp_eq_u32_e32 vcc, 0, v2
	s_orn2_b64 s[14:15], vcc, exec
; %bb.222:                              ;   in Loop: Header=BB24_12 Depth=1
	s_or_b64 exec, exec, s[78:79]
	s_and_b64 exec, exec, s[14:15]
	s_cbranch_execz .LBB24_10
; %bb.223:                              ;   in Loop: Header=BB24_12 Depth=1
	v_add_u32_e32 v3, s84, v204
	v_or_b32_e32 v2, s88, v80
	v_cmp_gt_i32_e32 vcc, s36, v3
	v_cmp_gt_i32_e64 s[14:15], s3, v2
	s_and_b64 s[64:65], vcc, s[14:15]
	v_mov_b32_e32 v2, 0x47
	s_and_saveexec_b64 s[14:15], s[64:65]
	s_cbranch_execz .LBB24_225
; %bb.224:                              ;   in Loop: Header=BB24_12 Depth=1
	v_mad_u64_u32 v[2:3], s[64:65], v3, s37, v[80:81]
	v_add_u32_e32 v8, 0, v168
	v_add_u32_e32 v3, v182, v168
	ds_read2_b32 v[4:5], v8 offset0:64 offset1:65
	ds_read2st64_b32 v[6:7], v3 offset1:17
	ds_read_b32 v8, v8 offset:4608
	v_lshl_add_u32 v2, v2, 6, v46
	v_ashrrev_i32_e32 v3, 31, v2
	v_lshl_add_u64 v[2:3], v[2:3], 3, s[74:75]
	s_waitcnt lgkmcnt(1)
	v_cvt_f32_f16_e32 v10, v6
	v_cvt_f32_f16_sdwa v11, v6 dst_sel:DWORD dst_unused:UNUSED_PAD src0_sel:WORD_1
	v_cvt_f32_f16_e32 v6, v7
	v_cvt_f32_f16_sdwa v7, v7 dst_sel:DWORD dst_unused:UNUSED_PAD src0_sel:WORD_1
	v_pk_fma_f32 v[10:11], v[4:5], v[10:11], 0 op_sel_hi:[0,1,0]
	s_waitcnt lgkmcnt(0)
	v_pk_fma_f32 v[6:7], v[8:9], v[6:7], v[10:11] op_sel_hi:[0,1,1]
	v_div_scale_f32 v4, s[64:65], v5, v5, v7
	v_rcp_f32_e32 v8, v4
	s_nop 0
	v_fma_f32 v9, -v4, v8, 1.0
	v_fmac_f32_e32 v8, v9, v8
	v_div_scale_f32 v9, vcc, v7, v5, v7
	v_mul_f32_e32 v10, v9, v8
	v_fma_f32 v11, -v4, v10, v9
	v_fmac_f32_e32 v10, v11, v8
	v_fma_f32 v4, -v4, v10, v9
	v_div_fmas_f32 v4, v4, v8, v10
	v_div_fixup_f32 v7, v4, v5, v7
	v_div_scale_f32 v4, s[64:65], v5, v5, v6
	v_rcp_f32_e32 v8, v4
	s_nop 0
	v_fma_f32 v9, -v4, v8, 1.0
	v_fmac_f32_e32 v8, v9, v8
	v_div_scale_f32 v9, vcc, v6, v5, v6
	v_mul_f32_e32 v10, v9, v8
	v_fma_f32 v11, -v4, v10, v9
	v_fmac_f32_e32 v10, v11, v8
	v_fma_f32 v4, -v4, v10, v9
	v_div_fmas_f32 v4, v4, v8, v10
	v_div_fixup_f32 v6, v4, v5, v6
	global_store_dwordx2 v[2:3], v[6:7], off
	v_mov_b32_e32 v2, 0
.LBB24_225:                             ;   in Loop: Header=BB24_12 Depth=1
	s_or_b64 exec, exec, s[14:15]
	s_movk_i32 s14, 0x47
	v_cmp_gt_i32_e32 vcc, s14, v2
	s_mov_b64 s[14:15], -1
	s_and_saveexec_b64 s[78:79], vcc
; %bb.226:                              ;   in Loop: Header=BB24_12 Depth=1
	v_cmp_eq_u32_e32 vcc, 0, v2
	s_orn2_b64 s[14:15], vcc, exec
; %bb.227:                              ;   in Loop: Header=BB24_12 Depth=1
	s_or_b64 exec, exec, s[78:79]
	s_and_b64 exec, exec, s[14:15]
	s_cbranch_execz .LBB24_10
; %bb.228:                              ;   in Loop: Header=BB24_12 Depth=1
	v_add_u32_e32 v3, s84, v205
	v_or_b32_e32 v2, s88, v82
	v_cmp_gt_i32_e32 vcc, s36, v3
	v_cmp_gt_i32_e64 s[14:15], s3, v2
	s_and_b64 s[64:65], vcc, s[14:15]
	v_mov_b32_e32 v2, 0x47
	s_and_saveexec_b64 s[14:15], s[64:65]
	s_cbranch_execz .LBB24_230
; %bb.229:                              ;   in Loop: Header=BB24_12 Depth=1
	v_mad_u64_u32 v[2:3], s[64:65], v3, s37, v[82:83]
	v_add_u32_e32 v8, 0, v169
	v_add_u32_e32 v3, v182, v169
	ds_read2_b32 v[4:5], v8 offset0:64 offset1:65
	ds_read2st64_b32 v[6:7], v3 offset1:17
	ds_read_b32 v8, v8 offset:4608
	v_lshl_add_u32 v2, v2, 6, v46
	v_ashrrev_i32_e32 v3, 31, v2
	v_lshl_add_u64 v[2:3], v[2:3], 3, s[74:75]
	s_waitcnt lgkmcnt(1)
	v_cvt_f32_f16_e32 v10, v6
	v_cvt_f32_f16_sdwa v11, v6 dst_sel:DWORD dst_unused:UNUSED_PAD src0_sel:WORD_1
	v_cvt_f32_f16_e32 v6, v7
	v_cvt_f32_f16_sdwa v7, v7 dst_sel:DWORD dst_unused:UNUSED_PAD src0_sel:WORD_1
	v_pk_fma_f32 v[10:11], v[4:5], v[10:11], 0 op_sel_hi:[0,1,0]
	s_waitcnt lgkmcnt(0)
	v_pk_fma_f32 v[6:7], v[8:9], v[6:7], v[10:11] op_sel_hi:[0,1,1]
	v_div_scale_f32 v4, s[64:65], v5, v5, v7
	v_rcp_f32_e32 v8, v4
	s_nop 0
	v_fma_f32 v9, -v4, v8, 1.0
	v_fmac_f32_e32 v8, v9, v8
	v_div_scale_f32 v9, vcc, v7, v5, v7
	v_mul_f32_e32 v10, v9, v8
	v_fma_f32 v11, -v4, v10, v9
	v_fmac_f32_e32 v10, v11, v8
	v_fma_f32 v4, -v4, v10, v9
	v_div_fmas_f32 v4, v4, v8, v10
	v_div_fixup_f32 v7, v4, v5, v7
	v_div_scale_f32 v4, s[64:65], v5, v5, v6
	v_rcp_f32_e32 v8, v4
	s_nop 0
	v_fma_f32 v9, -v4, v8, 1.0
	v_fmac_f32_e32 v8, v9, v8
	v_div_scale_f32 v9, vcc, v6, v5, v6
	v_mul_f32_e32 v10, v9, v8
	v_fma_f32 v11, -v4, v10, v9
	v_fmac_f32_e32 v10, v11, v8
	v_fma_f32 v4, -v4, v10, v9
	v_div_fmas_f32 v4, v4, v8, v10
	v_div_fixup_f32 v6, v4, v5, v6
	global_store_dwordx2 v[2:3], v[6:7], off
	v_mov_b32_e32 v2, 0
.LBB24_230:                             ;   in Loop: Header=BB24_12 Depth=1
	s_or_b64 exec, exec, s[14:15]
	s_movk_i32 s14, 0x47
	v_cmp_gt_i32_e32 vcc, s14, v2
	s_mov_b64 s[14:15], -1
	s_and_saveexec_b64 s[78:79], vcc
; %bb.231:                              ;   in Loop: Header=BB24_12 Depth=1
	v_cmp_eq_u32_e32 vcc, 0, v2
	s_orn2_b64 s[14:15], vcc, exec
; %bb.232:                              ;   in Loop: Header=BB24_12 Depth=1
	s_or_b64 exec, exec, s[78:79]
	s_and_b64 exec, exec, s[14:15]
	s_cbranch_execz .LBB24_10
; %bb.233:                              ;   in Loop: Header=BB24_12 Depth=1
	v_add_u32_e32 v3, s84, v206
	v_or_b32_e32 v2, s88, v84
	v_cmp_gt_i32_e32 vcc, s36, v3
	v_cmp_gt_i32_e64 s[14:15], s3, v2
	s_and_b64 s[64:65], vcc, s[14:15]
	v_mov_b32_e32 v2, 0x47
	s_and_saveexec_b64 s[14:15], s[64:65]
	s_cbranch_execz .LBB24_235
; %bb.234:                              ;   in Loop: Header=BB24_12 Depth=1
	v_mad_u64_u32 v[2:3], s[64:65], v3, s37, v[84:85]
	v_add_u32_e32 v8, 0, v170
	v_add_u32_e32 v3, v182, v170
	ds_read2_b32 v[4:5], v8 offset0:64 offset1:65
	ds_read2st64_b32 v[6:7], v3 offset1:17
	ds_read_b32 v8, v8 offset:4608
	v_lshl_add_u32 v2, v2, 6, v46
	v_ashrrev_i32_e32 v3, 31, v2
	v_lshl_add_u64 v[2:3], v[2:3], 3, s[74:75]
	s_waitcnt lgkmcnt(1)
	v_cvt_f32_f16_e32 v10, v6
	v_cvt_f32_f16_sdwa v11, v6 dst_sel:DWORD dst_unused:UNUSED_PAD src0_sel:WORD_1
	v_cvt_f32_f16_e32 v6, v7
	v_cvt_f32_f16_sdwa v7, v7 dst_sel:DWORD dst_unused:UNUSED_PAD src0_sel:WORD_1
	v_pk_fma_f32 v[10:11], v[4:5], v[10:11], 0 op_sel_hi:[0,1,0]
	s_waitcnt lgkmcnt(0)
	v_pk_fma_f32 v[6:7], v[8:9], v[6:7], v[10:11] op_sel_hi:[0,1,1]
	v_div_scale_f32 v4, s[64:65], v5, v5, v7
	v_rcp_f32_e32 v8, v4
	s_nop 0
	v_fma_f32 v9, -v4, v8, 1.0
	v_fmac_f32_e32 v8, v9, v8
	v_div_scale_f32 v9, vcc, v7, v5, v7
	v_mul_f32_e32 v10, v9, v8
	v_fma_f32 v11, -v4, v10, v9
	v_fmac_f32_e32 v10, v11, v8
	v_fma_f32 v4, -v4, v10, v9
	v_div_fmas_f32 v4, v4, v8, v10
	v_div_fixup_f32 v7, v4, v5, v7
	v_div_scale_f32 v4, s[64:65], v5, v5, v6
	v_rcp_f32_e32 v8, v4
	s_nop 0
	v_fma_f32 v9, -v4, v8, 1.0
	v_fmac_f32_e32 v8, v9, v8
	v_div_scale_f32 v9, vcc, v6, v5, v6
	v_mul_f32_e32 v10, v9, v8
	v_fma_f32 v11, -v4, v10, v9
	v_fmac_f32_e32 v10, v11, v8
	v_fma_f32 v4, -v4, v10, v9
	v_div_fmas_f32 v4, v4, v8, v10
	v_div_fixup_f32 v6, v4, v5, v6
	global_store_dwordx2 v[2:3], v[6:7], off
	v_mov_b32_e32 v2, 0
.LBB24_235:                             ;   in Loop: Header=BB24_12 Depth=1
	s_or_b64 exec, exec, s[14:15]
	s_movk_i32 s14, 0x47
	v_cmp_gt_i32_e32 vcc, s14, v2
	s_mov_b64 s[14:15], -1
	s_and_saveexec_b64 s[78:79], vcc
; %bb.236:                              ;   in Loop: Header=BB24_12 Depth=1
	v_cmp_eq_u32_e32 vcc, 0, v2
	s_orn2_b64 s[14:15], vcc, exec
; %bb.237:                              ;   in Loop: Header=BB24_12 Depth=1
	s_or_b64 exec, exec, s[78:79]
	s_and_b64 exec, exec, s[14:15]
	s_cbranch_execz .LBB24_10
; %bb.238:                              ;   in Loop: Header=BB24_12 Depth=1
	v_add_u32_e32 v3, s84, v171
	v_cmp_gt_i32_e32 vcc, s36, v3
	s_and_b64 s[64:65], vcc, s[10:11]
	v_mov_b32_e32 v2, 0x47
	s_and_saveexec_b64 s[14:15], s[64:65]
	s_cbranch_execz .LBB24_240
; %bb.239:                              ;   in Loop: Header=BB24_12 Depth=1
	v_mad_u64_u32 v[2:3], s[64:65], v3, s37, v[110:111]
	v_add_u32_e32 v8, 0, v172
	v_add_u32_e32 v3, v182, v172
	ds_read2_b32 v[4:5], v8 offset0:64 offset1:65
	ds_read2st64_b32 v[6:7], v3 offset1:17
	ds_read_b32 v8, v8 offset:4608
	v_lshl_add_u32 v2, v2, 6, v46
	v_ashrrev_i32_e32 v3, 31, v2
	v_lshl_add_u64 v[2:3], v[2:3], 3, s[74:75]
	s_waitcnt lgkmcnt(1)
	v_cvt_f32_f16_e32 v10, v6
	v_cvt_f32_f16_sdwa v11, v6 dst_sel:DWORD dst_unused:UNUSED_PAD src0_sel:WORD_1
	v_cvt_f32_f16_e32 v6, v7
	v_cvt_f32_f16_sdwa v7, v7 dst_sel:DWORD dst_unused:UNUSED_PAD src0_sel:WORD_1
	v_pk_fma_f32 v[10:11], v[4:5], v[10:11], 0 op_sel_hi:[0,1,0]
	s_waitcnt lgkmcnt(0)
	v_pk_fma_f32 v[6:7], v[8:9], v[6:7], v[10:11] op_sel_hi:[0,1,1]
	v_div_scale_f32 v4, s[64:65], v5, v5, v7
	v_rcp_f32_e32 v8, v4
	s_nop 0
	v_fma_f32 v9, -v4, v8, 1.0
	v_fmac_f32_e32 v8, v9, v8
	v_div_scale_f32 v9, vcc, v7, v5, v7
	v_mul_f32_e32 v10, v9, v8
	v_fma_f32 v11, -v4, v10, v9
	v_fmac_f32_e32 v10, v11, v8
	v_fma_f32 v4, -v4, v10, v9
	v_div_fmas_f32 v4, v4, v8, v10
	v_div_fixup_f32 v7, v4, v5, v7
	v_div_scale_f32 v4, s[64:65], v5, v5, v6
	v_rcp_f32_e32 v8, v4
	s_nop 0
	v_fma_f32 v9, -v4, v8, 1.0
	v_fmac_f32_e32 v8, v9, v8
	v_div_scale_f32 v9, vcc, v6, v5, v6
	v_mul_f32_e32 v10, v9, v8
	v_fma_f32 v11, -v4, v10, v9
	v_fmac_f32_e32 v10, v11, v8
	v_fma_f32 v4, -v4, v10, v9
	v_div_fmas_f32 v4, v4, v8, v10
	v_div_fixup_f32 v6, v4, v5, v6
	global_store_dwordx2 v[2:3], v[6:7], off
	v_mov_b32_e32 v2, 0
.LBB24_240:                             ;   in Loop: Header=BB24_12 Depth=1
	s_or_b64 exec, exec, s[14:15]
	s_movk_i32 s14, 0x47
	v_cmp_gt_i32_e32 vcc, s14, v2
	s_mov_b64 s[14:15], -1
	s_and_saveexec_b64 s[78:79], vcc
; %bb.241:                              ;   in Loop: Header=BB24_12 Depth=1
	v_cmp_eq_u32_e32 vcc, 0, v2
	s_orn2_b64 s[14:15], vcc, exec
; %bb.242:                              ;   in Loop: Header=BB24_12 Depth=1
	s_or_b64 exec, exec, s[78:79]
	s_and_b64 exec, exec, s[14:15]
	s_cbranch_execz .LBB24_10
; %bb.243:                              ;   in Loop: Header=BB24_12 Depth=1
	v_add_u32_e32 v3, s84, v207
	v_or_b32_e32 v2, s88, v86
	v_cmp_gt_i32_e32 vcc, s36, v3
	v_cmp_gt_i32_e64 s[14:15], s3, v2
	s_and_b64 s[64:65], vcc, s[14:15]
	v_mov_b32_e32 v2, 0x47
	s_and_saveexec_b64 s[14:15], s[64:65]
	s_cbranch_execz .LBB24_245
; %bb.244:                              ;   in Loop: Header=BB24_12 Depth=1
	v_mad_u64_u32 v[2:3], s[64:65], v3, s37, v[86:87]
	v_add_u32_e32 v8, 0, v173
	v_add_u32_e32 v3, v182, v173
	ds_read2_b32 v[4:5], v8 offset0:64 offset1:65
	ds_read2st64_b32 v[6:7], v3 offset1:17
	ds_read_b32 v8, v8 offset:4608
	v_lshl_add_u32 v2, v2, 6, v46
	v_ashrrev_i32_e32 v3, 31, v2
	v_lshl_add_u64 v[2:3], v[2:3], 3, s[74:75]
	s_waitcnt lgkmcnt(1)
	v_cvt_f32_f16_e32 v10, v6
	v_cvt_f32_f16_sdwa v11, v6 dst_sel:DWORD dst_unused:UNUSED_PAD src0_sel:WORD_1
	v_cvt_f32_f16_e32 v6, v7
	v_cvt_f32_f16_sdwa v7, v7 dst_sel:DWORD dst_unused:UNUSED_PAD src0_sel:WORD_1
	v_pk_fma_f32 v[10:11], v[4:5], v[10:11], 0 op_sel_hi:[0,1,0]
	s_waitcnt lgkmcnt(0)
	v_pk_fma_f32 v[6:7], v[8:9], v[6:7], v[10:11] op_sel_hi:[0,1,1]
	v_div_scale_f32 v4, s[64:65], v5, v5, v7
	v_rcp_f32_e32 v8, v4
	s_nop 0
	v_fma_f32 v9, -v4, v8, 1.0
	v_fmac_f32_e32 v8, v9, v8
	v_div_scale_f32 v9, vcc, v7, v5, v7
	v_mul_f32_e32 v10, v9, v8
	v_fma_f32 v11, -v4, v10, v9
	v_fmac_f32_e32 v10, v11, v8
	v_fma_f32 v4, -v4, v10, v9
	v_div_fmas_f32 v4, v4, v8, v10
	v_div_fixup_f32 v7, v4, v5, v7
	v_div_scale_f32 v4, s[64:65], v5, v5, v6
	v_rcp_f32_e32 v8, v4
	s_nop 0
	v_fma_f32 v9, -v4, v8, 1.0
	v_fmac_f32_e32 v8, v9, v8
	v_div_scale_f32 v9, vcc, v6, v5, v6
	v_mul_f32_e32 v10, v9, v8
	v_fma_f32 v11, -v4, v10, v9
	v_fmac_f32_e32 v10, v11, v8
	v_fma_f32 v4, -v4, v10, v9
	v_div_fmas_f32 v4, v4, v8, v10
	v_div_fixup_f32 v6, v4, v5, v6
	global_store_dwordx2 v[2:3], v[6:7], off
	v_mov_b32_e32 v2, 0
.LBB24_245:                             ;   in Loop: Header=BB24_12 Depth=1
	s_or_b64 exec, exec, s[14:15]
	s_movk_i32 s14, 0x47
	v_cmp_gt_i32_e32 vcc, s14, v2
	s_mov_b64 s[14:15], -1
	s_and_saveexec_b64 s[78:79], vcc
; %bb.246:                              ;   in Loop: Header=BB24_12 Depth=1
	v_cmp_eq_u32_e32 vcc, 0, v2
	s_orn2_b64 s[14:15], vcc, exec
; %bb.247:                              ;   in Loop: Header=BB24_12 Depth=1
	s_or_b64 exec, exec, s[78:79]
	s_and_b64 exec, exec, s[14:15]
	s_cbranch_execz .LBB24_10
; %bb.248:                              ;   in Loop: Header=BB24_12 Depth=1
	v_add_u32_e32 v3, s84, v208
	v_or_b32_e32 v2, s88, v88
	v_cmp_gt_i32_e32 vcc, s36, v3
	v_cmp_gt_i32_e64 s[14:15], s3, v2
	s_and_b64 s[64:65], vcc, s[14:15]
	v_mov_b32_e32 v2, 0x47
	s_and_saveexec_b64 s[14:15], s[64:65]
	s_cbranch_execz .LBB24_250
; %bb.249:                              ;   in Loop: Header=BB24_12 Depth=1
	v_mad_u64_u32 v[2:3], s[64:65], v3, s37, v[88:89]
	v_add_u32_e32 v8, 0, v174
	v_add_u32_e32 v3, v182, v174
	ds_read2_b32 v[4:5], v8 offset0:64 offset1:65
	ds_read2st64_b32 v[6:7], v3 offset1:17
	ds_read_b32 v8, v8 offset:4608
	v_lshl_add_u32 v2, v2, 6, v46
	v_ashrrev_i32_e32 v3, 31, v2
	v_lshl_add_u64 v[2:3], v[2:3], 3, s[74:75]
	s_waitcnt lgkmcnt(1)
	v_cvt_f32_f16_e32 v10, v6
	v_cvt_f32_f16_sdwa v11, v6 dst_sel:DWORD dst_unused:UNUSED_PAD src0_sel:WORD_1
	v_cvt_f32_f16_e32 v6, v7
	v_cvt_f32_f16_sdwa v7, v7 dst_sel:DWORD dst_unused:UNUSED_PAD src0_sel:WORD_1
	v_pk_fma_f32 v[10:11], v[4:5], v[10:11], 0 op_sel_hi:[0,1,0]
	s_waitcnt lgkmcnt(0)
	v_pk_fma_f32 v[6:7], v[8:9], v[6:7], v[10:11] op_sel_hi:[0,1,1]
	v_div_scale_f32 v4, s[64:65], v5, v5, v7
	v_rcp_f32_e32 v8, v4
	s_nop 0
	v_fma_f32 v9, -v4, v8, 1.0
	v_fmac_f32_e32 v8, v9, v8
	v_div_scale_f32 v9, vcc, v7, v5, v7
	v_mul_f32_e32 v10, v9, v8
	v_fma_f32 v11, -v4, v10, v9
	v_fmac_f32_e32 v10, v11, v8
	v_fma_f32 v4, -v4, v10, v9
	v_div_fmas_f32 v4, v4, v8, v10
	v_div_fixup_f32 v7, v4, v5, v7
	v_div_scale_f32 v4, s[64:65], v5, v5, v6
	v_rcp_f32_e32 v8, v4
	s_nop 0
	v_fma_f32 v9, -v4, v8, 1.0
	v_fmac_f32_e32 v8, v9, v8
	v_div_scale_f32 v9, vcc, v6, v5, v6
	v_mul_f32_e32 v10, v9, v8
	v_fma_f32 v11, -v4, v10, v9
	v_fmac_f32_e32 v10, v11, v8
	v_fma_f32 v4, -v4, v10, v9
	v_div_fmas_f32 v4, v4, v8, v10
	v_div_fixup_f32 v6, v4, v5, v6
	global_store_dwordx2 v[2:3], v[6:7], off
	v_mov_b32_e32 v2, 0
.LBB24_250:                             ;   in Loop: Header=BB24_12 Depth=1
	s_or_b64 exec, exec, s[14:15]
	s_movk_i32 s14, 0x47
	v_cmp_gt_i32_e32 vcc, s14, v2
	s_mov_b64 s[14:15], -1
	s_and_saveexec_b64 s[78:79], vcc
; %bb.251:                              ;   in Loop: Header=BB24_12 Depth=1
	v_cmp_eq_u32_e32 vcc, 0, v2
	s_orn2_b64 s[14:15], vcc, exec
; %bb.252:                              ;   in Loop: Header=BB24_12 Depth=1
	s_or_b64 exec, exec, s[78:79]
	s_and_b64 exec, exec, s[14:15]
	s_cbranch_execz .LBB24_10
; %bb.253:                              ;   in Loop: Header=BB24_12 Depth=1
	v_add_u32_e32 v3, s84, v209
	v_or_b32_e32 v2, s88, v90
	v_cmp_gt_i32_e32 vcc, s36, v3
	v_cmp_gt_i32_e64 s[14:15], s3, v2
	s_and_b64 s[64:65], vcc, s[14:15]
	v_mov_b32_e32 v2, 0x47
	s_and_saveexec_b64 s[14:15], s[64:65]
	s_cbranch_execz .LBB24_255
; %bb.254:                              ;   in Loop: Header=BB24_12 Depth=1
	v_mad_u64_u32 v[2:3], s[64:65], v3, s37, v[90:91]
	v_add_u32_e32 v8, 0, v175
	v_add_u32_e32 v3, v182, v175
	ds_read2_b32 v[4:5], v8 offset0:64 offset1:65
	ds_read2st64_b32 v[6:7], v3 offset1:17
	ds_read_b32 v8, v8 offset:4608
	v_lshl_add_u32 v2, v2, 6, v46
	v_ashrrev_i32_e32 v3, 31, v2
	v_lshl_add_u64 v[2:3], v[2:3], 3, s[74:75]
	s_waitcnt lgkmcnt(1)
	v_cvt_f32_f16_e32 v10, v6
	v_cvt_f32_f16_sdwa v11, v6 dst_sel:DWORD dst_unused:UNUSED_PAD src0_sel:WORD_1
	v_cvt_f32_f16_e32 v6, v7
	v_cvt_f32_f16_sdwa v7, v7 dst_sel:DWORD dst_unused:UNUSED_PAD src0_sel:WORD_1
	v_pk_fma_f32 v[10:11], v[4:5], v[10:11], 0 op_sel_hi:[0,1,0]
	s_waitcnt lgkmcnt(0)
	v_pk_fma_f32 v[6:7], v[8:9], v[6:7], v[10:11] op_sel_hi:[0,1,1]
	v_div_scale_f32 v4, s[64:65], v5, v5, v7
	v_rcp_f32_e32 v8, v4
	s_nop 0
	v_fma_f32 v9, -v4, v8, 1.0
	v_fmac_f32_e32 v8, v9, v8
	v_div_scale_f32 v9, vcc, v7, v5, v7
	v_mul_f32_e32 v10, v9, v8
	v_fma_f32 v11, -v4, v10, v9
	v_fmac_f32_e32 v10, v11, v8
	v_fma_f32 v4, -v4, v10, v9
	v_div_fmas_f32 v4, v4, v8, v10
	v_div_fixup_f32 v7, v4, v5, v7
	v_div_scale_f32 v4, s[64:65], v5, v5, v6
	v_rcp_f32_e32 v8, v4
	s_nop 0
	v_fma_f32 v9, -v4, v8, 1.0
	v_fmac_f32_e32 v8, v9, v8
	v_div_scale_f32 v9, vcc, v6, v5, v6
	v_mul_f32_e32 v10, v9, v8
	v_fma_f32 v11, -v4, v10, v9
	v_fmac_f32_e32 v10, v11, v8
	v_fma_f32 v4, -v4, v10, v9
	v_div_fmas_f32 v4, v4, v8, v10
	v_div_fixup_f32 v6, v4, v5, v6
	global_store_dwordx2 v[2:3], v[6:7], off
	v_mov_b32_e32 v2, 0
.LBB24_255:                             ;   in Loop: Header=BB24_12 Depth=1
	s_or_b64 exec, exec, s[14:15]
	s_movk_i32 s14, 0x47
	v_cmp_gt_i32_e32 vcc, s14, v2
	s_mov_b64 s[14:15], -1
	s_and_saveexec_b64 s[78:79], vcc
; %bb.256:                              ;   in Loop: Header=BB24_12 Depth=1
	v_cmp_eq_u32_e32 vcc, 0, v2
	s_orn2_b64 s[14:15], vcc, exec
; %bb.257:                              ;   in Loop: Header=BB24_12 Depth=1
	s_or_b64 exec, exec, s[78:79]
	s_and_b64 exec, exec, s[14:15]
	s_cbranch_execz .LBB24_10
; %bb.258:                              ;   in Loop: Header=BB24_12 Depth=1
	v_add_u32_e32 v3, s84, v176
	v_cmp_gt_i32_e32 vcc, s36, v3
	s_and_b64 s[14:15], vcc, s[10:11]
	v_mov_b32_e32 v2, 0x47
	s_and_saveexec_b64 s[10:11], s[14:15]
	s_cbranch_execz .LBB24_260
; %bb.259:                              ;   in Loop: Header=BB24_12 Depth=1
	v_mad_u64_u32 v[2:3], s[14:15], v3, s37, v[110:111]
	v_add_u32_e32 v8, 0, v177
	v_add_u32_e32 v3, v182, v177
	ds_read2_b32 v[4:5], v8 offset0:64 offset1:65
	ds_read2st64_b32 v[6:7], v3 offset1:17
	ds_read_b32 v8, v8 offset:4608
	v_lshl_add_u32 v2, v2, 6, v46
	v_ashrrev_i32_e32 v3, 31, v2
	v_lshl_add_u64 v[2:3], v[2:3], 3, s[74:75]
	s_waitcnt lgkmcnt(1)
	v_cvt_f32_f16_e32 v10, v6
	v_cvt_f32_f16_sdwa v11, v6 dst_sel:DWORD dst_unused:UNUSED_PAD src0_sel:WORD_1
	v_cvt_f32_f16_e32 v6, v7
	v_cvt_f32_f16_sdwa v7, v7 dst_sel:DWORD dst_unused:UNUSED_PAD src0_sel:WORD_1
	v_pk_fma_f32 v[10:11], v[4:5], v[10:11], 0 op_sel_hi:[0,1,0]
	s_waitcnt lgkmcnt(0)
	v_pk_fma_f32 v[6:7], v[8:9], v[6:7], v[10:11] op_sel_hi:[0,1,1]
	v_div_scale_f32 v4, s[14:15], v5, v5, v7
	v_rcp_f32_e32 v8, v4
	s_nop 0
	v_fma_f32 v9, -v4, v8, 1.0
	v_fmac_f32_e32 v8, v9, v8
	v_div_scale_f32 v9, vcc, v7, v5, v7
	v_mul_f32_e32 v10, v9, v8
	v_fma_f32 v11, -v4, v10, v9
	v_fmac_f32_e32 v10, v11, v8
	v_fma_f32 v4, -v4, v10, v9
	v_div_fmas_f32 v4, v4, v8, v10
	v_div_fixup_f32 v7, v4, v5, v7
	v_div_scale_f32 v4, s[14:15], v5, v5, v6
	v_rcp_f32_e32 v8, v4
	s_nop 0
	v_fma_f32 v9, -v4, v8, 1.0
	v_fmac_f32_e32 v8, v9, v8
	v_div_scale_f32 v9, vcc, v6, v5, v6
	v_mul_f32_e32 v10, v9, v8
	v_fma_f32 v11, -v4, v10, v9
	v_fmac_f32_e32 v10, v11, v8
	v_fma_f32 v4, -v4, v10, v9
	v_div_fmas_f32 v4, v4, v8, v10
	v_div_fixup_f32 v6, v4, v5, v6
	global_store_dwordx2 v[2:3], v[6:7], off
	v_mov_b32_e32 v2, 0
.LBB24_260:                             ;   in Loop: Header=BB24_12 Depth=1
	s_or_b64 exec, exec, s[10:11]
	s_movk_i32 s10, 0x47
	v_cmp_gt_i32_e32 vcc, s10, v2
	s_mov_b64 s[10:11], -1
	s_and_saveexec_b64 s[14:15], vcc
; %bb.261:                              ;   in Loop: Header=BB24_12 Depth=1
	v_cmp_eq_u32_e32 vcc, 0, v2
	s_orn2_b64 s[10:11], vcc, exec
; %bb.262:                              ;   in Loop: Header=BB24_12 Depth=1
	s_or_b64 exec, exec, s[14:15]
	s_and_b64 exec, exec, s[10:11]
	s_cbranch_execz .LBB24_10
; %bb.263:                              ;   in Loop: Header=BB24_12 Depth=1
	v_add_u32_e32 v3, s84, v210
	v_or_b32_e32 v2, s88, v92
	v_cmp_gt_i32_e32 vcc, s36, v3
	v_cmp_gt_i32_e64 s[10:11], s3, v2
	s_and_b64 s[14:15], vcc, s[10:11]
	v_mov_b32_e32 v2, 0x47
	s_and_saveexec_b64 s[10:11], s[14:15]
	s_cbranch_execz .LBB24_265
; %bb.264:                              ;   in Loop: Header=BB24_12 Depth=1
	v_mad_u64_u32 v[2:3], s[14:15], v3, s37, v[92:93]
	v_add_u32_e32 v8, 0, v178
	v_add_u32_e32 v3, v182, v178
	ds_read2_b32 v[4:5], v8 offset0:64 offset1:65
	ds_read2st64_b32 v[6:7], v3 offset1:17
	ds_read_b32 v8, v8 offset:4608
	v_lshl_add_u32 v2, v2, 6, v46
	v_ashrrev_i32_e32 v3, 31, v2
	v_lshl_add_u64 v[2:3], v[2:3], 3, s[74:75]
	s_waitcnt lgkmcnt(1)
	v_cvt_f32_f16_e32 v10, v6
	v_cvt_f32_f16_sdwa v11, v6 dst_sel:DWORD dst_unused:UNUSED_PAD src0_sel:WORD_1
	v_cvt_f32_f16_e32 v6, v7
	v_cvt_f32_f16_sdwa v7, v7 dst_sel:DWORD dst_unused:UNUSED_PAD src0_sel:WORD_1
	v_pk_fma_f32 v[10:11], v[4:5], v[10:11], 0 op_sel_hi:[0,1,0]
	s_waitcnt lgkmcnt(0)
	v_pk_fma_f32 v[6:7], v[8:9], v[6:7], v[10:11] op_sel_hi:[0,1,1]
	v_div_scale_f32 v4, s[14:15], v5, v5, v7
	v_rcp_f32_e32 v8, v4
	s_nop 0
	v_fma_f32 v9, -v4, v8, 1.0
	v_fmac_f32_e32 v8, v9, v8
	v_div_scale_f32 v9, vcc, v7, v5, v7
	v_mul_f32_e32 v10, v9, v8
	v_fma_f32 v11, -v4, v10, v9
	v_fmac_f32_e32 v10, v11, v8
	v_fma_f32 v4, -v4, v10, v9
	v_div_fmas_f32 v4, v4, v8, v10
	v_div_fixup_f32 v7, v4, v5, v7
	v_div_scale_f32 v4, s[14:15], v5, v5, v6
	v_rcp_f32_e32 v8, v4
	s_nop 0
	v_fma_f32 v9, -v4, v8, 1.0
	v_fmac_f32_e32 v8, v9, v8
	v_div_scale_f32 v9, vcc, v6, v5, v6
	v_mul_f32_e32 v10, v9, v8
	v_fma_f32 v11, -v4, v10, v9
	v_fmac_f32_e32 v10, v11, v8
	v_fma_f32 v4, -v4, v10, v9
	v_div_fmas_f32 v4, v4, v8, v10
	v_div_fixup_f32 v6, v4, v5, v6
	global_store_dwordx2 v[2:3], v[6:7], off
	v_mov_b32_e32 v2, 0
.LBB24_265:                             ;   in Loop: Header=BB24_12 Depth=1
	s_or_b64 exec, exec, s[10:11]
	s_movk_i32 s10, 0x47
	v_cmp_gt_i32_e32 vcc, s10, v2
	s_mov_b64 s[10:11], -1
	s_and_saveexec_b64 s[14:15], vcc
; %bb.266:                              ;   in Loop: Header=BB24_12 Depth=1
	v_cmp_eq_u32_e32 vcc, 0, v2
	s_orn2_b64 s[10:11], vcc, exec
; %bb.267:                              ;   in Loop: Header=BB24_12 Depth=1
	s_or_b64 exec, exec, s[14:15]
	s_and_b64 exec, exec, s[10:11]
	s_cbranch_execz .LBB24_10
; %bb.268:                              ;   in Loop: Header=BB24_12 Depth=1
	v_add_u32_e32 v3, s84, v211
	v_or_b32_e32 v2, s88, v94
	v_cmp_gt_i32_e32 vcc, s36, v3
	v_cmp_gt_i32_e64 s[10:11], s3, v2
	s_and_b64 s[14:15], vcc, s[10:11]
	v_mov_b32_e32 v2, 0x47
	s_and_saveexec_b64 s[10:11], s[14:15]
	s_cbranch_execz .LBB24_270
; %bb.269:                              ;   in Loop: Header=BB24_12 Depth=1
	v_mad_u64_u32 v[2:3], s[14:15], v3, s37, v[94:95]
	v_add_u32_e32 v8, 0, v179
	v_add_u32_e32 v3, v182, v179
	ds_read2_b32 v[4:5], v8 offset0:64 offset1:65
	ds_read2st64_b32 v[6:7], v3 offset1:17
	ds_read_b32 v8, v8 offset:4608
	v_lshl_add_u32 v2, v2, 6, v46
	v_ashrrev_i32_e32 v3, 31, v2
	v_lshl_add_u64 v[2:3], v[2:3], 3, s[74:75]
	s_waitcnt lgkmcnt(1)
	v_cvt_f32_f16_e32 v10, v6
	v_cvt_f32_f16_sdwa v11, v6 dst_sel:DWORD dst_unused:UNUSED_PAD src0_sel:WORD_1
	v_cvt_f32_f16_e32 v6, v7
	v_cvt_f32_f16_sdwa v7, v7 dst_sel:DWORD dst_unused:UNUSED_PAD src0_sel:WORD_1
	v_pk_fma_f32 v[10:11], v[4:5], v[10:11], 0 op_sel_hi:[0,1,0]
	s_waitcnt lgkmcnt(0)
	v_pk_fma_f32 v[6:7], v[8:9], v[6:7], v[10:11] op_sel_hi:[0,1,1]
	v_div_scale_f32 v4, s[14:15], v5, v5, v7
	v_rcp_f32_e32 v8, v4
	s_nop 0
	v_fma_f32 v9, -v4, v8, 1.0
	v_fmac_f32_e32 v8, v9, v8
	v_div_scale_f32 v9, vcc, v7, v5, v7
	v_mul_f32_e32 v10, v9, v8
	v_fma_f32 v11, -v4, v10, v9
	v_fmac_f32_e32 v10, v11, v8
	v_fma_f32 v4, -v4, v10, v9
	v_div_fmas_f32 v4, v4, v8, v10
	v_div_fixup_f32 v7, v4, v5, v7
	v_div_scale_f32 v4, s[14:15], v5, v5, v6
	v_rcp_f32_e32 v8, v4
	s_nop 0
	v_fma_f32 v9, -v4, v8, 1.0
	v_fmac_f32_e32 v8, v9, v8
	v_div_scale_f32 v9, vcc, v6, v5, v6
	v_mul_f32_e32 v10, v9, v8
	v_fma_f32 v11, -v4, v10, v9
	v_fmac_f32_e32 v10, v11, v8
	v_fma_f32 v4, -v4, v10, v9
	v_div_fmas_f32 v4, v4, v8, v10
	v_div_fixup_f32 v6, v4, v5, v6
	global_store_dwordx2 v[2:3], v[6:7], off
	v_mov_b32_e32 v2, 0
.LBB24_270:                             ;   in Loop: Header=BB24_12 Depth=1
	s_or_b64 exec, exec, s[10:11]
	s_movk_i32 s10, 0x47
	v_cmp_gt_i32_e32 vcc, s10, v2
	s_mov_b64 s[10:11], -1
	s_and_saveexec_b64 s[14:15], vcc
; %bb.271:                              ;   in Loop: Header=BB24_12 Depth=1
	v_cmp_eq_u32_e32 vcc, 0, v2
	s_orn2_b64 s[10:11], vcc, exec
; %bb.272:                              ;   in Loop: Header=BB24_12 Depth=1
	s_or_b64 exec, exec, s[14:15]
	s_and_b64 exec, exec, s[10:11]
	s_cbranch_execz .LBB24_10
; %bb.273:                              ;   in Loop: Header=BB24_12 Depth=1
	v_add_u32_e32 v2, s84, v212
	v_or_b32_e32 v3, s88, v96
	v_cmp_gt_i32_e32 vcc, s36, v2
	v_cmp_gt_i32_e64 s[10:11], s3, v3
	s_and_b64 s[10:11], vcc, s[10:11]
	s_and_b64 exec, exec, s[10:11]
	s_cbranch_execz .LBB24_10
; %bb.274:                              ;   in Loop: Header=BB24_12 Depth=1
	v_add_u32_e32 v3, v182, v180
	ds_read2st64_b32 v[4:5], v3 offset1:17
	v_add_u32_e32 v3, 0, v180
	ds_read2_b32 v[6:7], v3 offset0:64 offset1:65
	ds_read_b32 v8, v3 offset:4608
	v_mad_u64_u32 v[2:3], s[10:11], v2, s37, v[96:97]
	s_waitcnt lgkmcnt(2)
	v_cvt_f32_f16_e32 v10, v4
	v_cvt_f32_f16_sdwa v11, v4 dst_sel:DWORD dst_unused:UNUSED_PAD src0_sel:WORD_1
	v_cvt_f32_f16_e32 v4, v5
	v_cvt_f32_f16_sdwa v5, v5 dst_sel:DWORD dst_unused:UNUSED_PAD src0_sel:WORD_1
	v_lshl_add_u32 v2, v2, 6, v46
	s_waitcnt lgkmcnt(1)
	v_pk_fma_f32 v[10:11], v[6:7], v[10:11], 0 op_sel_hi:[0,1,0]
	v_ashrrev_i32_e32 v3, 31, v2
	s_waitcnt lgkmcnt(0)
	v_pk_fma_f32 v[4:5], v[8:9], v[4:5], v[10:11] op_sel_hi:[0,1,1]
	v_div_scale_f32 v6, s[10:11], v7, v7, v5
	v_rcp_f32_e32 v8, v6
	v_lshl_add_u64 v[2:3], v[2:3], 3, s[74:75]
	v_fma_f32 v9, -v6, v8, 1.0
	v_fmac_f32_e32 v8, v9, v8
	v_div_scale_f32 v9, vcc, v5, v7, v5
	v_mul_f32_e32 v10, v9, v8
	v_fma_f32 v11, -v6, v10, v9
	v_fmac_f32_e32 v10, v11, v8
	v_fma_f32 v6, -v6, v10, v9
	v_div_scale_f32 v9, s[10:11], v7, v7, v4
	v_rcp_f32_e32 v11, v9
	v_div_fmas_f32 v6, v6, v8, v10
	v_div_fixup_f32 v5, v6, v7, v5
	v_fma_f32 v6, -v9, v11, 1.0
	v_fmac_f32_e32 v11, v6, v11
	v_div_scale_f32 v6, vcc, v4, v7, v4
	v_mul_f32_e32 v8, v6, v11
	v_fma_f32 v10, -v9, v8, v6
	v_fmac_f32_e32 v8, v10, v11
	v_fma_f32 v6, -v9, v8, v6
	v_div_fmas_f32 v6, v6, v11, v8
	v_div_fixup_f32 v4, v6, v7, v4
	global_store_dwordx2 v[2:3], v[4:5], off
	s_branch .LBB24_10
.LBB24_275:
	v_readlane_b32 s33, v228, 9
	v_readlane_b32 s35, v228, 4
	;; [unrolled: 1-line block ×7, first 2 shown]
	s_andn2_b64 vcc, exec, s[10:11]
	s_cbranch_vccnz .LBB24_8
.LBB24_276:
	s_abs_i32 s0, s91
	v_cvt_f32_u32_e32 v2, s0
	s_sub_i32 s4, 0, s0
	s_abs_i32 s2, s56
	s_xor_b32 s1, s56, s91
	v_rcp_iflag_f32_e32 v2, v2
	s_ashr_i32 s1, s1, 31
	v_mov_b32_e32 v16, s67
	v_mul_f32_e32 v2, 0x4f7ffffe, v2
	v_cvt_u32_f32_e32 v2, v2
	s_nop 0
	v_readfirstlane_b32 s5, v2
	s_mul_i32 s4, s4, s5
	s_mul_hi_u32 s4, s5, s4
	s_add_i32 s5, s5, s4
	s_mul_hi_u32 s4, s2, s5
	s_mul_i32 s5, s4, s0
	s_sub_i32 s2, s2, s5
	s_add_i32 s6, s4, 1
	s_sub_i32 s5, s2, s0
	s_cmp_ge_u32 s2, s0
	s_cselect_b32 s4, s6, s4
	s_cselect_b32 s2, s5, s2
	s_add_i32 s5, s4, 1
	s_cmp_ge_u32 s2, s0
	s_cselect_b32 s0, s5, s4
	s_abs_i32 s4, s90
	v_cvt_f32_u32_e32 v2, s4
	s_xor_b32 s0, s0, s1
	s_sub_i32 s5, 0, s4
	s_sub_i32 s2, s0, s1
	v_rcp_iflag_f32_e32 v2, v2
	s_mul_i32 s0, s2, s91
	s_sub_i32 s0, s56, s0
	s_abs_i32 s6, s0
	v_mul_f32_e32 v2, 0x4f7ffffe, v2
	v_cvt_u32_f32_e32 v2, v2
	s_xor_b32 s1, s0, s90
	s_ashr_i32 s1, s1, 31
	v_readfirstlane_b32 s7, v2
	s_mul_i32 s5, s5, s7
	s_mul_hi_u32 s5, s7, s5
	s_add_i32 s7, s7, s5
	s_mul_hi_u32 s5, s6, s7
	s_mul_i32 s7, s5, s4
	s_sub_i32 s6, s6, s7
	s_add_i32 s8, s5, 1
	s_sub_i32 s7, s6, s4
	s_cmp_ge_u32 s6, s4
	s_cselect_b32 s5, s8, s5
	s_cselect_b32 s6, s7, s6
	s_add_i32 s7, s5, 1
	s_cmp_ge_u32 s6, s4
	s_cselect_b32 s4, s7, s5
	s_abs_i32 s5, s89
	v_cvt_f32_u32_e32 v2, s5
	s_xor_b32 s4, s4, s1
	s_sub_i32 s6, 0, s5
	s_sub_i32 s8, s4, s1
	v_rcp_iflag_f32_e32 v2, v2
	s_mul_i32 s1, s8, s90
	s_sub_i32 s1, s0, s1
	s_abs_i32 s4, s1
	v_mul_f32_e32 v2, 0x4f7ffffe, v2
	v_cvt_u32_f32_e32 v2, v2
	s_xor_b32 s0, s1, s89
	s_ashr_i32 s0, s0, 31
	v_readfirstlane_b32 s7, v2
	s_mul_i32 s6, s6, s7
	s_mul_hi_u32 s6, s7, s6
	s_add_i32 s7, s7, s6
	s_mul_hi_u32 s6, s4, s7
	s_mul_i32 s7, s6, s5
	s_sub_i32 s4, s4, s7
	s_add_i32 s9, s6, 1
	s_sub_i32 s7, s4, s5
	s_cmp_ge_u32 s4, s5
	s_cselect_b32 s6, s9, s6
	s_cselect_b32 s4, s7, s4
	s_add_i32 s7, s6, 1
	s_cmp_ge_u32 s4, s5
	s_cselect_b32 s4, s7, s6
	s_xor_b32 s4, s4, s0
	s_sub_i32 s0, s4, s0
	s_mul_i32 s4, s0, s89
	s_sub_i32 s1, s1, s4
	s_ashr_i32 s4, s1, 31
	v_readlane_b32 s5, v228, 3
	s_abs_i32 s1, s1
	s_xor_b32 s4, s4, s5
	s_mul_hi_u32 s5, s1, s52
	s_mul_i32 s6, s5, s93
	s_sub_i32 s1, s1, s6
	s_add_i32 s6, s5, 1
	s_sub_i32 s7, s1, s93
	s_cmp_ge_u32 s1, s93
	s_cselect_b32 s5, s6, s5
	s_cselect_b32 s1, s7, s1
	s_add_i32 s6, s5, 1
	s_cmp_ge_u32 s1, s93
	s_cselect_b32 s1, s6, s5
	s_abs_i32 s9, s14
	v_cvt_f32_u32_e32 v2, s9
	s_xor_b32 s1, s1, s4
	s_sub_i32 s1, s1, s4
	s_cmp_eq_u64 s[26:27], 0
	v_rcp_iflag_f32_e32 v2, v2
	s_nop 0
	v_mul_f32_e32 v2, 0x4f7ffffe, v2
	v_cvt_u32_f32_e32 v2, v2
	s_nop 0
	v_readfirstlane_b32 s12, v2
	s_cbranch_scc1 .LBB24_278
; %bb.277:
	v_readlane_b32 s4, v228, 0
	s_mul_i32 s4, s2, s4
	s_add_i32 s4, s1, s4
	s_ashr_i32 s5, s4, 31
	s_lshl_b64 s[4:5], s[4:5], 2
	s_add_u32 s4, s26, s4
	s_addc_u32 s5, s27, s5
	v_mov_b32_e32 v2, 0
	global_load_dword v2, v2, s[4:5]
	s_waitcnt vmcnt(0)
	v_ashrrev_i32_e32 v3, 31, v2
	v_lshrrev_b32_e32 v3, 26, v3
	v_add_u32_e32 v2, v2, v3
	v_ashrrev_i32_e32 v2, 6, v2
	v_min_i32_e32 v16, s67, v2
.LBB24_278:
	s_mul_i32 s4, s8, s3
	s_lshl_b32 s11, s0, 3
	s_add_i32 s0, s11, s4
	s_mul_i32 s4, s2, s55
	s_ashr_i32 s5, s4, 31
	s_add_u32 s4, s16, s4
	s_mul_i32 s0, s0, s54
	s_addc_u32 s5, s17, s5
	s_ashr_i32 s7, s0, 31
	s_add_u32 s6, s4, s0
	s_addc_u32 s7, s5, s7
	v_and_b32_e32 v42, 0x3ff, v0
	s_lshl_b32 s10, s1, 2
	v_bfe_u32 v0, v93, 3, 7
	v_add_u32_e32 v2, s10, v0
	v_or_b32_e32 v0, s11, v79
	v_cmp_le_i32_e64 s[0:1], s36, v2
	v_cmp_le_i32_e64 s[4:5], s3, v0
	s_mov_b32 s13, 0x10001
	v_lshl_add_u32 v43, v42, 2, 0
	v_cmp_gt_i32_e32 vcc, s3, v0
	s_or_b64 s[0:1], s[0:1], s[4:5]
	s_and_saveexec_b64 s[4:5], s[0:1]
	s_xor_b64 s[0:1], exec, s[4:5]
; %bb.279:
	s_movk_i32 s4, 0x110
	v_mad_u32_u24 v0, v47, s4, v43
	v_mov_b32_e32 v2, 0
	ds_write_b32 v0, v2
                                        ; implicit-def: $vgpr2
; %bb.280:
	s_or_saveexec_b64 s[0:1], s[0:1]
	v_mul_lo_u32 v0, v91, s13
	s_xor_b64 exec, exec, s[0:1]
	s_cbranch_execz .LBB24_282
; %bb.281:
	v_mul_lo_u32 v2, v2, s57
	v_mul_lo_u32 v3, v79, s53
	v_add3_u32 v2, v3, v42, v2
	v_ashrrev_i32_e32 v3, 31, v2
	v_lshl_add_u64 v[2:3], v[2:3], 3, s[6:7]
	global_load_dwordx2 v[2:3], v[2:3], off
	s_movk_i32 s4, 0x110
	s_waitcnt vmcnt(0)
	v_cvt_pk_f16_f32 v2, v2, v3
	v_pk_mul_f16 v2, v2, v0
	v_mad_u32_u24 v3, v47, s4, v43
	ds_write_b32 v3, v2
.LBB24_282:
	s_or_b64 exec, exec, s[0:1]
	v_lshrrev_b32_e32 v3, 3, v89
	v_and_b32_e32 v2, 7, v89
	v_add_u32_e32 v3, s10, v3
	v_or_b32_e32 v4, s11, v2
	v_cmp_le_i32_e64 s[0:1], s36, v3
	v_cmp_le_i32_e64 s[4:5], s3, v4
	s_or_b64 s[0:1], s[0:1], s[4:5]
	s_and_saveexec_b64 s[4:5], s[0:1]
	s_xor_b64 s[0:1], exec, s[4:5]
; %bb.283:
	s_movk_i32 s4, 0x110
	v_mad_u32_u24 v2, v89, s4, v43
	v_mov_b32_e32 v3, 0
	ds_write_b32 v2, v3
                                        ; implicit-def: $vgpr3
                                        ; implicit-def: $vgpr2
                                        ; implicit-def: $vgpr89
; %bb.284:
	s_andn2_saveexec_b64 s[0:1], s[0:1]
	s_cbranch_execz .LBB24_286
; %bb.285:
	v_mul_lo_u32 v3, v3, s57
	v_mul_lo_u32 v2, v2, s53
	v_add3_u32 v2, v2, v42, v3
	v_ashrrev_i32_e32 v3, 31, v2
	v_lshl_add_u64 v[2:3], v[2:3], 3, s[6:7]
	global_load_dwordx2 v[2:3], v[2:3], off
	s_movk_i32 s4, 0x110
	s_waitcnt vmcnt(0)
	v_cvt_pk_f16_f32 v2, v2, v3
	v_pk_mul_f16 v2, v2, v0
	v_mad_u32_u24 v3, v89, s4, v43
	ds_write_b32 v3, v2
.LBB24_286:
	s_or_b64 exec, exec, s[0:1]
	v_lshrrev_b32_e32 v2, 3, v87
	v_add_u32_e32 v2, s10, v2
	v_cmp_le_i32_e64 s[0:1], s36, v2
	s_xor_b64 s[4:5], vcc, -1
	s_or_b64 s[0:1], s[0:1], s[4:5]
	s_and_saveexec_b64 s[14:15], s[0:1]
	s_xor_b64 s[0:1], exec, s[14:15]
; %bb.287:
	s_movk_i32 s13, 0x110
	v_mad_u32_u24 v2, v87, s13, v43
	v_mov_b32_e32 v3, 0
	ds_write_b32 v2, v3
                                        ; implicit-def: $vgpr2
                                        ; implicit-def: $vgpr87
; %bb.288:
	s_andn2_saveexec_b64 s[0:1], s[0:1]
	s_cbranch_execz .LBB24_290
; %bb.289:
	v_mul_lo_u32 v2, v2, s57
	v_mul_lo_u32 v3, v79, s53
	v_add3_u32 v2, v3, v42, v2
	v_ashrrev_i32_e32 v3, 31, v2
	v_lshl_add_u64 v[2:3], v[2:3], 3, s[6:7]
	global_load_dwordx2 v[2:3], v[2:3], off
	s_movk_i32 s13, 0x110
	s_waitcnt vmcnt(0)
	v_cvt_pk_f16_f32 v2, v2, v3
	v_pk_mul_f16 v2, v2, v0
	v_mad_u32_u24 v3, v87, s13, v43
	ds_write_b32 v3, v2
.LBB24_290:
	s_or_b64 exec, exec, s[0:1]
	v_lshrrev_b32_e32 v3, 3, v85
	v_and_b32_e32 v2, 7, v85
	v_add_u32_e32 v3, s10, v3
	v_or_b32_e32 v4, s11, v2
	v_cmp_le_i32_e32 vcc, s36, v3
	v_cmp_le_i32_e64 s[0:1], s3, v4
	s_or_b64 s[0:1], vcc, s[0:1]
	s_and_saveexec_b64 s[14:15], s[0:1]
	s_xor_b64 s[0:1], exec, s[14:15]
; %bb.291:
	s_movk_i32 s13, 0x110
	v_mad_u32_u24 v2, v85, s13, v43
	v_mov_b32_e32 v3, 0
	ds_write_b32 v2, v3
                                        ; implicit-def: $vgpr3
                                        ; implicit-def: $vgpr2
                                        ; implicit-def: $vgpr85
; %bb.292:
	s_andn2_saveexec_b64 s[0:1], s[0:1]
	s_cbranch_execz .LBB24_294
; %bb.293:
	v_mul_lo_u32 v3, v3, s57
	v_mul_lo_u32 v2, v2, s53
	v_add3_u32 v2, v2, v42, v3
	v_ashrrev_i32_e32 v3, 31, v2
	v_lshl_add_u64 v[2:3], v[2:3], 3, s[6:7]
	global_load_dwordx2 v[2:3], v[2:3], off
	s_movk_i32 s13, 0x110
	s_waitcnt vmcnt(0)
	v_cvt_pk_f16_f32 v2, v2, v3
	v_pk_mul_f16 v2, v2, v0
	v_mad_u32_u24 v3, v85, s13, v43
	ds_write_b32 v3, v2
.LBB24_294:
	s_or_b64 exec, exec, s[0:1]
	v_lshrrev_b32_e32 v2, 3, v83
	v_add_u32_e32 v2, s10, v2
	v_cmp_le_i32_e32 vcc, s36, v2
	s_or_b64 s[0:1], vcc, s[4:5]
	s_and_saveexec_b64 s[14:15], s[0:1]
	s_xor_b64 s[0:1], exec, s[14:15]
; %bb.295:
	s_movk_i32 s13, 0x110
	v_mad_u32_u24 v2, v83, s13, v43
	v_mov_b32_e32 v3, 0
	ds_write_b32 v2, v3
                                        ; implicit-def: $vgpr2
                                        ; implicit-def: $vgpr83
; %bb.296:
	s_andn2_saveexec_b64 s[0:1], s[0:1]
	s_cbranch_execz .LBB24_298
; %bb.297:
	v_mul_lo_u32 v2, v2, s57
	v_mul_lo_u32 v3, v79, s53
	v_add3_u32 v2, v3, v42, v2
	v_ashrrev_i32_e32 v3, 31, v2
	v_lshl_add_u64 v[2:3], v[2:3], 3, s[6:7]
	global_load_dwordx2 v[2:3], v[2:3], off
	s_movk_i32 s13, 0x110
	s_waitcnt vmcnt(0)
	v_cvt_pk_f16_f32 v2, v2, v3
	v_pk_mul_f16 v2, v2, v0
	v_mad_u32_u24 v3, v83, s13, v43
	ds_write_b32 v3, v2
.LBB24_298:
	s_or_b64 exec, exec, s[0:1]
	v_lshrrev_b32_e32 v3, 3, v81
	v_and_b32_e32 v2, 7, v81
	v_add_u32_e32 v3, s10, v3
	v_or_b32_e32 v4, s11, v2
	v_cmp_le_i32_e32 vcc, s36, v3
	v_cmp_le_i32_e64 s[0:1], s3, v4
	s_sub_i32 s13, 0, s9
	s_or_b64 s[0:1], vcc, s[0:1]
	s_and_saveexec_b64 s[14:15], s[0:1]
	s_xor_b64 s[0:1], exec, s[14:15]
; %bb.299:
	s_movk_i32 s14, 0x110
	v_mad_u32_u24 v2, v81, s14, v43
	v_mov_b32_e32 v3, 0
	ds_write_b32 v2, v3
                                        ; implicit-def: $vgpr3
                                        ; implicit-def: $vgpr2
                                        ; implicit-def: $vgpr81
; %bb.300:
	s_or_saveexec_b64 s[0:1], s[0:1]
	s_mul_i32 s13, s13, s12
	s_xor_b64 exec, exec, s[0:1]
	s_cbranch_execz .LBB24_302
; %bb.301:
	v_mul_lo_u32 v3, v3, s57
	v_mul_lo_u32 v2, v2, s53
	v_add3_u32 v2, v2, v42, v3
	v_ashrrev_i32_e32 v3, 31, v2
	v_lshl_add_u64 v[2:3], v[2:3], 3, s[6:7]
	global_load_dwordx2 v[2:3], v[2:3], off
	s_movk_i32 s14, 0x110
	s_waitcnt vmcnt(0)
	v_cvt_pk_f16_f32 v2, v2, v3
	v_pk_mul_f16 v2, v2, v0
	v_mad_u32_u24 v3, v81, s14, v43
	ds_write_b32 v3, v2
.LBB24_302:
	s_or_b64 exec, exec, s[0:1]
	v_lshrrev_b32_e32 v2, 3, v77
	v_add_u32_e32 v2, s10, v2
	v_cmp_le_i32_e32 vcc, s36, v2
	s_mul_hi_u32 s13, s12, s13
	s_or_b64 s[0:1], vcc, s[4:5]
	s_and_saveexec_b64 s[4:5], s[0:1]
	s_xor_b64 s[0:1], exec, s[4:5]
; %bb.303:
	s_movk_i32 s4, 0x110
	v_mad_u32_u24 v2, v77, s4, v43
	v_mov_b32_e32 v3, 0
	ds_write_b32 v2, v3
                                        ; implicit-def: $vgpr2
                                        ; implicit-def: $vgpr79
                                        ; implicit-def: $vgpr77
; %bb.304:
	s_or_saveexec_b64 s[0:1], s[0:1]
	s_abs_i32 s4, s2
	s_add_i32 s12, s12, s13
	s_xor_b64 exec, exec, s[0:1]
	s_cbranch_execz .LBB24_306
; %bb.305:
	v_mul_lo_u32 v2, v2, s57
	v_mul_lo_u32 v3, v79, s53
	v_add3_u32 v2, v3, v42, v2
	v_ashrrev_i32_e32 v3, 31, v2
	v_lshl_add_u64 v[2:3], v[2:3], 3, s[6:7]
	global_load_dwordx2 v[2:3], v[2:3], off
	s_movk_i32 s5, 0x110
	s_waitcnt vmcnt(0)
	v_cvt_pk_f16_f32 v2, v2, v3
	v_pk_mul_f16 v2, v2, v0
	v_mad_u32_u24 v3, v77, s5, v43
	ds_write_b32 v3, v2
.LBB24_306:
	s_or_b64 exec, exec, s[0:1]
	v_lshrrev_b32_e32 v3, 3, v1
	v_and_b32_e32 v2, 7, v1
	v_add_u32_e32 v3, s10, v3
	v_or_b32_e32 v4, s11, v2
	v_cmp_le_i32_e32 vcc, s36, v3
	v_cmp_le_i32_e64 s[0:1], s3, v4
	s_mul_hi_u32 s5, s4, s12
	s_or_b64 s[0:1], vcc, s[0:1]
	s_and_saveexec_b64 s[12:13], s[0:1]
	s_xor_b64 s[0:1], exec, s[12:13]
; %bb.307:
	s_movk_i32 s3, 0x110
	v_mad_u32_u24 v0, v1, s3, v43
	v_mov_b32_e32 v1, 0
	ds_write_b32 v0, v1
                                        ; implicit-def: $vgpr3
                                        ; implicit-def: $vgpr2
                                        ; implicit-def: $vgpr0
                                        ; implicit-def: $vgpr1
; %bb.308:
	s_or_saveexec_b64 s[0:1], s[0:1]
	s_ashr_i32 s3, s2, 31
	s_xor_b64 exec, exec, s[0:1]
	s_cbranch_execz .LBB24_310
; %bb.309:
	v_mul_lo_u32 v3, v3, s57
	v_mul_lo_u32 v2, v2, s53
	v_add3_u32 v2, v2, v42, v3
	v_ashrrev_i32_e32 v3, 31, v2
	v_lshl_add_u64 v[2:3], v[2:3], 3, s[6:7]
	global_load_dwordx2 v[2:3], v[2:3], off
	s_movk_i32 s6, 0x110
	v_mad_u32_u24 v1, v1, s6, v43
	s_waitcnt vmcnt(0)
	v_cvt_pk_f16_f32 v2, v2, v3
	v_pk_mul_f16 v0, v2, v0
	ds_write_b32 v1, v0
.LBB24_310:
	s_or_b64 exec, exec, s[0:1]
	s_mul_hi_u32 s0, s40, s2
	s_mul_i32 s1, s40, s3
	s_add_i32 s0, s0, s1
	s_mul_i32 s1, s41, s2
	v_readlane_b32 s6, v228, 1
	s_add_i32 s0, s0, s1
	s_mul_i32 s1, s40, s2
	v_readlane_b32 s7, v228, 2
	s_add_u32 s1, s18, s1
	s_mul_i32 s6, s8, s7
	s_addc_u32 s0, s19, s0
	s_ashr_i32 s7, s6, 31
	s_add_u32 s11, s1, s6
	s_mul_i32 s5, s5, s9
	s_addc_u32 s12, s0, s7
	s_sub_i32 s0, s4, s5
	s_sub_i32 s1, s0, s9
	s_cmp_ge_u32 s0, s9
	s_cselect_b32 s0, s1, s0
	s_sub_i32 s1, s0, s9
	s_cmp_ge_u32 s0, s9
	s_cselect_b32 s0, s1, s0
	s_xor_b32 s0, s0, s3
	s_sub_i32 s0, s0, s3
	s_ashr_i32 s1, s0, 31
	s_mul_i32 s1, s50, s1
	s_mul_hi_u32 s4, s50, s0
	s_add_i32 s1, s4, s1
	s_mul_i32 s4, s51, s0
	s_add_i32 s1, s1, s4
	s_mul_i32 s0, s50, s0
	s_add_u32 s4, s22, s0
	s_addc_u32 s5, s23, s1
	s_mul_hi_u32 s0, s48, s2
	s_mul_i32 s1, s48, s3
	s_add_i32 s0, s0, s1
	s_mul_i32 s1, s49, s2
	s_add_i32 s0, s0, s1
	s_mul_i32 s1, s48, s2
	s_add_u32 s1, s20, s1
	s_mul_i32 s8, s8, s43
	s_addc_u32 s0, s21, s0
	s_ashr_i32 s3, s8, 31
	s_add_u32 s2, s1, s8
	v_lshrrev_b32_e32 v1, 3, v42
	s_addc_u32 s3, s0, s3
	v_and_b32_e32 v17, 0x1ff0, v73
	s_movk_i32 s0, 0x110
	v_and_b32_e32 v44, 15, v42
	v_and_b32_e32 v1, 0x7e, v1
	v_mad_u32_u24 v0, v17, s0, 0
	v_mul_u32_u24_e32 v66, 0x110, v44
	v_lshlrev_b32_e32 v45, 2, v1
	v_add3_u32 v0, v0, v66, v45
	s_waitcnt lgkmcnt(0)
	s_barrier
	ds_read2_b64 v[12:15], v0 offset1:4
	ds_read2_b64 v[8:11], v0 offset0:8 offset1:12
	ds_read2_b64 v[4:7], v0 offset0:16 offset1:20
	;; [unrolled: 1-line block ×3, first 2 shown]
	v_add_u32_e32 v69, -1, v16
	v_lshrrev_b32_e32 v16, 5, v42
	v_cmp_ge_i32_e32 vcc, s84, v69
	v_lshl_add_u32 v67, v47, 1, v16
	s_and_b64 vcc, exec, vcc
	v_cmp_gt_u32_e64 s[0:1], 4, v67
	v_lshrrev_b32_e32 v21, 4, v42
	v_lshlrev_b32_e32 v20, 4, v44
	v_lshrrev_b32_e32 v63, 2, v42
	v_and_or_b32 v65, v42, 8, v17
	v_and_b32_e32 v62, 8, v73
	v_lshlrev_b32_e32 v61, 1, v44
	s_waitcnt lgkmcnt(0)
	s_barrier
	s_cbranch_vccnz .LBB24_317
; %bb.311:
	v_add_u32_e32 v16, s10, v67
	v_mul_hi_u32 v17, s44, v16
	v_add_u32_e32 v17, v16, v17
	v_lshrrev_b32_e32 v17, s45, v17
	v_mul_lo_u32 v17, v17, s36
	v_lshlrev_b32_e32 v18, 2, v42
	v_sub_u32_e32 v16, v16, v17
	v_mul_u32_u24_e32 v17, 0x90, v67
	v_and_b32_e32 v22, 0x7c, v18
	v_add3_u32 v70, 0, v17, v22
	v_mad_i64_i32 v[16:17], s[6:7], v16, s64, 0
	v_lshl_add_u64 v[16:17], v[16:17], 1, s[4:5]
	v_mov_b32_e32 v23, 0
	v_lshl_add_u64 v[24:25], v[16:17], 0, v[22:23]
	v_lshl_add_u32 v17, v47, 2, v21
	v_mul_u32_u24_e32 v18, 0x110, v17
	v_add3_u32 v72, 0, v18, v20
	v_and_b32_e32 v18, 16, v49
	v_and_b32_e32 v22, 0xfc, v63
	s_movk_i32 s8, 0x90
	v_mul_u32_u24_e32 v46, 0x110, v18
	v_add_u32_e32 v34, v22, v18
	v_lshrrev_b32_e32 v35, 3, v65
	v_add_u16_e32 v18, v22, v18
	v_mad_u32_u24 v35, v35, s8, 0
	v_lshrrev_b16_e32 v18, 1, v18
	v_lshl_add_u32 v48, v18, 2, v35
	v_lshl_add_u32 v18, v34, 1, v35
	v_add_u32_e32 v78, 64, v18
	v_add_u32_e32 v79, 0x44, v18
	v_mbcnt_hi_u32_b32 v18, -1, v75
	v_and_b32_e32 v34, 64, v18
	v_add_u32_e32 v34, 64, v34
	v_xor_b32_e32 v35, 32, v18
	v_mul_lo_u32 v26, s38, v17
	s_lshl_b32 s6, s38, 4
	v_cmp_lt_i32_e32 vcc, v35, v34
	v_add_u32_e32 v28, s6, v26
	v_add_u32_e32 v30, s6, v28
	v_cndmask_b32_e32 v35, v18, v35, vcc
	v_lshlrev_b32_e32 v80, 2, v35
	v_xor_b32_e32 v35, 16, v18
	v_add_u32_e32 v32, s6, v30
	v_cmp_lt_i32_e32 vcc, v35, v34
	v_mul_lo_u32 v34, s34, v17
	s_lshl_b32 s6, s34, 4
	v_add_u32_e32 v36, s6, v34
	v_cndmask_b32_e32 v18, v18, v35, vcc
	v_add_u32_e32 v38, s6, v36
	v_lshlrev_b32_e32 v81, 2, v18
	v_add_u32_e32 v40, s6, v38
	v_or_b32_e32 v18, 3, v63
	s_movk_i32 s6, 0x220
	v_lshlrev_b32_e32 v16, 2, v44
	v_add3_u32 v19, 0, v66, v45
	v_mul_u32_u24_e32 v17, 0x110, v22
	v_mul_u32_u24_e32 v18, 0x110, v18
	v_mad_u32_u24 v22, v62, s6, 0
	v_ashrrev_i32_e32 v27, 31, v26
	v_ashrrev_i32_e32 v29, 31, v28
	v_add_u32_e32 v74, 0x1100, v72
	v_ashrrev_i32_e32 v31, 31, v30
	v_add_u32_e32 v76, 0x2200, v72
	;; [unrolled: 2-line block ×3, first 2 shown]
	v_ashrrev_i32_e32 v35, 31, v34
	v_ashrrev_i32_e32 v37, 31, v36
	;; [unrolled: 1-line block ×4, first 2 shown]
	v_add3_u32 v82, v22, v17, v61
	v_add3_u32 v83, v22, v18, v61
	s_lshl_b32 s6, s84, 6
	v_mov_b32_e32 v18, 0xfeffffff
	v_lshlrev_b32_e32 v22, 2, v16
	v_add_u32_e32 v84, v19, v46
	v_add_u32_e32 v85, 0x4400, v48
	s_mov_b32 s13, 0x3fb8aa3b
	s_mov_b32 s14, 0xc2ce8ed0
	;; [unrolled: 1-line block ×5, first 2 shown]
	v_mov_b32_e32 v86, 0x7f800000
	v_mov_b32_e32 v87, v23
	;; [unrolled: 1-line block ×18, first 2 shown]
	s_ashr_i32 s7, s6, 31
	s_and_saveexec_b64 s[8:9], s[0:1]
	s_cbranch_execz .LBB24_313
.LBB24_312:
	v_lshl_add_u64 v[88:89], s[6:7], 1, v[24:25]
	global_load_dword v19, v[88:89], off
	s_waitcnt vmcnt(0)
	ds_write_b32 v70, v19 offset:17408
.LBB24_313:                             ; =>This Inner Loop Header: Depth=1
	s_or_b64 exec, exec, s[8:9]
	s_mul_hi_i32 s9, s6, s38
	s_mul_i32 s8, s6, s38
	s_lshl_b64 s[8:9], s[8:9], 2
	s_add_u32 s8, s11, s8
	s_addc_u32 s9, s12, s9
	v_lshl_add_u64 v[88:89], v[26:27], 2, s[8:9]
	v_lshl_add_u64 v[104:105], v[88:89], 0, v[22:23]
	;; [unrolled: 1-line block ×8, first 2 shown]
	global_load_dwordx4 v[88:91], v[104:105], off
	global_load_dwordx4 v[92:95], v[106:107], off
	;; [unrolled: 1-line block ×4, first 2 shown]
	v_add_u32_e32 v19, 0x2000, v84
	s_mul_hi_i32 s9, s6, s34
	s_mul_i32 s8, s6, s34
	s_lshl_b64 s[8:9], s[8:9], 2
	s_add_u32 s8, s2, s8
	s_addc_u32 s9, s3, s9
	s_add_i32 s84, s84, 1
	s_add_i32 s6, s6, 64
	s_waitcnt vmcnt(3)
	ds_write_b128 v72, v[88:91]
	s_waitcnt vmcnt(2)
	ds_write_b128 v74, v[92:95]
	;; [unrolled: 2-line block ×4, first 2 shown]
	s_waitcnt lgkmcnt(0)
	s_barrier
	ds_read2_b64 v[88:91], v84 offset1:4
	ds_read2_b64 v[96:99], v19 offset0:64 offset1:68
	s_waitcnt lgkmcnt(1)
	v_mfma_f32_16x16x16_f16 v[92:95], v[88:89], v[12:13], 0
	ds_read2_b64 v[104:107], v84 offset0:24 offset1:28
	s_waitcnt lgkmcnt(1)
	v_mfma_f32_16x16x16_f16 v[100:103], v[96:97], v[12:13], 0
	v_mfma_f32_16x16x16_f16 v[88:91], v[90:91], v[14:15], v[92:95]
	;; [unrolled: 1-line block ×3, first 2 shown]
	ds_read2_b64 v[96:99], v84 offset0:8 offset1:12
	s_nop 4
	ds_read2_b64 v[100:103], v19 offset0:72 offset1:76
	s_waitcnt lgkmcnt(1)
	v_mfma_f32_16x16x16_f16 v[88:91], v[96:97], v[8:9], v[88:91]
	v_mfma_f32_16x16x16_f16 v[88:91], v[98:99], v[10:11], v[88:91]
	ds_read2_b64 v[96:99], v84 offset0:16 offset1:20
	s_waitcnt lgkmcnt(1)
	v_mfma_f32_16x16x16_f16 v[92:95], v[100:101], v[8:9], v[92:95]
	v_mfma_f32_16x16x16_f16 v[92:95], v[102:103], v[10:11], v[92:95]
	;; [unrolled: 4-line block ×3, first 2 shown]
	ds_read2_b64 v[96:99], v19 offset0:88 offset1:92
	s_waitcnt lgkmcnt(0)
	s_barrier
	v_mfma_f32_16x16x16_f16 v[92:95], v[100:101], v[4:5], v[92:95]
	ds_read2_b32 v[100:101], v85 offset1:1
	ds_read_b32 v19, v78 offset:17408
	ds_read_b32 v68, v79 offset:17408
	v_mfma_f32_16x16x16_f16 v[92:95], v[102:103], v[6:7], v[92:95]
	s_waitcnt lgkmcnt(2)
	v_cvt_f32_f16_e32 v71, v100
	v_mfma_f32_16x16x16_f16 v[88:91], v[104:105], v[0:1], v[88:91]
	v_cvt_f32_f16_sdwa v100, v100 dst_sel:DWORD dst_unused:UNUSED_PAD src0_sel:WORD_1
	s_waitcnt lgkmcnt(0)
	v_cvt_f32_f16_e32 v102, v68
	v_cvt_f32_f16_sdwa v68, v68 dst_sel:DWORD dst_unused:UNUSED_PAD src0_sel:WORD_1
	v_mfma_f32_16x16x16_f16 v[92:95], v[96:97], v[0:1], v[92:95]
	v_cvt_f32_f16_e32 v96, v101
	v_cvt_f32_f16_sdwa v97, v101 dst_sel:DWORD dst_unused:UNUSED_PAD src0_sel:WORD_1
	v_cvt_f32_f16_e32 v101, v19
	v_mfma_f32_16x16x16_f16 v[88:91], v[106:107], v[2:3], v[88:91]
	v_cvt_f32_f16_sdwa v19, v19 dst_sel:DWORD dst_unused:UNUSED_PAD src0_sel:WORD_1
	v_mfma_f32_16x16x16_f16 v[92:95], v[98:99], v[2:3], v[92:95]
	s_nop 5
	v_add_f32_e32 v71, v88, v71
	v_add_f32_e32 v98, v89, v100
	;; [unrolled: 1-line block ×11, first 2 shown]
	v_max3_f32 v68, v18, v68, v88
	v_add_f32_e32 v114, v94, v102
	v_add_f32_e32 v91, 0x40051340, v99
	;; [unrolled: 1-line block ×3, first 2 shown]
	v_max3_f32 v68, v68, v89, v90
	v_add_f32_e32 v93, 0x40051340, v114
	v_add_f32_e32 v94, 0x40051340, v115
	v_max3_f32 v68, v68, v91, v92
	v_max3_f32 v68, v68, v93, v94
	ds_bpermute_b32 v100, v80, v68
	v_lshl_add_u64 v[88:89], v[34:35], 2, s[8:9]
	v_lshl_add_u64 v[112:113], v[88:89], 0, v[22:23]
	v_lshl_add_u64 v[90:91], v[36:37], 2, s[8:9]
	v_lshl_add_u64 v[92:93], v[38:39], 2, s[8:9]
	s_waitcnt lgkmcnt(0)
	v_max_f32_e32 v100, v100, v100
	v_max_f32_e32 v68, v68, v100
	ds_bpermute_b32 v100, v81, v68
	v_lshl_add_u64 v[94:95], v[40:41], 2, s[8:9]
	v_lshl_add_u64 v[90:91], v[90:91], 0, v[22:23]
	;; [unrolled: 1-line block ×4, first 2 shown]
	s_waitcnt lgkmcnt(0)
	v_max_f32_e32 v88, v100, v100
	v_max_f32_e32 v68, v68, v88
	v_sub_f32_e32 v71, v71, v68
	v_sub_f32_e32 v89, v98, v68
	v_mul_f32_e32 v88, 0x3fb8aa3b, v71
	v_sub_f32_e32 v96, v96, v68
	v_sub_f32_e32 v116, v97, v68
	v_mul_f32_e32 v97, 0x3fb8aa3b, v89
	v_fma_f32 v100, v71, s13, -v88
	v_rndne_f32_e32 v101, v88
	v_mul_f32_e32 v98, 0x3fb8aa3b, v96
	v_fma_f32 v102, v89, s13, -v97
	v_rndne_f32_e32 v103, v97
	v_fmac_f32_e32 v100, 0x32a5705f, v71
	v_sub_f32_e32 v88, v88, v101
	v_fma_f32 v104, v96, s13, -v98
	v_rndne_f32_e32 v105, v98
	v_fmac_f32_e32 v102, 0x32a5705f, v89
	v_sub_f32_e32 v97, v97, v103
	v_add_f32_e32 v88, v88, v100
	v_cvt_i32_f32_e32 v101, v101
	v_fmac_f32_e32 v104, 0x32a5705f, v96
	v_sub_f32_e32 v98, v98, v105
	v_add_f32_e32 v97, v97, v102
	v_exp_f32_e32 v88, v88
	v_cvt_i32_f32_e32 v103, v103
	v_add_f32_e32 v98, v98, v104
	v_exp_f32_e32 v97, v97
	v_sub_f32_e32 v117, v99, v68
	v_mul_f32_e32 v99, 0x3fb8aa3b, v116
	v_cvt_i32_f32_e32 v105, v105
	v_exp_f32_e32 v98, v98
	v_fma_f32 v106, v116, s13, -v99
	v_rndne_f32_e32 v107, v99
	v_fmac_f32_e32 v106, 0x32a5705f, v116
	v_sub_f32_e32 v99, v99, v107
	v_ldexp_f32 v88, v88, v101
	v_cmp_ngt_f32_e32 vcc, s14, v71
	v_add_f32_e32 v99, v99, v106
	v_ldexp_f32 v97, v97, v103
	v_cndmask_b32_e32 v88, 0, v88, vcc
	v_cmp_ngt_f32_e32 vcc, s14, v89
	v_cvt_i32_f32_e32 v107, v107
	v_exp_f32_e32 v99, v99
	v_ldexp_f32 v98, v98, v105
	v_cndmask_b32_e32 v97, 0, v97, vcc
	v_cmp_ngt_f32_e32 vcc, s14, v96
	v_ldexp_f32 v120, v99, v107
	v_mul_f32_e32 v118, 0x3fb8aa3b, v117
	v_cndmask_b32_e32 v98, 0, v98, vcc
	v_cmp_nlt_f32_e32 vcc, s15, v71
	v_fma_f32 v119, v117, s13, -v118
	v_fmac_f32_e32 v119, 0x32a5705f, v117
	v_cndmask_b32_e32 v88, v86, v88, vcc
	v_cmp_nlt_f32_e32 vcc, s15, v89
	v_sub_f32_e32 v19, v19, v68
	v_sub_f32_e32 v18, v18, v68
	v_cndmask_b32_e32 v89, v86, v97, vcc
	v_cmp_nlt_f32_e32 vcc, s15, v96
	s_nop 1
	v_cndmask_b32_e32 v71, v86, v98, vcc
	global_load_dwordx4 v[96:99], v[112:113], off
	global_load_dwordx4 v[100:103], v[90:91], off
	;; [unrolled: 1-line block ×4, first 2 shown]
	v_rndne_f32_e32 v90, v118
	v_sub_f32_e32 v91, v118, v90
	v_add_f32_e32 v91, v91, v119
	v_exp_f32_e32 v91, v91
	v_cvt_i32_f32_e32 v92, v90
	v_cmp_ngt_f32_e32 vcc, s14, v116
	s_waitcnt vmcnt(3)
	ds_write_b128 v72, v[96:99]
	s_waitcnt vmcnt(2)
	ds_write_b128 v74, v[100:103]
	;; [unrolled: 2-line block ×4, first 2 shown]
	v_ldexp_f32 v91, v91, v92
	v_mul_f32_e32 v92, 0x3fb8aa3b, v19
	v_fma_f32 v93, v19, s13, -v92
	v_rndne_f32_e32 v94, v92
	v_fmac_f32_e32 v93, 0x32a5705f, v19
	v_sub_f32_e32 v92, v92, v94
	v_add_f32_e32 v92, v92, v93
	v_exp_f32_e32 v92, v92
	v_cvt_i32_f32_e32 v93, v94
	v_cndmask_b32_e32 v90, 0, v120, vcc
	v_cmp_nlt_f32_e32 vcc, s15, v116
	s_waitcnt lgkmcnt(0)
	v_ldexp_f32 v92, v92, v93
	v_sub_f32_e32 v93, v114, v68
	v_mul_f32_e32 v94, 0x3fb8aa3b, v93
	v_fma_f32 v95, v93, s13, -v94
	v_rndne_f32_e32 v112, v94
	v_fmac_f32_e32 v95, 0x32a5705f, v93
	v_sub_f32_e32 v94, v94, v112
	v_add_f32_e32 v94, v94, v95
	v_exp_f32_e32 v94, v94
	v_cvt_i32_f32_e32 v95, v112
	v_cndmask_b32_e32 v90, v86, v90, vcc
	v_cmp_ngt_f32_e32 vcc, s14, v117
	s_barrier
	s_nop 0
	v_cndmask_b32_e32 v91, 0, v91, vcc
	v_cmp_nlt_f32_e32 vcc, s15, v117
	v_cvt_pk_f16_f32 v117, v71, v90
	v_cvt_pk_f16_f32 v116, v88, v89
	v_cndmask_b32_e32 v91, v86, v91, vcc
	v_cmp_ngt_f32_e32 vcc, s14, v19
	s_nop 1
	v_cndmask_b32_e32 v92, 0, v92, vcc
	v_cmp_nlt_f32_e32 vcc, s15, v19
	v_ldexp_f32 v19, v94, v95
	v_sub_f32_e32 v95, v115, v68
	v_mul_f32_e32 v94, 0x3fb8aa3b, v95
	v_fma_f32 v112, v95, s13, -v94
	v_rndne_f32_e32 v113, v94
	v_fmac_f32_e32 v112, 0x32a5705f, v95
	v_sub_f32_e32 v94, v94, v113
	v_add_f32_e32 v94, v94, v112
	v_cvt_i32_f32_e32 v112, v113
	v_mul_f32_e32 v113, 0x3fb8aa3b, v18
	v_fma_f32 v114, v18, s13, -v113
	v_rndne_f32_e32 v115, v113
	v_fmac_f32_e32 v114, 0x32a5705f, v18
	v_sub_f32_e32 v113, v113, v115
	v_add_f32_e32 v113, v113, v114
	v_exp_f32_e32 v94, v94
	v_exp_f32_e32 v113, v113
	v_cvt_i32_f32_e32 v114, v115
	v_cndmask_b32_e32 v92, v86, v92, vcc
	v_cmp_ngt_f32_e32 vcc, s14, v93
	v_cvt_pk_f16_f32 v118, v91, v92
	s_nop 0
	v_cndmask_b32_e32 v19, 0, v19, vcc
	v_cmp_nlt_f32_e32 vcc, s15, v93
	s_nop 1
	v_cndmask_b32_e32 v93, v86, v19, vcc
	v_ldexp_f32 v19, v94, v112
	v_ldexp_f32 v94, v113, v114
	v_cmp_ngt_f32_e32 vcc, s14, v18
	ds_read_u16 v96, v82 offset:544
	ds_read_u16 v99, v82 offset:576
	;; [unrolled: 1-line block ×8, first 2 shown]
	ds_read_u16 v97, v83
	ds_read_u16 v100, v83 offset:32
	ds_read_u16 v105, v83 offset:64
	;; [unrolled: 1-line block ×7, first 2 shown]
	v_cndmask_b32_e32 v94, 0, v94, vcc
	v_cmp_nlt_f32_e32 vcc, s15, v18
	s_waitcnt lgkmcnt(7)
	v_perm_b32 v97, v97, v96, s17
	ds_read_u16 v96, v82
	ds_read_u16 v102, v82 offset:32
	ds_read_u16 v114, v82 offset:64
	;; [unrolled: 1-line block ×15, first 2 shown]
	v_cndmask_b32_e32 v94, v86, v94, vcc
	v_cmp_le_f32_e32 vcc, s16, v18
	s_waitcnt lgkmcnt(7)
	v_perm_b32 v96, v98, v96, s17
	v_perm_b32 v101, v100, v99, s17
	v_cndmask_b32_e32 v94, 0, v94, vcc
	v_cvt_f16_f32_e32 v18, v94
	v_cmp_ngt_f32_e32 vcc, s14, v95
	s_waitcnt lgkmcnt(6)
	v_perm_b32 v100, v126, v102, s17
	v_mul_u32_u24_e32 v112, 0x10001, v18
	v_cndmask_b32_e32 v19, 0, v19, vcc
	v_cmp_nlt_f32_e32 vcc, s15, v95
	v_pk_mul_f16 v17, v17, v112
	v_pk_mul_f16 v64, v64, v112
	v_cndmask_b32_e32 v95, v86, v19, vcc
	v_pk_mul_f16 v19, v16, v112
	v_cvt_f32_f16_e32 v16, v17
	v_cvt_f32_f16_sdwa v17, v17 dst_sel:DWORD dst_unused:UNUSED_PAD src0_sel:WORD_1
	v_cvt_f32_f16_e32 v18, v19
	v_cvt_f32_f16_sdwa v19, v19 dst_sel:DWORD dst_unused:UNUSED_PAD src0_sel:WORD_1
	v_pk_mul_f16 v60, v60, v112
	v_cvt_pk_f16_f32 v119, v93, v95
	v_mfma_f32_16x16x16_f16 v[16:19], v[96:97], v[116:117], v[16:19]
	ds_read_u16 v96, v82 offset:9248
	ds_read_u16 v133, v82 offset:9280
	;; [unrolled: 1-line block ×16, first 2 shown]
	s_waitcnt lgkmcnt(7)
	v_perm_b32 v97, v97, v96, s17
	ds_read_u16 v96, v82 offset:8704
	ds_read_u16 v147, v82 offset:8736
	;; [unrolled: 1-line block ×16, first 2 shown]
	v_cvt_f16_f32_e32 v16, v16
	v_cvt_f16_f32_e32 v17, v17
	;; [unrolled: 1-line block ×4, first 2 shown]
	s_waitcnt lgkmcnt(7)
	v_perm_b32 v96, v98, v96, s17
	v_cvt_f32_f16_e32 v16, v16
	v_cvt_f32_f16_e32 v17, v17
	;; [unrolled: 1-line block ×5, first 2 shown]
	v_cvt_f32_f16_sdwa v99, v60 dst_sel:DWORD dst_unused:UNUSED_PAD src0_sel:WORD_1
	v_mfma_f32_16x16x16_f16 v[16:19], v[96:97], v[118:119], v[16:19]
	v_cvt_f32_f16_e32 v96, v64
	v_cvt_f32_f16_sdwa v97, v64 dst_sel:DWORD dst_unused:UNUSED_PAD src0_sel:WORD_1
	v_pk_mul_f16 v59, v59, v112
	v_pk_mul_f16 v57, v57, v112
	v_mfma_f32_16x16x16_f16 v[96:99], v[100:101], v[116:117], v[96:99]
	v_perm_b32 v101, v140, v133, s17
	s_waitcnt lgkmcnt(6)
	v_perm_b32 v100, v154, v147, s17
	v_pk_mul_f16 v55, v55, v112
	v_pk_mul_f16 v53, v53, v112
	s_nop 2
	v_cvt_f16_f32_e32 v60, v96
	v_cvt_f16_f32_e32 v64, v97
	;; [unrolled: 1-line block ×4, first 2 shown]
	v_cvt_f32_f16_e32 v96, v60
	v_cvt_f32_f16_e32 v97, v64
	;; [unrolled: 1-line block ×4, first 2 shown]
	v_pk_mul_f16 v60, v58, v112
	v_perm_b32 v58, v127, v114, s17
	v_mfma_f32_16x16x16_f16 v[96:99], v[100:101], v[118:119], v[96:99]
	v_cvt_f32_f16_e32 v100, v59
	v_cvt_f32_f16_sdwa v101, v59 dst_sel:DWORD dst_unused:UNUSED_PAD src0_sel:WORD_1
	v_perm_b32 v59, v105, v103, s17
	v_cvt_f32_f16_e32 v102, v60
	v_cvt_f32_f16_sdwa v103, v60 dst_sel:DWORD dst_unused:UNUSED_PAD src0_sel:WORD_1
	v_perm_b32 v105, v106, v104, s17
	v_perm_b32 v104, v128, v121, s17
	v_mfma_f32_16x16x16_f16 v[100:103], v[58:59], v[116:117], v[100:103]
	v_pk_mul_f16 v51, v51, v112
	v_pk_mul_f16 v48, v48, v112
	;; [unrolled: 1-line block ×3, first 2 shown]
	v_cmp_lt_i32_e32 vcc, s84, v69
	s_nop 3
	v_cvt_f16_f32_e32 v58, v100
	v_cvt_f16_f32_e32 v59, v101
	;; [unrolled: 1-line block ×4, first 2 shown]
	v_cvt_f32_f16_e32 v100, v58
	v_cvt_f32_f16_e32 v101, v59
	v_perm_b32 v59, v141, v134, s17
	s_waitcnt lgkmcnt(5)
	v_perm_b32 v58, v155, v148, s17
	v_cvt_f32_f16_e32 v102, v60
	v_cvt_f32_f16_e32 v103, v64
	v_pk_mul_f16 v60, v56, v112
	v_cvt_f32_f16_e32 v56, v57
	v_mfma_f32_16x16x16_f16 v[100:103], v[58:59], v[118:119], v[100:103]
	v_cvt_f32_f16_sdwa v57, v57 dst_sel:DWORD dst_unused:UNUSED_PAD src0_sel:WORD_1
	v_cvt_f32_f16_e32 v58, v60
	v_cvt_f32_f16_sdwa v59, v60 dst_sel:DWORD dst_unused:UNUSED_PAD src0_sel:WORD_1
	v_pk_mul_f16 v60, v54, v112
	v_perm_b32 v54, v129, v122, s17
	v_mfma_f32_16x16x16_f16 v[56:59], v[104:105], v[116:117], v[56:59]
	v_perm_b32 v105, v142, v135, s17
	s_waitcnt lgkmcnt(4)
	v_perm_b32 v104, v156, v149, s17
	v_cvt_f32_f16_e32 v106, v60
	v_cvt_f32_f16_e32 v114, v46
	s_nop 2
	v_cvt_f16_f32_e32 v56, v56
	v_cvt_f16_f32_e32 v57, v57
	;; [unrolled: 1-line block ×4, first 2 shown]
	v_cvt_f32_f16_e32 v56, v56
	v_cvt_f32_f16_e32 v57, v57
	;; [unrolled: 1-line block ×4, first 2 shown]
	v_cvt_pk_f16_f32 v17, v16, v17
	v_cvt_pk_f16_f32 v16, v18, v19
	v_mfma_f32_16x16x16_f16 v[56:59], v[104:105], v[118:119], v[56:59]
	v_cvt_f32_f16_e32 v104, v55
	v_cvt_f32_f16_sdwa v105, v55 dst_sel:DWORD dst_unused:UNUSED_PAD src0_sel:WORD_1
	v_perm_b32 v55, v109, v107, s17
	v_cvt_f32_f16_sdwa v107, v60 dst_sel:DWORD dst_unused:UNUSED_PAD src0_sel:WORD_1
	v_perm_b32 v109, v110, v108, s17
	v_perm_b32 v108, v130, v123, s17
	v_mfma_f32_16x16x16_f16 v[104:107], v[54:55], v[116:117], v[104:107]
	s_nop 0
	v_cvt_pk_f16_f32 v57, v56, v57
	v_cvt_pk_f16_f32 v56, v58, v59
	;; [unrolled: 1-line block ×4, first 2 shown]
	s_nop 2
	v_cvt_f16_f32_e32 v54, v104
	v_cvt_f16_f32_e32 v55, v105
	;; [unrolled: 1-line block ×4, first 2 shown]
	v_cvt_f32_f16_e32 v104, v54
	v_cvt_f32_f16_e32 v105, v55
	v_perm_b32 v55, v143, v136, s17
	s_waitcnt lgkmcnt(3)
	v_perm_b32 v54, v157, v150, s17
	v_cvt_f32_f16_e32 v106, v60
	v_cvt_f32_f16_e32 v107, v64
	v_pk_mul_f16 v60, v52, v112
	v_cvt_f32_f16_e32 v52, v53
	v_mfma_f32_16x16x16_f16 v[104:107], v[54:55], v[118:119], v[104:107]
	v_cvt_f32_f16_sdwa v53, v53 dst_sel:DWORD dst_unused:UNUSED_PAD src0_sel:WORD_1
	v_cvt_f32_f16_e32 v54, v60
	v_cvt_f32_f16_sdwa v55, v60 dst_sel:DWORD dst_unused:UNUSED_PAD src0_sel:WORD_1
	v_pk_mul_f16 v60, v50, v112
	v_perm_b32 v50, v131, v124, s17
	v_mfma_f32_16x16x16_f16 v[52:55], v[108:109], v[116:117], v[52:55]
	v_perm_b32 v109, v144, v137, s17
	s_waitcnt lgkmcnt(2)
	v_perm_b32 v108, v158, v151, s17
	v_cvt_f32_f16_e32 v110, v60
	v_cvt_f32_f16_e32 v112, v48
	s_nop 2
	v_cvt_f16_f32_e32 v52, v52
	v_cvt_f16_f32_e32 v53, v53
	;; [unrolled: 1-line block ×4, first 2 shown]
	v_cvt_f32_f16_e32 v52, v52
	v_cvt_f32_f16_e32 v53, v53
	;; [unrolled: 1-line block ×4, first 2 shown]
	s_and_b64 vcc, exec, vcc
	s_waitcnt lgkmcnt(0)
	v_mfma_f32_16x16x16_f16 v[52:55], v[108:109], v[118:119], v[52:55]
	v_cvt_f32_f16_e32 v108, v51
	v_cvt_f32_f16_sdwa v109, v51 dst_sel:DWORD dst_unused:UNUSED_PAD src0_sel:WORD_1
	v_perm_b32 v51, v113, v111, s17
	v_cvt_f32_f16_sdwa v111, v60 dst_sel:DWORD dst_unused:UNUSED_PAD src0_sel:WORD_1
	v_add_f32_e32 v60, v88, v89
	v_cvt_f32_f16_sdwa v113, v48 dst_sel:DWORD dst_unused:UNUSED_PAD src0_sel:WORD_1
	v_mfma_f32_16x16x16_f16 v[108:111], v[50:51], v[116:117], v[108:111]
	v_add_f32_e32 v60, v71, v60
	v_cvt_pk_f16_f32 v53, v52, v53
	v_cvt_pk_f16_f32 v52, v54, v55
	;; [unrolled: 1-line block ×3, first 2 shown]
	s_nop 3
	v_cvt_f16_f32_e32 v50, v108
	v_cvt_f16_f32_e32 v51, v109
	;; [unrolled: 1-line block ×4, first 2 shown]
	v_cvt_f32_f16_e32 v108, v50
	v_cvt_f32_f16_e32 v109, v51
	v_perm_b32 v51, v145, v138, s17
	v_perm_b32 v50, v159, v152, s17
	v_cvt_f32_f16_e32 v110, v64
	v_cvt_f32_f16_e32 v111, v88
	v_cvt_pk_f16_f32 v54, v106, v107
	v_cvt_pk_f16_f32 v64, v96, v97
	v_mfma_f32_16x16x16_f16 v[108:111], v[50:51], v[118:119], v[108:111]
	v_perm_b32 v51, v120, v115, s17
	v_perm_b32 v50, v132, v125, s17
	v_cvt_f32_f16_sdwa v115, v46 dst_sel:DWORD dst_unused:UNUSED_PAD src0_sel:WORD_1
	v_add_f32_e32 v46, v90, v60
	v_add_f32_e32 v46, v91, v46
	v_mfma_f32_16x16x16_f16 v[88:91], v[50:51], v[116:117], v[112:115]
	v_add_f32_e32 v46, v92, v46
	v_add_f32_e32 v46, v93, v46
	;; [unrolled: 1-line block ×3, first 2 shown]
	v_fmac_f32_e32 v71, v87, v94
	s_nop 3
	v_cvt_f16_f32_e32 v50, v89
	v_cvt_f16_f32_e32 v51, v90
	;; [unrolled: 1-line block ×4, first 2 shown]
	v_cvt_f32_f16_e32 v89, v50
	v_cvt_f32_f16_e32 v90, v51
	v_perm_b32 v51, v146, v139, s17
	v_perm_b32 v50, v160, v153, s17
	v_cvt_f32_f16_e32 v88, v48
	v_cvt_f32_f16_e32 v91, v60
	v_cvt_pk_f16_f32 v60, v98, v99
	s_barrier
	v_mfma_f32_16x16x16_f16 v[88:91], v[50:51], v[118:119], v[88:91]
	v_cvt_pk_f16_f32 v51, v108, v109
	v_cvt_pk_f16_f32 v50, v110, v111
	s_nop 5
	v_cvt_pk_f16_f32 v48, v88, v89
	v_cvt_pk_f16_f32 v46, v90, v91
	s_cbranch_vccz .LBB24_318
; %bb.314:                              ;   in Loop: Header=BB24_313 Depth=1
	v_mov_b32_e32 v87, v71
	v_mov_b32_e32 v18, v68
	s_ashr_i32 s7, s6, 31
	s_and_saveexec_b64 s[8:9], s[0:1]
	s_cbranch_execnz .LBB24_312
	s_branch .LBB24_313
.LBB24_315:
                                        ; implicit-def: $sgpr56_sgpr57
	s_load_dwordx2 s[54:55], s[0:1], 0x74
	v_cvt_f32_u32_e32 v1, s35
	s_branch .LBB24_2
.LBB24_316:
                                        ; implicit-def: $sgpr60_sgpr61
	s_load_dwordx2 s[44:45], s[0:1], 0x5c
	s_branch .LBB24_5
.LBB24_317:
	v_mov_b32_e32 v68, 0xfeffffff
	v_mov_b32_e32 v71, 0
	;; [unrolled: 1-line block ×18, first 2 shown]
.LBB24_318:
	s_lshl_b32 s0, s84, 6
	s_ashr_i32 s1, s0, 31
	v_cmp_gt_u32_e32 vcc, 4, v67
	s_and_saveexec_b64 s[6:7], vcc
	s_cbranch_execz .LBB24_320
; %bb.319:
	v_or_b32_e32 v18, s10, v67
	v_mul_hi_u32 v19, s44, v18
	v_add_u32_e32 v19, v18, v19
	v_lshrrev_b32_e32 v19, s45, v19
	s_lshl_b64 s[8:9], s[0:1], 1
	v_mul_lo_u32 v19, v19, s36
	s_add_u32 s4, s4, s8
	v_sub_u32_e32 v19, v18, v19
	s_addc_u32 s5, s5, s9
	v_lshlrev_b32_e32 v18, 2, v42
	v_mad_i64_i32 v[22:23], s[8:9], v19, s64, 0
	v_and_b32_e32 v18, 0x7c, v18
	v_lshl_add_u64 v[22:23], v[22:23], 1, s[4:5]
	v_mov_b32_e32 v19, 0
	v_lshl_add_u64 v[22:23], v[22:23], 0, v[18:19]
	global_load_dword v19, v[22:23], off
	v_mul_u32_u24_e32 v22, 0x90, v67
	v_add3_u32 v18, 0, v22, v18
	s_waitcnt vmcnt(0)
	ds_write_b32 v18, v19 offset:17408
.LBB24_320:
	s_or_b64 exec, exec, s[6:7]
	s_mul_hi_i32 s5, s0, s38
	s_mul_i32 s4, s0, s38
	s_lshl_b64 s[4:5], s[4:5], 2
	v_lshl_add_u32 v67, v47, 2, v21
	s_add_u32 s4, s11, s4
	v_mul_lo_u32 v18, s38, v67
	s_addc_u32 s5, s12, s5
	v_ashrrev_i32_e32 v19, 31, v18
	s_lshl_b32 s1, s38, 4
	v_lshl_add_u64 v[22:23], v[18:19], 2, s[4:5]
	v_add_u32_e32 v18, s1, v18
	v_mov_b32_e32 v21, 0
	v_ashrrev_i32_e32 v19, 31, v18
	v_lshl_add_u64 v[38:39], v[22:23], 0, v[20:21]
	v_lshl_add_u64 v[22:23], v[18:19], 2, s[4:5]
	v_add_u32_e32 v18, s1, v18
	v_ashrrev_i32_e32 v19, 31, v18
	v_lshl_add_u64 v[40:41], v[22:23], 0, v[20:21]
	v_lshl_add_u64 v[22:23], v[18:19], 2, s[4:5]
	v_add_u32_e32 v18, s1, v18
	v_ashrrev_i32_e32 v19, 31, v18
	v_lshl_add_u64 v[18:19], v[18:19], 2, s[4:5]
	v_lshl_add_u64 v[76:77], v[22:23], 0, v[20:21]
	;; [unrolled: 1-line block ×3, first 2 shown]
	global_load_dwordx4 v[22:25], v[38:39], off
	global_load_dwordx4 v[26:29], v[40:41], off
	;; [unrolled: 1-line block ×4, first 2 shown]
	v_and_b32_e32 v18, 16, v49
	v_add_u32_e32 v19, 0, v66
	v_mul_u32_u24_e32 v38, 0x110, v67
	v_mul_u32_u24_e32 v39, 0x110, v18
	v_add3_u32 v66, 0, v38, v20
	v_add3_u32 v19, v19, v45, v39
	v_add_u32_e32 v69, 0x2000, v19
	s_movk_i32 s1, 0x90
	v_and_b32_e32 v70, 0xfc, v63
	s_movk_i32 s4, 0x4400
	s_mov_b32 s5, 0x3fb8aa3b
	s_mul_hi_i32 s7, s0, s34
	s_mul_i32 s6, s0, s34
	s_lshl_b64 s[6:7], s[6:7], 2
	s_add_u32 s2, s2, s6
	s_addc_u32 s3, s3, s7
	s_lshl_b32 s0, s34, 4
	s_waitcnt vmcnt(3)
	ds_write_b128 v66, v[22:25]
	s_waitcnt vmcnt(2)
	ds_write_b128 v66, v[26:29] offset:4352
	s_waitcnt vmcnt(1)
	ds_write_b128 v66, v[30:33] offset:8704
	;; [unrolled: 2-line block ×3, first 2 shown]
	s_waitcnt lgkmcnt(0)
	s_barrier
	ds_read2_b64 v[22:25], v19 offset1:4
	ds_read2_b64 v[30:33], v69 offset0:64 offset1:68
	s_waitcnt lgkmcnt(1)
	v_mfma_f32_16x16x16_f16 v[26:29], v[22:23], v[12:13], 0
	v_mfma_f32_16x16x16_f16 v[22:25], v[24:25], v[14:15], v[26:29]
	s_nop 6
	ds_read2_b64 v[26:29], v19 offset0:8 offset1:12
	ds_read2_b64 v[38:41], v69 offset0:72 offset1:76
	s_waitcnt lgkmcnt(2)
	v_mfma_f32_16x16x16_f16 v[34:37], v[30:31], v[12:13], 0
	v_lshrrev_b32_e32 v30, 3, v65
	v_mbcnt_hi_u32_b32 v65, -1, v75
	s_waitcnt lgkmcnt(1)
	v_mfma_f32_16x16x16_f16 v[22:25], v[26:27], v[8:9], v[22:25]
	v_mfma_f32_16x16x16_f16 v[12:15], v[32:33], v[14:15], v[34:37]
	s_nop 2
	v_mad_u32_u24 v35, v30, s1, 0
	ds_read2_b64 v[30:33], v19 offset0:16 offset1:20
	v_mfma_f32_16x16x16_f16 v[22:25], v[28:29], v[10:11], v[22:25]
	ds_read2_b64 v[26:29], v69 offset0:80 offset1:84
	v_add_u32_e32 v34, v70, v18
	v_add_u16_e32 v18, v70, v18
	s_waitcnt lgkmcnt(2)
	v_mfma_f32_16x16x16_f16 v[12:15], v[38:39], v[8:9], v[12:15]
	v_lshrrev_b16_e32 v18, 1, v18
	v_and_b32_e32 v36, 64, v65
	v_lshl_add_u32 v34, v34, 1, v35
	v_mfma_f32_16x16x16_f16 v[8:11], v[40:41], v[10:11], v[12:15]
	v_lshlrev_b32_e32 v18, 2, v18
	v_add_u32_e32 v39, 64, v36
	v_add3_u32 v18, v35, v18, s4
	s_waitcnt lgkmcnt(1)
	v_mfma_f32_16x16x16_f16 v[12:15], v[30:31], v[4:5], v[22:25]
	v_add_u32_e32 v30, 0x4400, v34
	s_nop 1
	ds_read2_b64 v[22:25], v19 offset0:24 offset1:28
	ds_read2_b64 v[34:37], v69 offset0:88 offset1:92
	v_xor_b32_e32 v38, 32, v65
	s_waitcnt lgkmcnt(2)
	v_mfma_f32_16x16x16_f16 v[8:11], v[26:27], v[4:5], v[8:11]
	v_cmp_lt_i32_e32 vcc, v38, v39
	s_waitcnt lgkmcnt(0)
	s_barrier
	v_mfma_f32_16x16x16_f16 v[12:15], v[32:33], v[6:7], v[12:15]
	ds_read2_b32 v[18:19], v18 offset1:1
	s_mov_b32 s1, 0xc2ce8ed0
	v_mfma_f32_16x16x16_f16 v[4:7], v[28:29], v[6:7], v[8:11]
	s_mov_b32 s4, 0x42b17218
	s_nop 1
	v_cndmask_b32_e32 v8, v65, v38, vcc
	v_lshlrev_b32_e32 v28, 2, v8
	v_mfma_f32_16x16x16_f16 v[8:11], v[22:23], v[0:1], v[12:15]
	s_nop 2
	ds_read2_b32 v[12:13], v30 offset0:16 offset1:17
	v_mfma_f32_16x16x16_f16 v[4:7], v[34:35], v[0:1], v[4:7]
	s_waitcnt lgkmcnt(1)
	v_cvt_f32_f16_e32 v14, v18
	v_cvt_f32_f16_sdwa v15, v18 dst_sel:DWORD dst_unused:UNUSED_PAD src0_sel:WORD_1
	v_cvt_f32_f16_e32 v18, v19
	v_mfma_f32_16x16x16_f16 v[8:11], v[24:25], v[2:3], v[8:11]
	v_cvt_f32_f16_sdwa v19, v19 dst_sel:DWORD dst_unused:UNUSED_PAD src0_sel:WORD_1
	s_waitcnt lgkmcnt(0)
	v_cvt_f32_f16_e32 v22, v12
	v_cvt_f32_f16_sdwa v12, v12 dst_sel:DWORD dst_unused:UNUSED_PAD src0_sel:WORD_1
	v_cvt_f32_f16_e32 v23, v13
	v_mfma_f32_16x16x16_f16 v[0:3], v[36:37], v[2:3], v[4:7]
	v_cvt_f32_f16_sdwa v13, v13 dst_sel:DWORD dst_unused:UNUSED_PAD src0_sel:WORD_1
	v_mov_b32_e32 v36, 0x7f800000
	s_nop 0
	v_add_f32_e32 v4, v8, v14
	v_add_f32_e32 v5, v9, v15
	;; [unrolled: 1-line block ×4, first 2 shown]
	s_nop 0
	v_add_f32_e32 v29, v1, v12
	v_add_f32_e32 v34, v2, v23
	;; [unrolled: 1-line block ×8, first 2 shown]
	v_max3_f32 v1, v68, v1, v2
	v_add_f32_e32 v9, 0x40051340, v0
	v_add_f32_e32 v10, 0x40051340, v29
	v_max3_f32 v1, v1, v3, v8
	v_add_f32_e32 v11, 0x40051340, v34
	v_add_f32_e32 v12, 0x40051340, v35
	v_max3_f32 v1, v1, v9, v10
	v_max3_f32 v1, v1, v11, v12
	ds_bpermute_b32 v2, v28, v1
	v_xor_b32_e32 v3, 16, v65
	v_cmp_lt_i32_e32 vcc, v3, v39
	s_waitcnt lgkmcnt(0)
	v_max_f32_e32 v2, v2, v2
	v_cndmask_b32_e32 v3, v65, v3, vcc
	v_lshlrev_b32_e32 v33, 2, v3
	v_max_f32_e32 v1, v1, v2
	ds_bpermute_b32 v2, v33, v1
	s_waitcnt lgkmcnt(0)
	v_max_f32_e32 v2, v2, v2
	v_max_f32_e32 v32, v1, v2
	v_sub_f32_e32 v1, v4, v32
	v_mul_f32_e32 v4, 0x3fb8aa3b, v1
	v_fma_f32 v8, v1, s5, -v4
	v_rndne_f32_e32 v9, v4
	v_fmac_f32_e32 v8, 0x32a5705f, v1
	v_sub_f32_e32 v4, v4, v9
	v_sub_f32_e32 v2, v5, v32
	v_add_f32_e32 v4, v4, v8
	v_mul_f32_e32 v5, 0x3fb8aa3b, v2
	v_cvt_i32_f32_e32 v9, v9
	v_exp_f32_e32 v4, v4
	v_sub_f32_e32 v3, v6, v32
	v_fma_f32 v10, v2, s5, -v5
	v_rndne_f32_e32 v11, v5
	v_mul_f32_e32 v6, 0x3fb8aa3b, v3
	v_fmac_f32_e32 v10, 0x32a5705f, v2
	v_sub_f32_e32 v5, v5, v11
	v_fma_f32 v12, v3, s5, -v6
	v_rndne_f32_e32 v13, v6
	v_add_f32_e32 v5, v5, v10
	v_cvt_i32_f32_e32 v11, v11
	v_fmac_f32_e32 v12, 0x32a5705f, v3
	v_exp_f32_e32 v5, v5
	v_sub_f32_e32 v6, v6, v13
	v_ldexp_f32 v4, v4, v9
	v_cmp_ngt_f32_e32 vcc, s1, v1
	v_add_f32_e32 v6, v6, v12
	v_ldexp_f32 v5, v5, v11
	v_cndmask_b32_e32 v4, 0, v4, vcc
	v_cmp_nlt_f32_e32 vcc, s4, v1
	v_exp_f32_e32 v1, v6
	v_sub_f32_e32 v25, v7, v32
	v_cndmask_b32_e32 v22, v36, v4, vcc
	v_cvt_i32_f32_e32 v4, v13
	v_cmp_ngt_f32_e32 vcc, s1, v2
	v_sub_f32_e32 v38, v0, v32
	v_mul_f32_e32 v0, 0x3fb8aa3b, v38
	v_cndmask_b32_e32 v5, 0, v5, vcc
	v_cmp_nlt_f32_e32 vcc, s4, v2
	v_mul_f32_e32 v2, 0x3fb8aa3b, v25
	v_ldexp_f32 v1, v1, v4
	v_cndmask_b32_e32 v23, v36, v5, vcc
	v_fma_f32 v4, v25, s5, -v2
	v_rndne_f32_e32 v5, v2
	v_cmp_ngt_f32_e32 vcc, s1, v3
	v_fmac_f32_e32 v4, 0x32a5705f, v25
	v_sub_f32_e32 v2, v2, v5
	v_cndmask_b32_e32 v1, 0, v1, vcc
	v_cmp_nlt_f32_e32 vcc, s4, v3
	v_add_f32_e32 v2, v2, v4
	v_rndne_f32_e32 v39, v0
	v_cndmask_b32_e32 v24, v36, v1, vcc
	v_fma_f32 v1, v38, s5, -v0
	v_exp_f32_e32 v2, v2
	v_cvt_i32_f32_e32 v4, v5
	v_fmac_f32_e32 v1, 0x32a5705f, v38
	v_sub_f32_e32 v0, v0, v39
	v_add_f32_e32 v0, v0, v1
	v_exp_f32_e32 v40, v0
	v_mul_lo_u32 v0, s34, v67
	v_ashrrev_i32_e32 v1, 31, v0
	v_ldexp_f32 v37, v2, v4
	v_lshl_add_u64 v[2:3], v[0:1], 2, s[2:3]
	v_add_u32_e32 v0, s0, v0
	v_ashrrev_i32_e32 v1, 31, v0
	v_lshl_add_u64 v[18:19], v[2:3], 0, v[20:21]
	v_lshl_add_u64 v[2:3], v[0:1], 2, s[2:3]
	v_add_u32_e32 v0, s0, v0
	v_ashrrev_i32_e32 v1, 31, v0
	v_lshl_add_u64 v[26:27], v[2:3], 0, v[20:21]
	;; [unrolled: 4-line block ×3, first 2 shown]
	v_lshl_add_u64 v[30:31], v[2:3], 0, v[20:21]
	v_lshl_add_u64 v[20:21], v[0:1], 0, v[20:21]
	global_load_dwordx4 v[0:3], v[18:19], off
	global_load_dwordx4 v[4:7], v[26:27], off
	;; [unrolled: 1-line block ×4, first 2 shown]
	v_cmp_ngt_f32_e32 vcc, s1, v25
	v_cvt_i32_f32_e32 v18, v39
	v_sub_f32_e32 v31, v68, v32
	v_cndmask_b32_e32 v19, 0, v37, vcc
	v_cmp_nlt_f32_e32 vcc, s4, v25
	v_ldexp_f32 v18, v40, v18
	s_mov_b32 s0, 0xc1a00000
	v_cndmask_b32_e32 v25, v36, v19, vcc
	v_sub_f32_e32 v19, v29, v32
	v_mul_f32_e32 v20, 0x3fb8aa3b, v19
	v_fma_f32 v21, v19, s5, -v20
	v_rndne_f32_e32 v26, v20
	v_fmac_f32_e32 v21, 0x32a5705f, v19
	v_sub_f32_e32 v20, v20, v26
	v_add_f32_e32 v20, v20, v21
	v_exp_f32_e32 v20, v20
	v_cvt_i32_f32_e32 v21, v26
	v_cmp_ngt_f32_e32 vcc, s1, v38
	s_waitcnt vmcnt(3)
	ds_write_b128 v66, v[0:3]
	s_waitcnt vmcnt(2)
	ds_write_b128 v66, v[4:7] offset:4352
	s_waitcnt vmcnt(1)
	ds_write_b128 v66, v[8:11] offset:8704
	;; [unrolled: 2-line block ×3, first 2 shown]
	v_cndmask_b32_e32 v18, 0, v18, vcc
	v_cmp_nlt_f32_e32 vcc, s4, v38
	s_waitcnt lgkmcnt(0)
	s_barrier
	v_cndmask_b32_e32 v26, v36, v18, vcc
	v_ldexp_f32 v18, v20, v21
	v_sub_f32_e32 v20, v34, v32
	v_mul_f32_e32 v21, 0x3fb8aa3b, v20
	v_fma_f32 v27, v20, s5, -v21
	v_rndne_f32_e32 v29, v21
	v_fmac_f32_e32 v27, 0x32a5705f, v20
	v_sub_f32_e32 v21, v21, v29
	v_add_f32_e32 v21, v21, v27
	v_exp_f32_e32 v21, v21
	v_cvt_i32_f32_e32 v29, v29
	v_cmp_ngt_f32_e32 vcc, s1, v19
	v_cvt_pk_f16_f32 v41, v24, v25
	s_nop 0
	v_cndmask_b32_e32 v18, 0, v18, vcc
	v_cmp_nlt_f32_e32 vcc, s4, v19
	v_sub_f32_e32 v19, v35, v32
	v_cvt_pk_f16_f32 v40, v22, v23
	v_cndmask_b32_e32 v27, v36, v18, vcc
	v_ldexp_f32 v18, v21, v29
	v_mul_f32_e32 v21, 0x3fb8aa3b, v19
	v_fma_f32 v29, v19, s5, -v21
	v_rndne_f32_e32 v30, v21
	v_fmac_f32_e32 v29, 0x32a5705f, v19
	v_sub_f32_e32 v21, v21, v30
	v_add_f32_e32 v21, v21, v29
	v_mul_f32_e32 v29, 0x3fb8aa3b, v31
	v_fma_f32 v34, v31, s5, -v29
	v_rndne_f32_e32 v35, v29
	v_fmac_f32_e32 v34, 0x32a5705f, v31
	v_sub_f32_e32 v29, v29, v35
	v_add_f32_e32 v29, v29, v34
	v_exp_f32_e32 v34, v29
	v_cvt_i32_f32_e32 v35, v35
	v_cmp_ngt_f32_e32 vcc, s1, v20
	v_exp_f32_e32 v21, v21
	v_cvt_i32_f32_e32 v30, v30
	v_cndmask_b32_e32 v18, 0, v18, vcc
	v_cmp_nlt_f32_e32 vcc, s4, v20
	v_ldexp_f32 v20, v34, v35
	s_movk_i32 s2, 0x110
	v_cndmask_b32_e32 v29, v36, v18, vcc
	v_cmp_ngt_f32_e32 vcc, s1, v31
	v_ldexp_f32 v18, v21, v30
	s_nop 0
	v_cndmask_b32_e32 v20, 0, v20, vcc
	v_cmp_nlt_f32_e32 vcc, s4, v31
	s_nop 1
	v_cndmask_b32_e32 v20, v36, v20, vcc
	v_cmp_le_f32_e32 vcc, s0, v31
	s_movk_i32 s0, 0x220
	v_mad_u32_u24 v0, v62, s0, 0
	v_cndmask_b32_e32 v30, 0, v20, vcc
	v_cvt_f16_f32_e32 v20, v30
	v_cmp_ngt_f32_e32 vcc, s1, v19
	s_mov_b32 s0, 0x5040100
	v_mul_u32_u24_e32 v34, 0x10001, v20
	v_cndmask_b32_e32 v18, 0, v18, vcc
	v_cmp_nlt_f32_e32 vcc, s4, v19
	v_or_b32_e32 v19, 3, v63
	v_pk_mul_f16 v17, v17, v34
	v_cndmask_b32_e32 v31, v36, v18, vcc
	v_mul_u32_u24_e32 v18, 0x110, v70
	v_mul_u32_u24_e32 v19, 0x110, v19
	v_add3_u32 v6, v0, v18, v61
	v_add3_u32 v7, v0, v19, v61
	v_cvt_f32_f16_e32 v0, v17
	v_cvt_f32_f16_sdwa v1, v17 dst_sel:DWORD dst_unused:UNUSED_PAD src0_sel:WORD_1
	ds_read_u16 v3, v6 offset:544
	ds_read_u16 v8, v6 offset:576
	;; [unrolled: 1-line block ×8, first 2 shown]
	ds_read_u16 v4, v7
	ds_read_u16 v9, v7 offset:32
	ds_read_u16 v12, v7 offset:64
	;; [unrolled: 1-line block ×7, first 2 shown]
	s_waitcnt lgkmcnt(7)
	v_perm_b32 v5, v4, v3, s0
	ds_read_u16 v3, v6
	ds_read_u16 v10, v6 offset:32
	ds_read_u16 v14, v6 offset:64
	;; [unrolled: 1-line block ×15, first 2 shown]
	v_pk_mul_f16 v16, v16, v34
	s_waitcnt lgkmcnt(7)
	v_perm_b32 v4, v4, v3, s0
	v_cvt_f32_f16_e32 v2, v16
	v_cvt_f32_f16_sdwa v3, v16 dst_sel:DWORD dst_unused:UNUSED_PAD src0_sel:WORD_1
	v_pk_mul_f16 v16, v64, v34
	v_cvt_pk_f16_f32 v61, v29, v31
	v_mfma_f32_16x16x16_f16 v[0:3], v[4:5], v[40:41], v[0:3]
	ds_read_u16 v4, v6 offset:9248
	ds_read_u16 v64, v6 offset:9280
	;; [unrolled: 1-line block ×16, first 2 shown]
	s_waitcnt lgkmcnt(7)
	v_perm_b32 v5, v5, v4, s0
	ds_read_u16 v4, v6 offset:8704
	ds_read_u16 v88, v6 offset:8736
	;; [unrolled: 1-line block ×16, first 2 shown]
	v_cvt_f16_f32_e32 v0, v0
	v_cvt_f16_f32_e32 v1, v1
	;; [unrolled: 1-line block ×4, first 2 shown]
	s_waitcnt lgkmcnt(7)
	v_perm_b32 v4, v7, v4, s0
	v_cvt_f32_f16_e32 v0, v0
	v_cvt_f32_f16_e32 v1, v1
	;; [unrolled: 1-line block ×4, first 2 shown]
	v_pk_mul_f16 v7, v60, v34
	v_cvt_pk_f16_f32 v60, v26, v27
	v_perm_b32 v9, v9, v8, s0
	v_perm_b32 v8, v13, v10, s0
	v_mfma_f32_16x16x16_f16 v[0:3], v[4:5], v[60:61], v[0:3]
	v_cvt_f32_f16_e32 v4, v16
	v_cvt_f32_f16_sdwa v5, v16 dst_sel:DWORD dst_unused:UNUSED_PAD src0_sel:WORD_1
	v_cvt_f32_f16_e32 v6, v7
	v_cvt_f32_f16_sdwa v7, v7 dst_sel:DWORD dst_unused:UNUSED_PAD src0_sel:WORD_1
	v_pk_mul_f16 v10, v59, v34
	v_pk_mul_f16 v16, v58, v34
	v_mfma_f32_16x16x16_f16 v[4:7], v[8:9], v[40:41], v[4:7]
	v_perm_b32 v9, v81, v64, s0
	s_waitcnt lgkmcnt(6)
	v_perm_b32 v8, v95, v88, s0
	v_perm_b32 v13, v12, v11, s0
	;; [unrolled: 1-line block ×3, first 2 shown]
	s_nop 2
	v_cvt_f16_f32_e32 v4, v4
	v_cvt_f16_f32_e32 v5, v5
	;; [unrolled: 1-line block ×4, first 2 shown]
	v_cvt_f32_f16_e32 v4, v4
	v_cvt_f32_f16_e32 v5, v5
	;; [unrolled: 1-line block ×4, first 2 shown]
	v_cvt_f32_f16_sdwa v11, v16 dst_sel:DWORD dst_unused:UNUSED_PAD src0_sel:WORD_1
	v_pk_mul_f16 v14, v57, v34
	v_mfma_f32_16x16x16_f16 v[4:7], v[8:9], v[60:61], v[4:7]
	v_cvt_f32_f16_e32 v8, v10
	v_cvt_f32_f16_sdwa v9, v10 dst_sel:DWORD dst_unused:UNUSED_PAD src0_sel:WORD_1
	v_cvt_f32_f16_e32 v10, v16
	v_pk_mul_f16 v21, v56, v34
	v_perm_b32 v17, v17, v15, s0
	v_mfma_f32_16x16x16_f16 v[8:11], v[12:13], v[40:41], v[8:11]
	v_perm_b32 v13, v82, v75, s0
	s_waitcnt lgkmcnt(5)
	v_perm_b32 v12, v96, v89, s0
	v_perm_b32 v16, v37, v18, s0
	v_cvt_f32_f16_sdwa v15, v21 dst_sel:DWORD dst_unused:UNUSED_PAD src0_sel:WORD_1
	s_nop 2
	v_cvt_f16_f32_e32 v8, v8
	v_cvt_f16_f32_e32 v9, v9
	;; [unrolled: 1-line block ×4, first 2 shown]
	v_cvt_f32_f16_e32 v8, v8
	v_cvt_f32_f16_e32 v9, v9
	v_cvt_f32_f16_e32 v10, v10
	v_cvt_f32_f16_e32 v11, v11
	v_pk_mul_f16 v18, v55, v34
	v_pk_mul_f16 v37, v54, v34
	v_mfma_f32_16x16x16_f16 v[8:11], v[12:13], v[60:61], v[8:11]
	v_cvt_f32_f16_e32 v12, v14
	v_cvt_f32_f16_sdwa v13, v14 dst_sel:DWORD dst_unused:UNUSED_PAD src0_sel:WORD_1
	v_cvt_f32_f16_e32 v14, v21
	v_perm_b32 v21, v20, v19, s0
	v_perm_b32 v20, v38, v36, s0
	v_mfma_f32_16x16x16_f16 v[12:15], v[16:17], v[40:41], v[12:15]
	v_perm_b32 v17, v83, v76, s0
	s_waitcnt lgkmcnt(4)
	v_perm_b32 v16, v97, v90, s0
	v_cvt_f32_f16_sdwa v19, v37 dst_sel:DWORD dst_unused:UNUSED_PAD src0_sel:WORD_1
	v_pk_mul_f16 v52, v52, v34
	s_nop 2
	v_cvt_f16_f32_e32 v12, v12
	v_cvt_f16_f32_e32 v13, v13
	;; [unrolled: 1-line block ×4, first 2 shown]
	v_cvt_f32_f16_e32 v12, v12
	v_cvt_f32_f16_e32 v13, v13
	;; [unrolled: 1-line block ×5, first 2 shown]
	v_pk_mul_f16 v51, v51, v34
	v_mfma_f32_16x16x16_f16 v[12:15], v[16:17], v[60:61], v[12:15]
	v_cvt_f32_f16_e32 v16, v18
	v_cvt_f32_f16_sdwa v17, v18 dst_sel:DWORD dst_unused:UNUSED_PAD src0_sel:WORD_1
	v_cvt_f32_f16_e32 v18, v37
	v_pk_mul_f16 v37, v53, v34
	v_pk_mul_f16 v46, v46, v34
	v_mfma_f32_16x16x16_f16 v[16:19], v[20:21], v[40:41], v[16:19]
	v_perm_b32 v21, v84, v77, s0
	s_waitcnt lgkmcnt(3)
	v_perm_b32 v20, v98, v91, s0
	v_cvt_f32_f16_e32 v36, v37
	v_cvt_f32_f16_sdwa v37, v37 dst_sel:DWORD dst_unused:UNUSED_PAD src0_sel:WORD_1
	s_nop 2
	v_cvt_f16_f32_e32 v16, v16
	v_cvt_f16_f32_e32 v17, v17
	;; [unrolled: 1-line block ×4, first 2 shown]
	v_cvt_f32_f16_e32 v16, v16
	v_cvt_f32_f16_e32 v17, v17
	;; [unrolled: 1-line block ×4, first 2 shown]
	s_waitcnt lgkmcnt(0)
	s_barrier
	v_mfma_f32_16x16x16_f16 v[16:19], v[20:21], v[60:61], v[16:19]
	v_perm_b32 v21, v39, v35, s0
	v_perm_b32 v20, v70, v67, s0
	v_cvt_f32_f16_sdwa v39, v52 dst_sel:DWORD dst_unused:UNUSED_PAD src0_sel:WORD_1
	v_pk_mul_f16 v52, v50, v34
	v_perm_b32 v50, v72, v68, s0
	v_mfma_f32_16x16x16_f16 v[36:39], v[20:21], v[40:41], v[36:39]
	s_nop 7
	v_cvt_f16_f32_e32 v20, v36
	v_cvt_f16_f32_e32 v21, v37
	;; [unrolled: 1-line block ×4, first 2 shown]
	v_cvt_f32_f16_e32 v36, v20
	v_cvt_f32_f16_e32 v37, v21
	v_perm_b32 v21, v85, v78, s0
	v_perm_b32 v20, v99, v92, s0
	v_cvt_f32_f16_e32 v38, v35
	v_cvt_f32_f16_e32 v39, v39
	v_add_f32_e32 v35, v22, v23
	v_add_f32_e32 v24, v24, v35
	v_mfma_f32_16x16x16_f16 v[20:23], v[20:21], v[60:61], v[36:39]
	v_add_f32_e32 v24, v25, v24
	v_add_f32_e32 v26, v26, v24
	s_nop 0
	v_cvt_f32_f16_e32 v36, v51
	v_cvt_f32_f16_sdwa v37, v51 dst_sel:DWORD dst_unused:UNUSED_PAD src0_sel:WORD_1
	v_perm_b32 v51, v65, v62, s0
	v_cvt_f32_f16_e32 v38, v52
	v_cvt_f32_f16_sdwa v39, v52 dst_sel:DWORD dst_unused:UNUSED_PAD src0_sel:WORD_1
	s_nop 1
	v_mfma_f32_16x16x16_f16 v[36:39], v[50:51], v[40:41], v[36:39]
	v_add_f32_e32 v50, v27, v26
	v_add_f32_e32 v29, v29, v50
	s_nop 5
	v_cvt_f16_f32_e32 v24, v36
	v_cvt_f16_f32_e32 v25, v37
	;; [unrolled: 1-line block ×4, first 2 shown]
	v_cvt_f32_f16_e32 v36, v24
	v_cvt_f32_f16_e32 v37, v25
	v_perm_b32 v25, v86, v79, s0
	v_perm_b32 v24, v100, v93, s0
	v_cvt_f32_f16_e32 v38, v35
	v_cvt_f32_f16_e32 v39, v39
	v_pk_mul_f16 v35, v48, v34
	s_nop 0
	v_mfma_f32_16x16x16_f16 v[24:27], v[24:25], v[60:61], v[36:39]
	v_cvt_f32_f16_e32 v34, v35
	v_cvt_f32_f16_sdwa v35, v35 dst_sel:DWORD dst_unused:UNUSED_PAD src0_sel:WORD_1
	s_nop 0
	v_perm_b32 v39, v66, v63, s0
	v_perm_b32 v38, v74, v69, s0
	v_cvt_f32_f16_e32 v36, v46
	v_cvt_f32_f16_sdwa v37, v46 dst_sel:DWORD dst_unused:UNUSED_PAD src0_sel:WORD_1
	v_add_f32_e32 v46, v31, v29
	v_fmac_f32_e32 v46, v71, v30
	v_mfma_f32_16x16x16_f16 v[34:37], v[38:39], v[40:41], v[34:37]
	ds_bpermute_b32 v38, v28, v46
	s_nop 6
	v_cvt_f16_f32_e32 v30, v35
	v_cvt_f16_f32_e32 v31, v36
	;; [unrolled: 1-line block ×4, first 2 shown]
	v_cvt_f32_f16_e32 v35, v30
	v_cvt_f32_f16_e32 v36, v31
	v_perm_b32 v31, v87, v80, s0
	v_perm_b32 v30, v101, v94, s0
	v_cvt_f32_f16_e32 v34, v29
	v_cvt_f32_f16_e32 v37, v37
	v_cmp_gt_u32_e64 s[0:1], 16, v42
	s_nop 0
	v_mfma_f32_16x16x16_f16 v[28:31], v[30:31], v[60:61], v[34:37]
	s_waitcnt lgkmcnt(0)
	s_nop 1
	v_add_f32_e32 v34, v46, v38
	ds_bpermute_b32 v35, v33, v34
	s_and_saveexec_b64 s[4:5], s[0:1]
	s_cbranch_execz .LBB24_322
; %bb.321:
	s_waitcnt lgkmcnt(0)
	v_add_f32_e32 v34, v34, v35
	v_or_b32_e32 v35, v49, v42
	v_mad_u32_u24 v35, v35, s2, 0
	ds_write2_b32 v35, v32, v34 offset0:64 offset1:65
.LBB24_322:
	s_or_b64 exec, exec, s[4:5]
	v_and_b32_e32 v32, 1, v47
	v_cmp_eq_u32_e32 vcc, 0, v32
	v_cmp_eq_u32_e64 s[4:5], 1, v32
	s_waitcnt lgkmcnt(0)
	s_barrier
	s_and_saveexec_b64 s[2:3], s[4:5]
	s_xor_b64 s[4:5], exec, s[2:3]
	s_cbranch_execz .LBB24_324
; %bb.323:
	s_barrier
                                        ; implicit-def: $vgpr73
                                        ; implicit-def: $vgpr33
.LBB24_324:
	s_andn2_saveexec_b64 s[6:7], s[4:5]
	s_cbranch_execz .LBB24_330
; %bb.325:
	v_and_or_b32 v36, v42, 31, v49
	s_movk_i32 s2, 0x110
	v_mad_u32_u24 v32, v36, s2, 0
	ds_read_b64 v[38:39], v32 offset:256
	s_mov_b32 s2, 0x3fb8aa3b
	s_mov_b32 s3, 0x42b17218
	s_waitcnt lgkmcnt(0)
	s_barrier
	ds_bpermute_b32 v32, v33, v38
	v_max_f32_e32 v34, v38, v38
	s_waitcnt lgkmcnt(0)
	v_max_f32_e32 v32, v32, v32
	v_max_f32_e32 v32, v34, v32
	v_sub_f32_e32 v34, v38, v32
	v_mul_f32_e32 v35, 0x3fb8aa3b, v34
	v_fma_f32 v37, v34, s2, -v35
	v_rndne_f32_e32 v38, v35
	v_fmamk_f32 v37, v34, 0x32a5705f, v37
	v_sub_f32_e32 v35, v35, v38
	v_add_f32_e32 v35, v35, v37
	v_cvt_i32_f32_e32 v38, v38
	v_exp_f32_e32 v35, v35
	s_mov_b32 s2, 0xc2ce8ed0
	v_cmp_ngt_f32_e64 s[4:5], s2, v34
	v_mov_b32_e32 v37, 0x7f800000
	v_ldexp_f32 v35, v35, v38
	v_cndmask_b32_e64 v35, 0, v35, s[4:5]
	v_cmp_nlt_f32_e64 s[4:5], s3, v34
	s_nop 1
	v_cndmask_b32_e64 v34, v37, v35, s[4:5]
	v_mul_f32_e32 v35, v39, v34
	ds_bpermute_b32 v35, v33, v35
	v_cmp_gt_u32_e64 s[4:5], 32, v42
	s_waitcnt lgkmcnt(0)
	v_fmac_f32_e32 v35, v39, v34
	s_and_saveexec_b64 s[8:9], s[4:5]
; %bb.326:
	v_mul_u32_u24_e32 v33, 0x110, v36
	v_add_u32_e32 v33, 0, v33
	ds_write_b64 v33, v[34:35] offset:256
; %bb.327:
	s_or_b64 exec, exec, s[8:9]
	s_and_saveexec_b64 s[4:5], s[0:1]
	s_cbranch_execz .LBB24_329
; %bb.328:
	s_add_i32 s0, s35, s33
	s_lshl_b32 s0, s0, 5
	s_mov_b32 s1, 0
	s_lshl_b64 s[0:1], s[0:1], 3
	s_add_u32 s0, s30, s0
	v_or_b32_e32 v33, v73, v42
	s_addc_u32 s1, s31, s1
	v_lshlrev_b32_e32 v34, 3, v33
	v_mov_b32_e32 v33, v35
	global_store_dwordx2 v34, v[32:33], s[0:1]
.LBB24_329:
	s_or_b64 exec, exec, s[4:5]
.LBB24_330:
	s_or_b64 exec, exec, s[6:7]
	v_cvt_pk_f16_f32 v2, v2, v3
	v_cvt_pk_f16_f32 v3, v4, v5
	;; [unrolled: 1-line block ×4, first 2 shown]
	v_or_b32_e32 v16, v49, v44
	v_mul_u32_u24_e32 v16, 0x110, v16
	v_cvt_pk_f16_f32 v0, v0, v1
	s_mov_b32 s3, 0
	s_movk_i32 s4, 0x110
	v_add3_u32 v16, 0, v45, v16
	v_cvt_pk_f16_f32 v1, v6, v7
	v_cvt_pk_f16_f32 v4, v10, v11
	;; [unrolled: 1-line block ×11, first 2 shown]
	ds_write2_b32 v16, v0, v2 offset1:1
	ds_write2_b32 v16, v3, v1 offset0:8 offset1:9
	ds_write2_b32 v16, v5, v4 offset0:16 offset1:17
	;; [unrolled: 1-line block ×7, first 2 shown]
	s_waitcnt lgkmcnt(0)
	s_barrier
	s_and_saveexec_b64 s[0:1], vcc
	s_cbranch_execz .LBB24_332
; %bb.331:
	s_lshl_b32 s2, s33, 11
	s_lshl_b64 s[6:7], s[2:3], 3
	s_add_u32 s5, s30, s6
	s_addc_u32 s6, s31, s7
	s_lshl_b32 s2, s35, 6
	s_lshl_b64 s[2:3], s[2:3], 3
	s_add_u32 s2, s5, s2
	v_bfe_u32 v7, v47, 1, 4
	s_movk_i32 s5, 0x3e0
	v_and_or_b32 v2, v47, s5, v7
	v_mad_u32_u24 v0, v2, s4, v43
	ds_read2st64_b32 v[0:1], v0 offset1:17
	v_mad_u32_u24 v2, v2, s4, 0
	ds_read2st64_b32 v[2:3], v2 offset0:1 offset1:18
	v_lshrrev_b32_e32 v6, 1, v47
	s_movk_i32 s5, 0x7e0
	s_waitcnt lgkmcnt(1)
	v_cvt_f32_f16_e32 v4, v0
	v_cvt_f32_f16_sdwa v5, v0 dst_sel:DWORD dst_unused:UNUSED_PAD src0_sel:WORD_1
	v_cvt_f32_f16_e32 v0, v1
	v_cvt_f32_f16_sdwa v1, v1 dst_sel:DWORD dst_unused:UNUSED_PAD src0_sel:WORD_1
	v_lshlrev_b32_e32 v8, 5, v47
	s_waitcnt lgkmcnt(0)
	v_pk_fma_f32 v[4:5], v[2:3], v[4:5], 0 op_sel_hi:[0,1,0]
	v_mov_b32_e32 v2, v3
	v_pk_fma_f32 v[0:1], v[2:3], v[0:1], v[4:5] op_sel_hi:[0,1,1]
	v_add_u32_e32 v4, 2, v6
	v_lshlrev_b32_e32 v2, 1, v4
	v_and_b32_e32 v3, 15, v4
	v_and_or_b32 v5, v2, s5, v3
	v_mad_u32_u24 v2, v5, s4, v43
	ds_read2st64_b32 v[2:3], v2 offset1:17
	s_addc_u32 s3, s6, s3
	v_add_lshl_u32 v8, v8, v42, 3
	global_store_dwordx2 v8, v[0:1], s[2:3]
	v_mad_u32_u24 v0, v5, s4, 0
	ds_read2st64_b32 v[0:1], v0 offset0:1 offset1:18
	v_lshlrev_b32_e32 v8, 6, v4
	s_waitcnt lgkmcnt(1)
	v_cvt_f32_f16_e32 v4, v2
	v_cvt_f32_f16_sdwa v5, v2 dst_sel:DWORD dst_unused:UNUSED_PAD src0_sel:WORD_1
	v_cvt_f32_f16_e32 v2, v3
	v_cvt_f32_f16_sdwa v3, v3 dst_sel:DWORD dst_unused:UNUSED_PAD src0_sel:WORD_1
	v_add_lshl_u32 v8, v8, v42, 3
	s_waitcnt lgkmcnt(0)
	v_pk_fma_f32 v[4:5], v[0:1], v[4:5], 0 op_sel_hi:[0,1,0]
	v_mov_b32_e32 v0, v1
	v_pk_fma_f32 v[0:1], v[0:1], v[2:3], v[4:5] op_sel_hi:[0,1,1]
	v_add_u32_e32 v4, 4, v6
	v_lshlrev_b32_e32 v2, 1, v4
	v_and_b32_e32 v3, 15, v4
	v_and_or_b32 v5, v2, s5, v3
	v_mad_u32_u24 v2, v5, s4, v43
	ds_read2st64_b32 v[2:3], v2 offset1:17
	global_store_dwordx2 v8, v[0:1], s[2:3]
	v_mad_u32_u24 v0, v5, s4, 0
	ds_read2st64_b32 v[0:1], v0 offset0:1 offset1:18
	v_lshlrev_b32_e32 v8, 6, v4
	s_waitcnt lgkmcnt(1)
	v_cvt_f32_f16_e32 v4, v2
	v_cvt_f32_f16_sdwa v5, v2 dst_sel:DWORD dst_unused:UNUSED_PAD src0_sel:WORD_1
	v_cvt_f32_f16_e32 v2, v3
	v_cvt_f32_f16_sdwa v3, v3 dst_sel:DWORD dst_unused:UNUSED_PAD src0_sel:WORD_1
	v_add_lshl_u32 v8, v8, v42, 3
	s_waitcnt lgkmcnt(0)
	v_pk_fma_f32 v[4:5], v[0:1], v[4:5], 0 op_sel_hi:[0,1,0]
	v_mov_b32_e32 v0, v1
	v_pk_fma_f32 v[0:1], v[0:1], v[2:3], v[4:5] op_sel_hi:[0,1,1]
	v_add_u32_e32 v4, 6, v6
	v_lshlrev_b32_e32 v2, 1, v4
	v_and_b32_e32 v3, 15, v4
	v_and_or_b32 v5, v2, s5, v3
	v_mad_u32_u24 v2, v5, s4, v43
	ds_read2st64_b32 v[2:3], v2 offset1:17
	;; [unrolled: 20-line block ×6, first 2 shown]
	global_store_dwordx2 v8, v[0:1], s[2:3]
	v_mad_u32_u24 v0, v5, s4, 0
	ds_read2st64_b32 v[0:1], v0 offset0:1 offset1:18
	v_lshlrev_b32_e32 v8, 6, v4
	s_waitcnt lgkmcnt(1)
	v_cvt_f32_f16_e32 v4, v2
	v_cvt_f32_f16_sdwa v5, v2 dst_sel:DWORD dst_unused:UNUSED_PAD src0_sel:WORD_1
	v_cvt_f32_f16_e32 v2, v3
	v_cvt_f32_f16_sdwa v3, v3 dst_sel:DWORD dst_unused:UNUSED_PAD src0_sel:WORD_1
	v_add_lshl_u32 v8, v8, v42, 3
	s_waitcnt lgkmcnt(0)
	v_pk_fma_f32 v[4:5], v[0:1], v[4:5], 0 op_sel_hi:[0,1,0]
	v_mov_b32_e32 v0, v1
	v_pk_fma_f32 v[0:1], v[0:1], v[2:3], v[4:5] op_sel_hi:[0,1,1]
	v_add_u32_e32 v4, 16, v6
	v_lshlrev_b32_e32 v2, 1, v4
	v_and_or_b32 v5, v2, s5, v7
	v_mad_u32_u24 v2, v5, s4, v43
	ds_read2st64_b32 v[2:3], v2 offset1:17
	global_store_dwordx2 v8, v[0:1], s[2:3]
	v_mad_u32_u24 v0, v5, s4, 0
	ds_read2st64_b32 v[0:1], v0 offset0:1 offset1:18
	v_lshlrev_b32_e32 v7, 6, v4
	s_waitcnt lgkmcnt(1)
	v_cvt_f32_f16_e32 v4, v2
	v_cvt_f32_f16_sdwa v5, v2 dst_sel:DWORD dst_unused:UNUSED_PAD src0_sel:WORD_1
	v_cvt_f32_f16_e32 v2, v3
	v_cvt_f32_f16_sdwa v3, v3 dst_sel:DWORD dst_unused:UNUSED_PAD src0_sel:WORD_1
	v_add_lshl_u32 v7, v7, v42, 3
	s_waitcnt lgkmcnt(0)
	v_pk_fma_f32 v[4:5], v[0:1], v[4:5], 0 op_sel_hi:[0,1,0]
	v_mov_b32_e32 v0, v1
	v_pk_fma_f32 v[0:1], v[0:1], v[2:3], v[4:5] op_sel_hi:[0,1,1]
	v_add_u32_e32 v4, 18, v6
	v_lshlrev_b32_e32 v2, 1, v4
	v_and_b32_e32 v3, 15, v4
	v_and_or_b32 v5, v2, s5, v3
	v_mad_u32_u24 v2, v5, s4, v43
	ds_read2st64_b32 v[2:3], v2 offset1:17
	global_store_dwordx2 v7, v[0:1], s[2:3]
	v_mad_u32_u24 v0, v5, s4, 0
	ds_read2st64_b32 v[0:1], v0 offset0:1 offset1:18
	v_lshlrev_b32_e32 v7, 6, v4
	s_waitcnt lgkmcnt(1)
	v_cvt_f32_f16_e32 v4, v2
	v_cvt_f32_f16_sdwa v5, v2 dst_sel:DWORD dst_unused:UNUSED_PAD src0_sel:WORD_1
	v_cvt_f32_f16_e32 v2, v3
	v_cvt_f32_f16_sdwa v3, v3 dst_sel:DWORD dst_unused:UNUSED_PAD src0_sel:WORD_1
	v_add_lshl_u32 v7, v7, v42, 3
	s_waitcnt lgkmcnt(0)
	v_pk_fma_f32 v[4:5], v[0:1], v[4:5], 0 op_sel_hi:[0,1,0]
	v_mov_b32_e32 v0, v1
	v_pk_fma_f32 v[0:1], v[0:1], v[2:3], v[4:5] op_sel_hi:[0,1,1]
	v_add_u32_e32 v4, 20, v6
	v_lshlrev_b32_e32 v2, 1, v4
	v_and_b32_e32 v3, 15, v4
	;; [unrolled: 20-line block ×7, first 2 shown]
	v_and_or_b32 v5, v2, s5, v3
	v_mad_u32_u24 v2, v5, s4, v43
	ds_read2st64_b32 v[2:3], v2 offset1:17
	global_store_dwordx2 v7, v[0:1], s[2:3]
	v_mad_u32_u24 v0, v5, s4, 0
	ds_read2st64_b32 v[0:1], v0 offset0:1 offset1:18
	v_lshlrev_b32_e32 v6, 6, v4
	s_waitcnt lgkmcnt(1)
	v_cvt_f32_f16_e32 v4, v2
	v_cvt_f32_f16_sdwa v5, v2 dst_sel:DWORD dst_unused:UNUSED_PAD src0_sel:WORD_1
	v_cvt_f32_f16_e32 v2, v3
	v_cvt_f32_f16_sdwa v3, v3 dst_sel:DWORD dst_unused:UNUSED_PAD src0_sel:WORD_1
	v_add_lshl_u32 v6, v6, v42, 3
	s_waitcnt lgkmcnt(0)
	v_pk_fma_f32 v[4:5], v[0:1], v[4:5], 0 op_sel_hi:[0,1,0]
	v_mov_b32_e32 v0, v1
	v_pk_fma_f32 v[0:1], v[0:1], v[2:3], v[4:5] op_sel_hi:[0,1,1]
	global_store_dwordx2 v6, v[0:1], s[2:3]
.LBB24_332:
	s_or_b64 exec, exec, s[0:1]
	s_barrier
	s_endpgm
	.section	.rodata,"a",@progbits
	.p2align	6, 0x0
	.amdhsa_kernel _ZL18flash_attn_ext_f16ILi128ELi128ELi4ELi8ELb0ELb0EEvPKcS1_S1_S1_S1_PKiPfP15HIP_vector_typeIfLj2EEffffjfiS5_IjLj3EEiiiiiiiiiiiliiliiiiil
		.amdhsa_group_segment_fixed_size 0
		.amdhsa_private_segment_fixed_size 0
		.amdhsa_kernarg_size 464
		.amdhsa_user_sgpr_count 2
		.amdhsa_user_sgpr_dispatch_ptr 0
		.amdhsa_user_sgpr_queue_ptr 0
		.amdhsa_user_sgpr_kernarg_segment_ptr 1
		.amdhsa_user_sgpr_dispatch_id 0
		.amdhsa_user_sgpr_kernarg_preload_length 0
		.amdhsa_user_sgpr_kernarg_preload_offset 0
		.amdhsa_user_sgpr_private_segment_size 0
		.amdhsa_uses_dynamic_stack 0
		.amdhsa_enable_private_segment 0
		.amdhsa_system_sgpr_workgroup_id_x 1
		.amdhsa_system_sgpr_workgroup_id_y 0
		.amdhsa_system_sgpr_workgroup_id_z 0
		.amdhsa_system_sgpr_workgroup_info 0
		.amdhsa_system_vgpr_workitem_id 1
		.amdhsa_next_free_vgpr 229
		.amdhsa_next_free_sgpr 100
		.amdhsa_accum_offset 232
		.amdhsa_reserve_vcc 1
		.amdhsa_float_round_mode_32 0
		.amdhsa_float_round_mode_16_64 0
		.amdhsa_float_denorm_mode_32 3
		.amdhsa_float_denorm_mode_16_64 3
		.amdhsa_dx10_clamp 1
		.amdhsa_ieee_mode 1
		.amdhsa_fp16_overflow 0
		.amdhsa_tg_split 0
		.amdhsa_exception_fp_ieee_invalid_op 0
		.amdhsa_exception_fp_denorm_src 0
		.amdhsa_exception_fp_ieee_div_zero 0
		.amdhsa_exception_fp_ieee_overflow 0
		.amdhsa_exception_fp_ieee_underflow 0
		.amdhsa_exception_fp_ieee_inexact 0
		.amdhsa_exception_int_div_zero 0
	.end_amdhsa_kernel
	.section	.text._ZL18flash_attn_ext_f16ILi128ELi128ELi4ELi8ELb0ELb0EEvPKcS1_S1_S1_S1_PKiPfP15HIP_vector_typeIfLj2EEffffjfiS5_IjLj3EEiiiiiiiiiiiliiliiiiil,"axG",@progbits,_ZL18flash_attn_ext_f16ILi128ELi128ELi4ELi8ELb0ELb0EEvPKcS1_S1_S1_S1_PKiPfP15HIP_vector_typeIfLj2EEffffjfiS5_IjLj3EEiiiiiiiiiiiliiliiiiil,comdat
.Lfunc_end24:
	.size	_ZL18flash_attn_ext_f16ILi128ELi128ELi4ELi8ELb0ELb0EEvPKcS1_S1_S1_S1_PKiPfP15HIP_vector_typeIfLj2EEffffjfiS5_IjLj3EEiiiiiiiiiiiliiliiiiil, .Lfunc_end24-_ZL18flash_attn_ext_f16ILi128ELi128ELi4ELi8ELb0ELb0EEvPKcS1_S1_S1_S1_PKiPfP15HIP_vector_typeIfLj2EEffffjfiS5_IjLj3EEiiiiiiiiiiiliiliiiiil
                                        ; -- End function
	.set _ZL18flash_attn_ext_f16ILi128ELi128ELi4ELi8ELb0ELb0EEvPKcS1_S1_S1_S1_PKiPfP15HIP_vector_typeIfLj2EEffffjfiS5_IjLj3EEiiiiiiiiiiiliiliiiiil.num_vgpr, 229
	.set _ZL18flash_attn_ext_f16ILi128ELi128ELi4ELi8ELb0ELb0EEvPKcS1_S1_S1_S1_PKiPfP15HIP_vector_typeIfLj2EEffffjfiS5_IjLj3EEiiiiiiiiiiiliiliiiiil.num_agpr, 0
	.set _ZL18flash_attn_ext_f16ILi128ELi128ELi4ELi8ELb0ELb0EEvPKcS1_S1_S1_S1_PKiPfP15HIP_vector_typeIfLj2EEffffjfiS5_IjLj3EEiiiiiiiiiiiliiliiiiil.numbered_sgpr, 100
	.set _ZL18flash_attn_ext_f16ILi128ELi128ELi4ELi8ELb0ELb0EEvPKcS1_S1_S1_S1_PKiPfP15HIP_vector_typeIfLj2EEffffjfiS5_IjLj3EEiiiiiiiiiiiliiliiiiil.num_named_barrier, 0
	.set _ZL18flash_attn_ext_f16ILi128ELi128ELi4ELi8ELb0ELb0EEvPKcS1_S1_S1_S1_PKiPfP15HIP_vector_typeIfLj2EEffffjfiS5_IjLj3EEiiiiiiiiiiiliiliiiiil.private_seg_size, 0
	.set _ZL18flash_attn_ext_f16ILi128ELi128ELi4ELi8ELb0ELb0EEvPKcS1_S1_S1_S1_PKiPfP15HIP_vector_typeIfLj2EEffffjfiS5_IjLj3EEiiiiiiiiiiiliiliiiiil.uses_vcc, 1
	.set _ZL18flash_attn_ext_f16ILi128ELi128ELi4ELi8ELb0ELb0EEvPKcS1_S1_S1_S1_PKiPfP15HIP_vector_typeIfLj2EEffffjfiS5_IjLj3EEiiiiiiiiiiiliiliiiiil.uses_flat_scratch, 0
	.set _ZL18flash_attn_ext_f16ILi128ELi128ELi4ELi8ELb0ELb0EEvPKcS1_S1_S1_S1_PKiPfP15HIP_vector_typeIfLj2EEffffjfiS5_IjLj3EEiiiiiiiiiiiliiliiiiil.has_dyn_sized_stack, 0
	.set _ZL18flash_attn_ext_f16ILi128ELi128ELi4ELi8ELb0ELb0EEvPKcS1_S1_S1_S1_PKiPfP15HIP_vector_typeIfLj2EEffffjfiS5_IjLj3EEiiiiiiiiiiiliiliiiiil.has_recursion, 0
	.set _ZL18flash_attn_ext_f16ILi128ELi128ELi4ELi8ELb0ELb0EEvPKcS1_S1_S1_S1_PKiPfP15HIP_vector_typeIfLj2EEffffjfiS5_IjLj3EEiiiiiiiiiiiliiliiiiil.has_indirect_call, 0
	.section	.AMDGPU.csdata,"",@progbits
; Kernel info:
; codeLenInByte = 44596
; TotalNumSgprs: 106
; NumVgprs: 229
; NumAgprs: 0
; TotalNumVgprs: 229
; ScratchSize: 0
; MemoryBound: 0
; FloatMode: 240
; IeeeMode: 1
; LDSByteSize: 0 bytes/workgroup (compile time only)
; SGPRBlocks: 13
; VGPRBlocks: 28
; NumSGPRsForWavesPerEU: 106
; NumVGPRsForWavesPerEU: 229
; AccumOffset: 232
; Occupancy: 2
; WaveLimiterHint : 0
; COMPUTE_PGM_RSRC2:SCRATCH_EN: 0
; COMPUTE_PGM_RSRC2:USER_SGPR: 2
; COMPUTE_PGM_RSRC2:TRAP_HANDLER: 0
; COMPUTE_PGM_RSRC2:TGID_X_EN: 1
; COMPUTE_PGM_RSRC2:TGID_Y_EN: 0
; COMPUTE_PGM_RSRC2:TGID_Z_EN: 0
; COMPUTE_PGM_RSRC2:TIDIG_COMP_CNT: 1
; COMPUTE_PGM_RSRC3_GFX90A:ACCUM_OFFSET: 57
; COMPUTE_PGM_RSRC3_GFX90A:TG_SPLIT: 0
	.section	.text._ZL18flash_attn_ext_f16ILi128ELi128ELi4ELi8ELb1ELb0EEvPKcS1_S1_S1_S1_PKiPfP15HIP_vector_typeIfLj2EEffffjfiS5_IjLj3EEiiiiiiiiiiiliiliiiiil,"axG",@progbits,_ZL18flash_attn_ext_f16ILi128ELi128ELi4ELi8ELb1ELb0EEvPKcS1_S1_S1_S1_PKiPfP15HIP_vector_typeIfLj2EEffffjfiS5_IjLj3EEiiiiiiiiiiiliiliiiiil,comdat
	.globl	_ZL18flash_attn_ext_f16ILi128ELi128ELi4ELi8ELb1ELb0EEvPKcS1_S1_S1_S1_PKiPfP15HIP_vector_typeIfLj2EEffffjfiS5_IjLj3EEiiiiiiiiiiiliiliiiiil ; -- Begin function _ZL18flash_attn_ext_f16ILi128ELi128ELi4ELi8ELb1ELb0EEvPKcS1_S1_S1_S1_PKiPfP15HIP_vector_typeIfLj2EEffffjfiS5_IjLj3EEiiiiiiiiiiiliiliiiiil
	.p2align	8
	.type	_ZL18flash_attn_ext_f16ILi128ELi128ELi4ELi8ELb1ELb0EEvPKcS1_S1_S1_S1_PKiPfP15HIP_vector_typeIfLj2EEffffjfiS5_IjLj3EEiiiiiiiiiiiliiliiiiil,@function
_ZL18flash_attn_ext_f16ILi128ELi128ELi4ELi8ELb1ELb0EEvPKcS1_S1_S1_S1_PKiPfP15HIP_vector_typeIfLj2EEffffjfiS5_IjLj3EEiiiiiiiiiiiliiliiiiil: ; @_ZL18flash_attn_ext_f16ILi128ELi128ELi4ELi8ELb1ELb0EEvPKcS1_S1_S1_S1_PKiPfP15HIP_vector_typeIfLj2EEffffjfiS5_IjLj3EEiiiiiiiiiiiliiliiiiil
; %bb.0:
	s_mov_b32 s33, s2
	s_load_dwordx2 s[2:3], s[0:1], 0x80
	s_load_dwordx4 s[36:39], s[0:1], 0x64
                                        ; implicit-def: $vgpr224 : SGPR spill to VGPR lane
	s_load_dword s35, s[0:1], 0xd0
	s_mov_b32 s6, 0
	s_waitcnt lgkmcnt(0)
	s_abs_i32 s4, s3
	v_cvt_f32_u32_e32 v1, s4
	s_sub_i32 s8, 0, s4
	s_abs_i32 s7, s37
	s_xor_b32 s5, s37, s3
	v_rcp_iflag_f32_e32 v1, v1
	s_ashr_i32 s5, s5, 31
	v_mul_f32_e32 v1, 0x4f7ffffe, v1
	v_cvt_u32_f32_e32 v1, v1
	s_nop 0
	v_readfirstlane_b32 s9, v1
	s_mul_i32 s8, s8, s9
	s_mul_hi_u32 s8, s9, s8
	s_add_i32 s9, s9, s8
	s_mul_hi_u32 s8, s7, s9
	s_mul_i32 s9, s8, s4
	s_sub_i32 s7, s7, s9
	s_add_i32 s10, s8, 1
	s_sub_i32 s9, s7, s4
	s_cmp_ge_u32 s7, s4
	s_cselect_b32 s8, s10, s8
	s_cselect_b32 s7, s9, s7
	s_add_i32 s9, s8, 1
	s_cmp_ge_u32 s7, s4
	s_cselect_b32 s4, s9, s8
	s_add_i32 s2, s2, 63
	s_xor_b32 s4, s4, s5
	s_ashr_i32 s7, s2, 31
	s_sub_i32 s88, s4, s5
	s_lshr_b32 s4, s7, 26
	s_add_i32 s2, s2, s4
	s_ashr_i32 s93, s2, 6
	s_add_i32 s2, s36, 3
	s_lshr_b32 s5, s2, 2
	s_add_i32 s2, s88, 7
	s_ashr_i32 s4, s2, 31
	s_lshr_b32 s4, s4, 29
	s_add_i32 s2, s2, s4
	s_ashr_i32 s2, s2, 3
	s_mul_i32 s4, s5, s93
	s_mul_i32 s91, s4, s2
	;; [unrolled: 1-line block ×4, first 2 shown]
	v_writelane_b32 v224, s5, 0
	s_ashr_i32 s3, s2, 31
	v_writelane_b32 v224, s4, 1
	s_mul_i32 s4, s3, s33
	s_mul_hi_u32 s5, s2, s33
	s_add_i32 s7, s5, s4
	s_cmp_lg_u64 s[6:7], 0
	s_mul_i32 s6, s2, s33
	s_cbranch_scc0 .LBB25_475
; %bb.1:
	s_add_u32 s4, s35, 0
	s_addc_u32 s5, 0, 0
	s_xor_b64 s[8:9], s[4:5], 0
	v_cvt_f32_u32_e32 v1, s8
	v_cvt_f32_u32_e32 v2, s9
	s_sub_u32 s12, 0, s8
	s_subb_u32 s13, 0, s9
	v_fmamk_f32 v1, v2, 0x4f800000, v1
	v_rcp_f32_e32 v1, v1
	s_nop 0
	v_mul_f32_e32 v1, 0x5f7ffffc, v1
	v_mul_f32_e32 v2, 0x2f800000, v1
	v_trunc_f32_e32 v2, v2
	v_fmamk_f32 v1, v2, 0xcf800000, v1
	v_cvt_u32_f32_e32 v2, v2
	v_cvt_u32_f32_e32 v1, v1
	v_readfirstlane_b32 s14, v2
	v_readfirstlane_b32 s10, v1
	s_mul_i32 s11, s12, s14
	s_mul_hi_u32 s16, s12, s10
	s_mul_i32 s15, s13, s10
	s_add_i32 s11, s16, s11
	s_add_i32 s11, s11, s15
	s_mul_i32 s17, s12, s10
	s_mul_i32 s16, s10, s11
	s_mul_hi_u32 s18, s10, s17
	s_mul_hi_u32 s15, s10, s11
	s_add_u32 s16, s18, s16
	s_addc_u32 s15, 0, s15
	s_mul_hi_u32 s19, s14, s17
	s_mul_i32 s17, s14, s17
	s_add_u32 s16, s16, s17
	s_mul_hi_u32 s18, s14, s11
	s_addc_u32 s15, s15, s19
	s_addc_u32 s16, s18, 0
	s_mul_i32 s11, s14, s11
	s_add_u32 s11, s15, s11
	s_addc_u32 s15, 0, s16
	s_add_u32 s16, s10, s11
	s_cselect_b64 s[10:11], -1, 0
	s_cmp_lg_u64 s[10:11], 0
	s_addc_u32 s14, s14, s15
	s_mul_i32 s10, s12, s14
	s_mul_hi_u32 s11, s12, s16
	s_add_i32 s10, s11, s10
	s_mul_i32 s13, s13, s16
	s_add_i32 s10, s10, s13
	s_mul_i32 s12, s12, s16
	s_mul_hi_u32 s13, s14, s12
	s_mul_i32 s15, s14, s12
	s_mul_i32 s18, s16, s10
	s_mul_hi_u32 s12, s16, s12
	s_mul_hi_u32 s17, s16, s10
	s_add_u32 s12, s12, s18
	s_addc_u32 s17, 0, s17
	s_add_u32 s12, s12, s15
	s_mul_hi_u32 s11, s14, s10
	s_addc_u32 s12, s17, s13
	s_addc_u32 s11, s11, 0
	s_mul_i32 s10, s14, s10
	s_add_u32 s10, s12, s10
	s_addc_u32 s12, 0, s11
	s_add_u32 s15, s16, s10
	s_cselect_b64 s[10:11], -1, 0
	s_cmp_lg_u64 s[10:11], 0
	s_addc_u32 s14, s14, s12
	s_ashr_i32 s10, s7, 31
	s_add_u32 s12, s6, s10
	s_mov_b32 s11, s10
	s_addc_u32 s13, s7, s10
	s_xor_b64 s[12:13], s[12:13], s[10:11]
	s_mul_i32 s16, s12, s14
	s_mul_hi_u32 s17, s12, s15
	s_mul_hi_u32 s7, s12, s14
	s_add_u32 s16, s17, s16
	s_addc_u32 s7, 0, s7
	s_mul_hi_u32 s18, s13, s15
	s_mul_i32 s15, s13, s15
	s_add_u32 s15, s16, s15
	s_mul_hi_u32 s17, s13, s14
	s_addc_u32 s7, s7, s18
	s_addc_u32 s15, s17, 0
	s_mul_i32 s14, s13, s14
	s_add_u32 s7, s7, s14
	s_addc_u32 s18, 0, s15
	s_mul_i32 s14, s8, s18
	s_mul_hi_u32 s15, s8, s7
	s_add_i32 s14, s15, s14
	s_mul_i32 s15, s9, s7
	s_add_i32 s19, s14, s15
	s_sub_i32 s16, s13, s19
	s_mul_i32 s14, s8, s7
	s_sub_u32 s12, s12, s14
	s_cselect_b64 s[14:15], -1, 0
	s_cmp_lg_u64 s[14:15], 0
	s_subb_u32 s20, s16, s9
	s_sub_u32 s21, s12, s8
	s_cselect_b64 s[16:17], -1, 0
	s_cmp_lg_u64 s[16:17], 0
	s_subb_u32 s16, s20, 0
	s_cmp_ge_u32 s16, s9
	s_cselect_b32 s17, -1, 0
	s_cmp_ge_u32 s21, s8
	s_cselect_b32 s20, -1, 0
	s_cmp_eq_u32 s16, s9
	s_cselect_b32 s16, s20, s17
	s_add_u32 s17, s7, 1
	s_addc_u32 s20, s18, 0
	s_add_u32 s21, s7, 2
	s_addc_u32 s22, s18, 0
	s_cmp_lg_u32 s16, 0
	s_cselect_b32 s16, s21, s17
	s_cselect_b32 s17, s22, s20
	s_cmp_lg_u64 s[14:15], 0
	s_subb_u32 s13, s13, s19
	s_cmp_ge_u32 s13, s9
	s_cselect_b32 s14, -1, 0
	s_cmp_ge_u32 s12, s8
	s_cselect_b32 s8, -1, 0
	s_cmp_eq_u32 s13, s9
	s_cselect_b32 s8, s8, s14
	s_cmp_lg_u32 s8, 0
	s_cselect_b32 s9, s17, s18
	s_cselect_b32 s8, s16, s7
	s_xor_b64 s[10:11], s[10:11], 0
	s_xor_b64 s[8:9], s[8:9], s[10:11]
	s_sub_u32 s56, s8, s10
	s_load_dwordx2 s[54:55], s[0:1], 0x74
	v_cvt_f32_u32_e32 v1, s35
	s_cbranch_execnz .LBB25_3
.LBB25_2:
	v_rcp_iflag_f32_e32 v2, v1
	s_sub_i32 s4, 0, s35
	v_mul_f32_e32 v2, 0x4f7ffffe, v2
	v_cvt_u32_f32_e32 v2, v2
	s_nop 0
	v_readfirstlane_b32 s5, v2
	s_mul_i32 s4, s4, s5
	s_mul_hi_u32 s4, s5, s4
	s_add_i32 s5, s5, s4
	s_mul_hi_u32 s4, s6, s5
	s_mul_i32 s7, s4, s35
	s_sub_i32 s6, s6, s7
	s_add_i32 s5, s4, 1
	s_sub_i32 s7, s6, s35
	s_cmp_ge_u32 s6, s35
	s_cselect_b32 s4, s5, s4
	s_cselect_b32 s6, s7, s6
	s_add_i32 s5, s4, 1
	s_cmp_ge_u32 s6, s35
	s_cselect_b32 s56, s5, s4
.LBB25_3:
	s_add_i32 s4, s33, 1
	s_mul_i32 s3, s3, s4
	s_mul_hi_u32 s5, s2, s4
	s_add_i32 s9, s5, s3
	s_mov_b32 s8, 0
	s_cmp_lg_u64 s[8:9], 0
	s_mul_i32 s2, s2, s4
	s_cbranch_scc0 .LBB25_476
; %bb.4:
	s_add_u32 s4, s35, 0
	s_addc_u32 s5, 0, 0
	s_xor_b64 s[6:7], s[4:5], 0
	v_cvt_f32_u32_e32 v2, s6
	v_cvt_f32_u32_e32 v3, s7
	s_sub_u32 s3, 0, s6
	s_subb_u32 s8, 0, s7
	v_fmamk_f32 v2, v3, 0x4f800000, v2
	v_rcp_f32_e32 v2, v2
	s_nop 0
	v_mul_f32_e32 v2, 0x5f7ffffc, v2
	v_mul_f32_e32 v3, 0x2f800000, v2
	v_trunc_f32_e32 v3, v3
	v_fmamk_f32 v2, v3, 0xcf800000, v2
	v_cvt_u32_f32_e32 v3, v3
	v_cvt_u32_f32_e32 v2, v2
	v_readfirstlane_b32 s12, v3
	v_readfirstlane_b32 s10, v2
	s_mul_i32 s11, s3, s12
	s_mul_hi_u32 s14, s3, s10
	s_mul_i32 s13, s8, s10
	s_add_i32 s11, s14, s11
	s_add_i32 s11, s11, s13
	s_mul_i32 s15, s3, s10
	s_mul_i32 s14, s10, s11
	s_mul_hi_u32 s16, s10, s15
	s_mul_hi_u32 s13, s10, s11
	s_add_u32 s14, s16, s14
	s_addc_u32 s13, 0, s13
	s_mul_hi_u32 s17, s12, s15
	s_mul_i32 s15, s12, s15
	s_add_u32 s14, s14, s15
	s_mul_hi_u32 s16, s12, s11
	s_addc_u32 s13, s13, s17
	s_addc_u32 s14, s16, 0
	s_mul_i32 s11, s12, s11
	s_add_u32 s11, s13, s11
	s_addc_u32 s13, 0, s14
	s_add_u32 s14, s10, s11
	s_cselect_b64 s[10:11], -1, 0
	s_cmp_lg_u64 s[10:11], 0
	s_addc_u32 s12, s12, s13
	s_mul_i32 s10, s3, s12
	s_mul_hi_u32 s11, s3, s14
	s_add_i32 s10, s11, s10
	s_mul_i32 s8, s8, s14
	s_add_i32 s10, s10, s8
	s_mul_i32 s3, s3, s14
	s_mul_hi_u32 s11, s12, s3
	s_mul_i32 s13, s12, s3
	s_mul_i32 s16, s14, s10
	s_mul_hi_u32 s3, s14, s3
	s_mul_hi_u32 s15, s14, s10
	s_add_u32 s3, s3, s16
	s_addc_u32 s15, 0, s15
	s_add_u32 s3, s3, s13
	s_mul_hi_u32 s8, s12, s10
	s_addc_u32 s3, s15, s11
	s_addc_u32 s8, s8, 0
	s_mul_i32 s10, s12, s10
	s_add_u32 s3, s3, s10
	s_addc_u32 s8, 0, s8
	s_add_u32 s3, s14, s3
	s_cselect_b64 s[10:11], -1, 0
	s_cmp_lg_u64 s[10:11], 0
	s_addc_u32 s12, s12, s8
	s_ashr_i32 s10, s9, 31
	s_add_u32 s8, s2, s10
	s_mov_b32 s11, s10
	s_addc_u32 s9, s9, s10
	s_xor_b64 s[8:9], s[8:9], s[10:11]
	s_mul_i32 s14, s8, s12
	s_mul_hi_u32 s15, s8, s3
	s_mul_hi_u32 s13, s8, s12
	s_add_u32 s14, s15, s14
	s_addc_u32 s13, 0, s13
	s_mul_hi_u32 s16, s9, s3
	s_mul_i32 s3, s9, s3
	s_add_u32 s3, s14, s3
	s_mul_hi_u32 s15, s9, s12
	s_addc_u32 s3, s13, s16
	s_addc_u32 s13, s15, 0
	s_mul_i32 s12, s9, s12
	s_add_u32 s3, s3, s12
	s_addc_u32 s16, 0, s13
	s_mul_i32 s12, s6, s16
	s_mul_hi_u32 s13, s6, s3
	s_add_i32 s12, s13, s12
	s_mul_i32 s13, s7, s3
	s_add_i32 s17, s12, s13
	s_sub_i32 s14, s9, s17
	s_mul_i32 s12, s6, s3
	s_sub_u32 s8, s8, s12
	s_cselect_b64 s[12:13], -1, 0
	s_cmp_lg_u64 s[12:13], 0
	s_subb_u32 s18, s14, s7
	s_sub_u32 s19, s8, s6
	s_cselect_b64 s[14:15], -1, 0
	s_cmp_lg_u64 s[14:15], 0
	s_subb_u32 s14, s18, 0
	s_cmp_ge_u32 s14, s7
	s_cselect_b32 s15, -1, 0
	s_cmp_ge_u32 s19, s6
	s_cselect_b32 s18, -1, 0
	s_cmp_eq_u32 s14, s7
	s_cselect_b32 s14, s18, s15
	s_add_u32 s15, s3, 1
	s_addc_u32 s18, s16, 0
	s_add_u32 s19, s3, 2
	s_addc_u32 s20, s16, 0
	s_cmp_lg_u32 s14, 0
	s_cselect_b32 s14, s19, s15
	s_cselect_b32 s15, s20, s18
	s_cmp_lg_u64 s[12:13], 0
	s_subb_u32 s9, s9, s17
	s_cmp_ge_u32 s9, s7
	s_cselect_b32 s12, -1, 0
	s_cmp_ge_u32 s8, s6
	s_cselect_b32 s6, -1, 0
	s_cmp_eq_u32 s9, s7
	s_cselect_b32 s6, s6, s12
	s_cmp_lg_u32 s6, 0
	s_cselect_b32 s7, s15, s16
	s_cselect_b32 s6, s14, s3
	s_xor_b64 s[8:9], s[10:11], 0
	s_xor_b64 s[6:7], s[6:7], s[8:9]
	s_sub_u32 s60, s6, s8
	s_load_dwordx2 s[44:45], s[0:1], 0x5c
	s_cbranch_execnz .LBB25_6
.LBB25_5:
	v_rcp_iflag_f32_e32 v1, v1
	s_sub_i32 s3, 0, s35
	v_mul_f32_e32 v1, 0x4f7ffffe, v1
	v_cvt_u32_f32_e32 v1, v1
	s_nop 0
	v_readfirstlane_b32 s4, v1
	s_mul_i32 s3, s3, s4
	s_mul_hi_u32 s3, s4, s3
	s_add_i32 s4, s4, s3
	s_mul_hi_u32 s3, s2, s4
	s_mul_i32 s5, s3, s35
	s_sub_i32 s2, s2, s5
	s_add_i32 s4, s3, 1
	s_sub_i32 s5, s2, s35
	s_cmp_ge_u32 s2, s35
	s_cselect_b32 s3, s4, s3
	s_cselect_b32 s2, s5, s2
	s_add_i32 s4, s3, 1
	s_cmp_ge_u32 s2, s35
	s_cselect_b32 s60, s4, s3
.LBB25_6:
	s_abs_i32 s94, s93
	v_cvt_f32_u32_e32 v1, s94
	s_load_dwordx16 s[16:31], s[0:1], 0x0
	s_load_dword s2, s[0:1], 0x40
	s_load_dword s3, s[0:1], 0x54
	s_load_dwordx2 s[4:5], s[0:1], 0x8c
	s_load_dwordx4 s[40:43], s[0:1], 0x98
	s_load_dwordx2 s[48:49], s[0:1], 0xa8
	s_load_dwordx2 s[12:13], s[0:1], 0xb8
	;; [unrolled: 1-line block ×3, first 2 shown]
	s_waitcnt lgkmcnt(0)
	s_mov_b32 s1, s5
	s_ashr_i32 s38, s4, 2
	v_rcp_iflag_f32_e32 v1, v1
	s_sub_i32 s4, 0, s94
	v_writelane_b32 v224, s0, 2
	s_ashr_i32 s57, s39, 3
	v_mul_f32_e32 v1, 0x4f7ffffe, v1
	v_cvt_u32_f32_e32 v1, v1
	v_writelane_b32 v224, s1, 3
	s_ashr_i32 s1, s93, 31
	v_writelane_b32 v224, s1, 4
	v_readfirstlane_b32 s52, v1
	s_mul_i32 s4, s4, s52
	s_mul_hi_u32 s4, s52, s4
	s_abs_i32 s1, s56
	s_add_i32 s52, s52, s4
	s_mul_hi_u32 s4, s1, s52
	s_mul_i32 s4, s4, s94
	s_sub_i32 s1, s1, s4
	s_ashr_i32 s39, s54, 3
	s_ashr_i32 s46, s13, 1
	;; [unrolled: 1-line block ×4, first 2 shown]
	s_sub_i32 s4, s1, s94
	s_cmp_ge_u32 s1, s94
	s_cselect_b32 s1, s4, s1
	s_sub_i32 s4, s1, s94
	s_cmp_ge_u32 s1, s94
	s_cselect_b32 s1, s4, s1
	s_xor_b32 s1, s1, s0
	s_sub_i32 s84, s1, s0
	s_sub_i32 s0, s60, s56
	s_add_i32 s4, s0, s84
	s_min_i32 s58, s93, s4
	s_cmp_gt_i32 s60, s56
	s_cselect_b64 s[10:11], -1, 0
	s_cmp_le_i32 s60, s56
	s_cselect_b64 s[0:1], -1, 0
	s_cmp_gt_i32 s93, s4
	v_cvt_f16_f32_e32 v91, s2
	s_cselect_b64 s[4:5], -1, 0
	s_or_b64 s[0:1], s[4:5], s[0:1]
	v_bfe_u32 v49, v0, 10, 10
	s_mov_b32 s63, 0
	s_and_b64 vcc, exec, s[0:1]
	v_bfe_u32 v79, v0, 10, 3
	v_lshlrev_b32_e32 v75, 3, v49
	v_lshlrev_b32_e32 v73, 4, v49
	v_lshrrev_b32_e32 v93, 10, v0
	v_add_u32_e32 v89, 4, v49
	v_add_u32_e32 v87, 8, v49
	;; [unrolled: 1-line block ×7, first 2 shown]
	v_mbcnt_lo_u32_b32 v77, -1, 0
	s_cbranch_vccz .LBB25_9
; %bb.7:
	s_andn2_b64 vcc, exec, s[10:11]
	s_cbranch_vccz .LBB25_404
.LBB25_8:
	s_endpgm
.LBB25_9:
	v_and_b32_e32 v2, 0x7f0, v75
	s_movk_i32 s2, 0x110
	v_and_b32_e32 v4, 15, v0
	v_lshrrev_b32_e32 v6, 1, v0
	v_and_b32_e32 v46, 0x3ff, v0
	v_mad_u32_u24 v3, v2, s2, 0
	v_mul_u32_u24_e32 v5, 0x110, v4
	v_and_b32_e32 v6, 0x78, v6
	s_cmp_eq_u64 s[24:25], 0
	v_add3_u32 v95, v3, v5, v6
	v_bfe_u32 v3, v0, 5, 5
	v_lshlrev_b32_e32 v5, 1, v46
	v_writelane_b32 v224, s35, 5
	s_cselect_b64 s[0:1], -1, 0
	v_lshl_add_u32 v97, v49, 1, v3
	v_and_b32_e32 v48, 62, v5
	v_writelane_b32 v224, s0, 6
	s_cmp_lg_u64 s[26:27], 0
	v_mul_u32_u24_e32 v3, 0x90, v97
	v_lshlrev_b32_e32 v5, 1, v48
	v_writelane_b32 v224, s1, 7
	s_cselect_b64 s[0:1], -1, 0
	v_add3_u32 v99, 0, v3, v5
	v_bfe_u32 v5, v0, 2, 8
	v_writelane_b32 v224, s0, 8
	v_and_b32_e32 v3, 16, v73
	v_and_b32_e32 v7, 60, v5
	v_and_or_b32 v2, v0, 8, v2
	v_writelane_b32 v224, s1, 9
	s_movk_i32 s0, 0x90
	v_lshrrev_b32_e32 v2, 3, v2
	v_add_u16_e32 v9, v7, v3
	v_add_u32_e32 v8, v7, v3
	v_mad_u32_u24 v2, v2, s0, 0
	v_lshrrev_b16_e32 v9, 1, v9
	v_lshl_add_u32 v111, v9, 2, v2
	v_lshl_add_u32 v2, v8, 1, v2
	v_and_b32_e32 v8, 8, v75
	v_or_b32_e32 v5, 3, v5
	s_movk_i32 s0, 0x220
	v_mul_u32_u24_e32 v5, 0x110, v5
	v_mad_u32_u24 v8, v8, s0, 0
	v_lshlrev_b32_e32 v9, 1, v4
	v_add3_u32 v153, v8, v5, v9
	v_bfe_u32 v5, v0, 10, 1
	v_cmp_eq_u32_e64 s[0:1], 0, v5
	v_and_b32_e32 v5, 0x400, v0
	v_mul_u32_u24_e32 v7, 0x110, v7
	v_cmp_ne_u32_e64 s[4:5], 0, v5
	v_bfe_u32 v5, v93, 1, 9
	v_add3_u32 v152, v8, v7, v9
	v_add_u32_e32 v7, 2, v5
	v_lshlrev_b32_e32 v8, 1, v7
	v_and_b32_e32 v9, 15, v7
	s_movk_i32 s10, 0x1e0
	v_and_or_b32 v8, v8, s10, v9
	v_add_u32_e32 v9, 4, v5
	v_lshlrev_b32_e32 v10, 1, v9
	v_and_b32_e32 v11, 15, v9
	v_and_or_b32 v10, v10, s10, v11
	v_add_u32_e32 v11, 6, v5
	v_lshlrev_b32_e32 v12, 1, v11
	v_and_b32_e32 v13, 15, v11
	;; [unrolled: 4-line block ×10, first 2 shown]
	v_writelane_b32 v224, s4, 10
	s_lshl_b32 s62, s33, 5
	v_and_or_b32 v28, v28, s10, v29
	v_add_u32_e32 v29, 26, v5
	s_ashr_i32 s47, s46, 31
	s_mov_b32 s42, s39
	s_ashr_i32 s39, s38, 31
	s_lshl_b32 s6, s38, 4
	s_ashr_i32 s35, s34, 31
	s_lshl_b32 s7, s34, 4
	v_writelane_b32 v224, s5, 11
	s_lshl_b64 s[4:5], s[62:63], 3
	v_lshlrev_b32_e32 v30, 1, v29
	v_and_b32_e32 v31, 15, v29
	s_add_u32 s8, s30, s4
	v_and_or_b32 v30, v30, s10, v31
	v_add_u32_e32 v31, 28, v5
	s_addc_u32 s9, s31, s5
	v_lshlrev_b32_e32 v32, 1, v31
	v_and_b32_e32 v33, 15, v31
	s_abs_i32 s59, s92
	v_and_or_b32 v32, v32, s10, v33
	v_cvt_f32_u32_e32 v33, s59
	v_writelane_b32 v224, s33, 12
	v_add_u32_e32 v34, 30, v5
	v_readlane_b32 s33, v224, 1
	v_rcp_iflag_f32_e32 v33, v33
	v_lshlrev_b32_e32 v36, 1, v34
	v_and_b32_e32 v37, 15, v34
	s_abs_i32 s96, s33
	v_mul_f32_e32 v33, 0x4f7ffffe, v33
	v_cvt_u32_f32_e32 v33, v33
	v_and_or_b32 v36, v36, s10, v37
	v_cvt_f32_u32_e32 v37, s96
	s_abs_i32 s95, s91
	v_readfirstlane_b32 s11, v33
	v_cvt_f32_u32_e32 v35, s95
	v_rcp_iflag_f32_e32 v33, v37
	v_add_u32_e32 v157, 64, v2
	v_add_u32_e32 v158, 0x44, v2
	v_add_u32_e32 v2, v73, v46
	v_mul_f32_e32 v33, 0x4f7ffffe, v33
	v_cvt_u32_f32_e32 v33, v33
	s_mov_b32 s4, s12
	v_mov_b32_e32 v51, 0
	v_mul_u32_u24_e32 v159, 0x110, v2
	v_readfirstlane_b32 s14, v33
	v_or_b32_e32 v33, v75, v46
	v_lshlrev_b32_e32 v50, 3, v33
	v_and_b32_e32 v2, 31, v0
	v_writelane_b32 v224, s4, 13
	v_lshl_add_u64 v[70:71], s[8:9], 0, v[50:51]
	v_lshlrev_b32_e32 v50, 2, v2
	v_add_u32_e32 v2, v73, v2
	v_rcp_iflag_f32_e32 v35, v35
	v_writelane_b32 v224, s5, 14
	v_mul_u32_u24_e32 v160, 0x110, v2
	v_cmp_gt_u32_e64 s[8:9], 32, v46
	v_or_b32_e32 v2, v73, v4
	v_mul_u32_u24_e32 v161, 0x110, v2
	v_writelane_b32 v224, s8, 15
	v_add_u32_e32 v2, 16, v5
	v_mul_u32_u24_e32 v156, 0x110, v3
	v_writelane_b32 v224, s9, 16
	s_movk_i32 s8, 0xe0
	v_bfe_u32 v3, v49, 1, 4
	v_lshlrev_b32_e32 v5, 1, v2
	v_and_or_b32 v5, v5, s10, v3
	v_and_or_b32 v3, v93, s8, v3
	s_ashr_i32 s8, s92, 31
	v_mul_f32_e32 v35, 0x4f7ffffe, v35
	s_abs_i32 s97, s12
	v_writelane_b32 v224, s8, 17
	s_sub_i32 s8, 0, s59
	v_cvt_u32_f32_e32 v35, v35
	v_cvt_f32_u32_e32 v38, s97
	s_mul_i32 s8, s8, s11
	s_mul_hi_u32 s8, s11, s8
	s_add_i32 s8, s11, s8
	v_writelane_b32 v224, s8, 18
	s_ashr_i32 s8, s91, 31
	v_readfirstlane_b32 s12, v35
	v_rcp_iflag_f32_e32 v35, v38
	v_writelane_b32 v224, s8, 19
	s_sub_i32 s8, 0, s95
	s_mul_i32 s8, s8, s12
	s_mul_hi_u32 s8, s12, s8
	s_add_i32 s8, s12, s8
	v_mul_f32_e32 v35, 0x4f7ffffe, v35
	v_writelane_b32 v224, s8, 20
	s_ashr_i32 s8, s33, 31
	v_cvt_u32_f32_e32 v35, v35
	v_writelane_b32 v224, s8, 21
	s_sub_i32 s8, 0, s96
	s_mul_i32 s8, s8, s14
	s_mul_hi_u32 s8, s14, s8
	s_add_i32 s8, s14, s8
	v_readfirstlane_b32 s15, v35
	v_writelane_b32 v224, s8, 22
	s_sub_i32 s8, 0, s97
	v_bfe_u32 v33, v0, 4, 6
	s_mul_i32 s8, s8, s15
	v_lshl_add_u32 v33, v49, 2, v33
	s_mul_hi_u32 s8, s15, s8
	v_mul_lo_u32 v52, s38, v33
	v_mul_lo_u32 v62, s34, v33
	s_add_i32 s8, s15, s8
	v_add_u32_e32 v56, s6, v52
	v_add_u32_e32 v64, s7, v62
	v_writelane_b32 v224, s8, 23
	s_mov_b32 s8, s46
	v_add_u32_e32 v58, s6, v56
	v_add_u32_e32 v66, s7, v64
	v_writelane_b32 v224, s8, 24
	v_mul_u32_u24_e32 v35, 0x110, v33
	v_lshlrev_b32_e32 v54, 4, v4
	v_add_u32_e32 v60, s6, v58
	v_add_u32_e32 v68, s7, v66
	v_writelane_b32 v224, s9, 25
	s_lshl_b64 s[8:9], s[46:47], 1
	s_mov_b32 s13, 0x10001
	v_ashrrev_i32_e32 v53, 31, v52
	v_add3_u32 v154, 0, v35, v54
	v_ashrrev_i32_e32 v57, 31, v56
	v_ashrrev_i32_e32 v59, 31, v58
	;; [unrolled: 1-line block ×3, first 2 shown]
	v_add_u32_e32 v155, 0, v6
	v_ashrrev_i32_e32 v63, 31, v62
	v_ashrrev_i32_e32 v65, 31, v64
	v_ashrrev_i32_e32 v67, 31, v66
	v_ashrrev_i32_e32 v69, 31, v68
	v_writelane_b32 v224, s8, 26
	v_and_b32_e32 v190, 7, v89
	v_and_b32_e32 v193, 7, v85
	;; [unrolled: 1-line block ×4, first 2 shown]
	v_cmp_gt_u32_e64 s[4:5], 4, v97
	v_cmp_gt_u32_e64 s[6:7], 16, v46
	v_mul_u32_u24_e32 v162, 0x110, v3
	v_mul_u32_u24_e32 v163, 0x110, v8
	v_mul_u32_u24_e32 v164, 0x110, v10
	v_mul_u32_u24_e32 v165, 0x110, v12
	v_lshrrev_b32_e32 v166, 3, v13
	v_mul_u32_u24_e32 v167, 0x110, v14
	v_mul_u32_u24_e32 v168, 0x110, v16
	v_mul_u32_u24_e32 v169, 0x110, v18
	v_mul_u32_u24_e32 v170, 0x110, v20
	v_lshrrev_b32_e32 v171, 3, v2
	;; [unrolled: 5-line block ×3, first 2 shown]
	v_mul_u32_u24_e32 v177, 0x110, v28
	v_mul_u32_u24_e32 v178, 0x110, v30
	;; [unrolled: 1-line block ×4, first 2 shown]
	v_writelane_b32 v224, s9, 27
	v_mov_b32_e32 v55, v51
	s_lshl_b64 s[70:71], s[34:35], 8
	s_lshl_b64 s[72:73], s[38:39], 8
	s_mov_b32 s47, 0x3f200000
	s_mov_b32 s33, 0x3fb8aa3b
	;; [unrolled: 1-line block ×4, first 2 shown]
	s_brev_b32 s89, -2
	s_mov_b32 s46, 0xc1a00000
	s_mov_b32 s64, 0x5040100
	v_mul_lo_u32 v181, v91, s13
	v_lshl_add_u32 v182, v46, 2, 0
	v_mad_u32_u24 v183, v4, s2, v155
	v_lshlrev_b32_e32 v72, 2, v4
	v_add_u32_e32 v184, 0x1100, v154
	v_add_u32_e32 v185, 0x2200, v154
	;; [unrolled: 1-line block ×3, first 2 shown]
	v_bfe_u32 v187, v93, 3, 7
	v_mul_u32_u24_e32 v188, 0x110, v49
	v_lshrrev_b32_e32 v189, 3, v89
	v_lshrrev_b32_e32 v191, 3, v87
	;; [unrolled: 1-line block ×7, first 2 shown]
	v_bfe_u32 v200, v93, 4, 6
	v_lshrrev_b32_e32 v201, 3, v7
	v_and_b32_e32 v74, 7, v7
	v_lshrrev_b32_e32 v202, 3, v9
	v_and_b32_e32 v76, 7, v9
	;; [unrolled: 2-line block ×12, first 2 shown]
	v_mov_b32_e32 v213, 0x3ca908c9
	v_mbcnt_hi_u32_b32 v214, -1, v77
	v_mov_b32_e32 v215, 0x7f800000
	v_and_b32_e32 v98, 7, v0
	v_mad_u64_u32 v[100:101], s[10:11], v79, s42, v[46:47]
	v_mad_u64_u32 v[102:103], s[10:11], v190, s42, v[46:47]
	;; [unrolled: 1-line block ×5, first 2 shown]
	v_bfe_u32 v110, v49, 1, 3
	v_lshl_add_u64 v[112:113], s[22:23], 0, v[50:51]
	v_lshl_add_u64 v[114:115], v[62:63], 2, s[20:21]
	;; [unrolled: 1-line block ×9, first 2 shown]
                                        ; implicit-def: $vgpr2
                                        ; implicit-def: $vgpr2
	;; [unrolled: 1-line block ×3, first 2 shown]
	v_writelane_b32 v224, s42, 28
	s_branch .LBB25_12
.LBB25_10:                              ;   in Loop: Header=BB25_12 Depth=1
	s_or_b64 exec, exec, s[76:77]
	s_barrier
.LBB25_11:                              ;   in Loop: Header=BB25_12 Depth=1
	s_add_i32 s2, s56, s93
	s_abs_i32 s11, s2
	s_mul_hi_u32 s12, s11, s52
	s_mul_i32 s12, s12, s94
	s_sub_i32 s11, s11, s12
	s_ashr_i32 s10, s2, 31
	s_sub_i32 s12, s11, s94
	s_cmp_ge_u32 s11, s94
	s_cselect_b32 s11, s12, s11
	s_sub_i32 s12, s11, s94
	s_cmp_ge_u32 s11, s94
	s_cselect_b32 s11, s12, s11
	s_xor_b32 s11, s11, s10
	s_sub_i32 s10, s10, s11
	s_add_i32 s56, s2, s10
	s_sub_i32 s2, s60, s56
	s_min_i32 s58, s93, s2
	s_cmp_gt_i32 s60, s56
	s_cselect_b64 s[10:11], -1, 0
	s_cmp_le_i32 s93, s2
	s_cselect_b64 s[12:13], -1, 0
	s_and_b64 s[12:13], s[12:13], s[10:11]
	s_mov_b32 s84, 0
	s_and_b64 vcc, exec, s[12:13]
	s_cbranch_vccz .LBB25_403
.LBB25_12:                              ; =>This Loop Header: Depth=1
                                        ;     Child Loop BB25_246 Depth 2
                                        ;     Child Loop BB25_50 Depth 2
	s_ashr_i32 s2, s56, 31
	v_readlane_b32 s10, v224, 17
	s_xor_b32 s2, s2, s10
	s_abs_i32 s10, s56
	v_readlane_b32 s11, v224, 18
	s_mul_hi_u32 s11, s10, s11
	s_mul_i32 s12, s11, s59
	s_sub_i32 s10, s10, s12
	s_add_i32 s12, s11, 1
	s_sub_i32 s13, s10, s59
	s_cmp_ge_u32 s10, s59
	s_cselect_b32 s11, s12, s11
	s_cselect_b32 s10, s13, s10
	s_add_i32 s12, s11, 1
	s_cmp_ge_u32 s10, s59
	s_cselect_b32 s10, s12, s11
	s_xor_b32 s10, s10, s2
	s_sub_i32 s10, s10, s2
	s_mul_i32 s2, s10, s92
	s_sub_i32 s2, s56, s2
	s_ashr_i32 s11, s2, 31
	v_readlane_b32 s12, v224, 19
	s_xor_b32 s11, s11, s12
	s_abs_i32 s12, s2
	v_readlane_b32 s13, v224, 20
	s_mul_hi_u32 s13, s12, s13
	s_mul_i32 s14, s13, s95
	s_sub_i32 s12, s12, s14
	s_add_i32 s14, s13, 1
	s_sub_i32 s15, s12, s95
	s_cmp_ge_u32 s12, s95
	s_cselect_b32 s13, s14, s13
	s_cselect_b32 s12, s15, s12
	s_add_i32 s14, s13, 1
	s_cmp_ge_u32 s12, s95
	s_cselect_b32 s12, s14, s13
	s_xor_b32 s12, s12, s11
	s_sub_i32 s11, s12, s11
	s_mul_i32 s12, s11, s91
	s_sub_i32 s12, s2, s12
	s_ashr_i32 s2, s12, 31
	v_readlane_b32 s13, v224, 21
	s_xor_b32 s2, s2, s13
	s_abs_i32 s13, s12
	v_readlane_b32 s14, v224, 22
	s_mul_hi_u32 s14, s13, s14
	s_mul_i32 s15, s14, s96
	s_sub_i32 s13, s13, s15
	s_add_i32 s15, s14, 1
	s_sub_i32 s42, s13, s96
	s_cmp_ge_u32 s13, s96
	s_cselect_b32 s14, s15, s14
	s_cselect_b32 s13, s42, s13
	s_add_i32 s15, s14, 1
	s_cmp_ge_u32 s13, s96
	s_cselect_b32 s13, s15, s14
	s_xor_b32 s13, s13, s2
	s_sub_i32 s2, s13, s2
	v_readlane_b32 s13, v224, 1
	s_mul_i32 s13, s2, s13
	s_sub_i32 s12, s12, s13
	s_ashr_i32 s13, s12, 31
	v_readlane_b32 s14, v224, 4
	s_abs_i32 s12, s12
	s_xor_b32 s13, s13, s14
	s_mul_hi_u32 s14, s12, s52
	s_mul_i32 s15, s14, s94
	s_sub_i32 s12, s12, s15
	s_add_i32 s15, s14, 1
	s_sub_i32 s42, s12, s94
	s_cmp_ge_u32 s12, s94
	s_cselect_b32 s14, s15, s14
	s_cselect_b32 s12, s42, s12
	s_add_i32 s15, s14, 1
	s_cmp_ge_u32 s12, s94
	s_cselect_b32 s12, s15, s14
	v_readlane_b32 s14, v224, 8
	s_xor_b32 s12, s12, s13
	v_readlane_b32 s15, v224, 9
	s_andn2_b64 vcc, exec, s[14:15]
	s_sub_i32 s13, s12, s13
	s_cbranch_vccnz .LBB25_14
; %bb.13:                               ;   in Loop: Header=BB25_12 Depth=1
	v_readlane_b32 s12, v224, 0
	s_mul_i32 s12, s10, s12
	s_add_i32 s14, s13, s12
	s_ashr_i32 s15, s14, 31
	s_lshl_b64 s[14:15], s[14:15], 2
	s_add_u32 s14, s26, s14
	s_addc_u32 s15, s27, s15
	global_load_dword v2, v51, s[14:15]
	s_waitcnt vmcnt(0)
	v_readfirstlane_b32 s12, v2
	s_ashr_i32 s14, s12, 31
	s_lshr_b32 s14, s14, 26
	s_add_i32 s12, s12, s14
	s_ashr_i32 s12, s12, 6
	s_min_i32 s58, s58, s12
.LBB25_14:                              ;   in Loop: Header=BB25_12 Depth=1
	s_mul_i32 s12, s11, s88
	s_lshl_b32 s65, s2, 3
	s_mul_i32 s2, s10, s55
	s_add_i32 s14, s65, s12
	s_ashr_i32 s12, s2, 31
	s_add_u32 s2, s16, s2
	s_mul_i32 s15, s14, s54
	s_addc_u32 s12, s17, s12
	s_ashr_i32 s42, s15, 31
	s_add_u32 s82, s2, s15
	s_addc_u32 s83, s12, s42
	s_ashr_i32 s12, s10, 31
	s_mul_hi_u32 s2, s40, s10
	s_mul_i32 s15, s40, s12
	s_add_i32 s2, s2, s15
	s_mul_i32 s15, s41, s10
	v_readlane_b32 s66, v224, 2
	s_add_i32 s68, s2, s15
	s_mul_i32 s69, s40, s10
	v_readlane_b32 s67, v224, 3
	s_add_u32 s15, s18, s69
	s_mul_i32 s61, s11, s67
	s_addc_u32 s42, s19, s68
	s_ashr_i32 s2, s61, 31
	s_add_u32 s98, s15, s61
	s_addc_u32 s99, s42, s2
	s_abs_i32 s15, s10
	v_readlane_b32 s42, v224, 23
	s_mul_hi_u32 s42, s15, s42
	s_mul_i32 s42, s42, s97
	s_sub_i32 s15, s15, s42
	s_sub_i32 s42, s15, s97
	s_cmp_ge_u32 s15, s97
	s_cselect_b32 s15, s42, s15
	s_sub_i32 s42, s15, s97
	s_cmp_ge_u32 s15, s97
	s_cselect_b32 s15, s42, s15
	s_xor_b32 s15, s15, s12
	s_sub_i32 s15, s15, s12
	s_ashr_i32 s42, s15, 31
	s_mul_i32 s42, s50, s42
	s_mul_hi_u32 s53, s50, s15
	s_add_i32 s42, s53, s42
	s_mul_i32 s53, s51, s15
	s_add_i32 s81, s42, s53
	s_mul_i32 s80, s50, s15
	s_mul_i32 s15, s36, s37
	s_add_u32 s78, s22, s80
	s_mul_i32 s15, s15, s10
	s_addc_u32 s79, s23, s81
	s_add_i32 s15, s14, s15
	s_lshl_b32 s62, s15, 6
	s_lshl_b64 s[66:67], s[62:63], 3
	s_add_u32 s74, s28, s66
	s_mul_hi_u32 s15, s48, s10
	s_mul_i32 s12, s48, s12
	s_addc_u32 s75, s29, s67
	s_add_i32 s12, s15, s12
	s_mul_i32 s15, s49, s10
	s_add_i32 s62, s12, s15
	s_mul_i32 s42, s48, s10
	s_add_u32 s10, s20, s42
	s_mul_i32 s53, s11, s43
	s_addc_u32 s15, s21, s62
	s_ashr_i32 s12, s53, 31
	s_add_u32 s66, s10, s53
	s_addc_u32 s67, s15, s12
	s_ashr_i32 s15, s14, 31
	s_lshl_b64 s[10:11], s[14:15], 2
	s_add_u32 s14, s24, s10
	s_addc_u32 s15, s25, s11
	v_readlane_b32 s10, v224, 6
	v_readlane_b32 s11, v224, 7
	s_and_b64 s[10:11], s[10:11], exec
	s_cselect_b32 s77, 0, s15
	s_cselect_b32 s76, 0, s14
	s_cmp_lg_u32 s84, 0
	v_or_b32_e32 v101, s65, v79
	s_cbranch_scc0 .LBB25_84
; %bb.15:                               ;   in Loop: Header=BB25_12 Depth=1
	s_lshl_b32 s90, s13, 2
	v_add_u32_e32 v2, s90, v187
	v_cmp_le_i32_e64 s[10:11], s36, v2
	v_cmp_le_i32_e64 s[14:15], s88, v101
	v_cmp_gt_i32_e32 vcc, s88, v101
	s_or_b64 s[10:11], s[10:11], s[14:15]
	s_and_saveexec_b64 s[14:15], s[10:11]
	s_xor_b64 s[10:11], exec, s[14:15]
; %bb.16:                               ;   in Loop: Header=BB25_12 Depth=1
	v_add_u32_e32 v2, v182, v188
	ds_write_b32 v2, v51
                                        ; implicit-def: $vgpr2
; %bb.17:                               ;   in Loop: Header=BB25_12 Depth=1
	s_andn2_saveexec_b64 s[10:11], s[10:11]
	s_cbranch_execz .LBB25_19
; %bb.18:                               ;   in Loop: Header=BB25_12 Depth=1
	v_mad_u64_u32 v[2:3], s[14:15], v2, s57, v[100:101]
	v_ashrrev_i32_e32 v3, 31, v2
	v_lshl_add_u64 v[2:3], v[2:3], 3, s[82:83]
	global_load_dwordx2 v[2:3], v[2:3], off
	s_waitcnt vmcnt(0)
	v_cvt_pk_f16_f32 v2, v2, v3
	v_pk_mul_f16 v2, v2, v181
	v_add_u32_e32 v3, v182, v188
	ds_write_b32 v3, v2
.LBB25_19:                              ;   in Loop: Header=BB25_12 Depth=1
	s_or_b64 exec, exec, s[10:11]
	v_add_u32_e32 v2, s90, v189
	v_or_b32_e32 v3, s65, v190
	v_cmp_le_i32_e64 s[10:11], s36, v2
	v_cmp_le_i32_e64 s[14:15], s88, v3
	s_or_b64 s[10:11], s[10:11], s[14:15]
	s_and_saveexec_b64 s[14:15], s[10:11]
	s_xor_b64 s[10:11], exec, s[14:15]
; %bb.20:                               ;   in Loop: Header=BB25_12 Depth=1
	v_add_u32_e32 v2, v182, v188
	ds_write_b32 v2, v51 offset:1088
                                        ; implicit-def: $vgpr2
; %bb.21:                               ;   in Loop: Header=BB25_12 Depth=1
	s_andn2_saveexec_b64 s[10:11], s[10:11]
	s_cbranch_execz .LBB25_23
; %bb.22:                               ;   in Loop: Header=BB25_12 Depth=1
	v_mad_u64_u32 v[2:3], s[14:15], v2, s57, v[102:103]
	v_ashrrev_i32_e32 v3, 31, v2
	v_lshl_add_u64 v[2:3], v[2:3], 3, s[82:83]
	global_load_dwordx2 v[2:3], v[2:3], off
	s_waitcnt vmcnt(0)
	v_cvt_pk_f16_f32 v2, v2, v3
	v_pk_mul_f16 v2, v2, v181
	v_add_u32_e32 v3, v182, v188
	ds_write_b32 v3, v2 offset:1088
.LBB25_23:                              ;   in Loop: Header=BB25_12 Depth=1
	s_or_b64 exec, exec, s[10:11]
	v_add_u32_e32 v2, s90, v191
	v_cmp_le_i32_e64 s[10:11], s36, v2
	s_xor_b64 s[14:15], vcc, -1
	s_or_b64 s[10:11], s[10:11], s[14:15]
	s_and_saveexec_b64 s[86:87], s[10:11]
	s_xor_b64 s[10:11], exec, s[86:87]
; %bb.24:                               ;   in Loop: Header=BB25_12 Depth=1
	v_add_u32_e32 v2, v182, v188
	ds_write_b32 v2, v51 offset:2176
                                        ; implicit-def: $vgpr2
; %bb.25:                               ;   in Loop: Header=BB25_12 Depth=1
	s_andn2_saveexec_b64 s[10:11], s[10:11]
	s_cbranch_execz .LBB25_27
; %bb.26:                               ;   in Loop: Header=BB25_12 Depth=1
	v_mad_u64_u32 v[2:3], s[86:87], v2, s57, v[100:101]
	v_ashrrev_i32_e32 v3, 31, v2
	v_lshl_add_u64 v[2:3], v[2:3], 3, s[82:83]
	global_load_dwordx2 v[2:3], v[2:3], off
	s_waitcnt vmcnt(0)
	v_cvt_pk_f16_f32 v2, v2, v3
	v_pk_mul_f16 v2, v2, v181
	v_add_u32_e32 v3, v182, v188
	ds_write_b32 v3, v2 offset:2176
.LBB25_27:                              ;   in Loop: Header=BB25_12 Depth=1
	s_or_b64 exec, exec, s[10:11]
	v_add_u32_e32 v2, s90, v192
	v_or_b32_e32 v3, s65, v193
	v_cmp_le_i32_e32 vcc, s36, v2
	v_cmp_le_i32_e64 s[10:11], s88, v3
	s_or_b64 s[10:11], vcc, s[10:11]
	s_and_saveexec_b64 s[86:87], s[10:11]
	s_xor_b64 s[10:11], exec, s[86:87]
; %bb.28:                               ;   in Loop: Header=BB25_12 Depth=1
	v_add_u32_e32 v2, v182, v188
	ds_write_b32 v2, v51 offset:3264
                                        ; implicit-def: $vgpr2
; %bb.29:                               ;   in Loop: Header=BB25_12 Depth=1
	s_andn2_saveexec_b64 s[10:11], s[10:11]
	s_cbranch_execz .LBB25_31
; %bb.30:                               ;   in Loop: Header=BB25_12 Depth=1
	v_mad_u64_u32 v[2:3], s[86:87], v2, s57, v[104:105]
	v_ashrrev_i32_e32 v3, 31, v2
	v_lshl_add_u64 v[2:3], v[2:3], 3, s[82:83]
	global_load_dwordx2 v[2:3], v[2:3], off
	s_waitcnt vmcnt(0)
	v_cvt_pk_f16_f32 v2, v2, v3
	v_pk_mul_f16 v2, v2, v181
	v_add_u32_e32 v3, v182, v188
	ds_write_b32 v3, v2 offset:3264
.LBB25_31:                              ;   in Loop: Header=BB25_12 Depth=1
	s_or_b64 exec, exec, s[10:11]
	v_add_u32_e32 v2, s90, v194
	v_cmp_le_i32_e32 vcc, s36, v2
	s_or_b64 s[10:11], vcc, s[14:15]
	s_and_saveexec_b64 s[86:87], s[10:11]
	s_xor_b64 s[10:11], exec, s[86:87]
; %bb.32:                               ;   in Loop: Header=BB25_12 Depth=1
	v_add_u32_e32 v2, v182, v188
	ds_write_b32 v2, v51 offset:4352
                                        ; implicit-def: $vgpr2
; %bb.33:                               ;   in Loop: Header=BB25_12 Depth=1
	s_andn2_saveexec_b64 s[10:11], s[10:11]
	s_cbranch_execz .LBB25_35
; %bb.34:                               ;   in Loop: Header=BB25_12 Depth=1
	v_mad_u64_u32 v[2:3], s[86:87], v2, s57, v[100:101]
	v_ashrrev_i32_e32 v3, 31, v2
	v_lshl_add_u64 v[2:3], v[2:3], 3, s[82:83]
	global_load_dwordx2 v[2:3], v[2:3], off
	s_waitcnt vmcnt(0)
	v_cvt_pk_f16_f32 v2, v2, v3
	v_pk_mul_f16 v2, v2, v181
	v_add_u32_e32 v3, v182, v188
	ds_write_b32 v3, v2 offset:4352
.LBB25_35:                              ;   in Loop: Header=BB25_12 Depth=1
	s_or_b64 exec, exec, s[10:11]
	v_add_u32_e32 v2, s90, v195
	v_or_b32_e32 v3, s65, v196
	v_cmp_le_i32_e32 vcc, s36, v2
	v_cmp_le_i32_e64 s[10:11], s88, v3
	s_or_b64 s[10:11], vcc, s[10:11]
	s_and_saveexec_b64 s[86:87], s[10:11]
	s_xor_b64 s[10:11], exec, s[86:87]
; %bb.36:                               ;   in Loop: Header=BB25_12 Depth=1
	v_add_u32_e32 v2, v182, v188
	ds_write_b32 v2, v51 offset:5440
                                        ; implicit-def: $vgpr2
; %bb.37:                               ;   in Loop: Header=BB25_12 Depth=1
	s_andn2_saveexec_b64 s[10:11], s[10:11]
	s_cbranch_execz .LBB25_39
; %bb.38:                               ;   in Loop: Header=BB25_12 Depth=1
	v_mad_u64_u32 v[2:3], s[86:87], v2, s57, v[106:107]
	v_ashrrev_i32_e32 v3, 31, v2
	v_lshl_add_u64 v[2:3], v[2:3], 3, s[82:83]
	global_load_dwordx2 v[2:3], v[2:3], off
	s_waitcnt vmcnt(0)
	v_cvt_pk_f16_f32 v2, v2, v3
	v_pk_mul_f16 v2, v2, v181
	v_add_u32_e32 v3, v182, v188
	ds_write_b32 v3, v2 offset:5440
.LBB25_39:                              ;   in Loop: Header=BB25_12 Depth=1
	s_or_b64 exec, exec, s[10:11]
	v_add_u32_e32 v2, s90, v197
	v_cmp_le_i32_e32 vcc, s36, v2
	s_or_b64 s[10:11], vcc, s[14:15]
	s_and_saveexec_b64 s[14:15], s[10:11]
	s_xor_b64 s[10:11], exec, s[14:15]
; %bb.40:                               ;   in Loop: Header=BB25_12 Depth=1
	v_add_u32_e32 v2, v182, v188
	ds_write_b32 v2, v51 offset:6528
                                        ; implicit-def: $vgpr2
; %bb.41:                               ;   in Loop: Header=BB25_12 Depth=1
	s_andn2_saveexec_b64 s[10:11], s[10:11]
	s_cbranch_execz .LBB25_43
; %bb.42:                               ;   in Loop: Header=BB25_12 Depth=1
	v_mad_u64_u32 v[2:3], s[14:15], v2, s57, v[100:101]
	v_ashrrev_i32_e32 v3, 31, v2
	v_lshl_add_u64 v[2:3], v[2:3], 3, s[82:83]
	global_load_dwordx2 v[2:3], v[2:3], off
	s_waitcnt vmcnt(0)
	v_cvt_pk_f16_f32 v2, v2, v3
	v_pk_mul_f16 v2, v2, v181
	v_add_u32_e32 v3, v182, v188
	ds_write_b32 v3, v2 offset:6528
.LBB25_43:                              ;   in Loop: Header=BB25_12 Depth=1
	s_or_b64 exec, exec, s[10:11]
	v_add_u32_e32 v2, s90, v198
	v_or_b32_e32 v3, s65, v199
	v_cmp_le_i32_e32 vcc, s36, v2
	v_cmp_le_i32_e64 s[10:11], s88, v3
	s_or_b64 s[10:11], vcc, s[10:11]
	s_and_saveexec_b64 s[14:15], s[10:11]
	s_xor_b64 s[10:11], exec, s[14:15]
; %bb.44:                               ;   in Loop: Header=BB25_12 Depth=1
	v_add_u32_e32 v2, v182, v188
	ds_write_b32 v2, v51 offset:7616
                                        ; implicit-def: $vgpr2
; %bb.45:                               ;   in Loop: Header=BB25_12 Depth=1
	s_andn2_saveexec_b64 s[10:11], s[10:11]
	s_cbranch_execz .LBB25_47
; %bb.46:                               ;   in Loop: Header=BB25_12 Depth=1
	v_mad_u64_u32 v[2:3], s[14:15], v2, s57, v[108:109]
	v_ashrrev_i32_e32 v3, 31, v2
	v_lshl_add_u64 v[2:3], v[2:3], 3, s[82:83]
	global_load_dwordx2 v[2:3], v[2:3], off
	s_waitcnt vmcnt(0)
	v_cvt_pk_f16_f32 v2, v2, v3
	v_pk_mul_f16 v2, v2, v181
	v_add_u32_e32 v3, v182, v188
	ds_write_b32 v3, v2 offset:7616
.LBB25_47:                              ;   in Loop: Header=BB25_12 Depth=1
	s_or_b64 exec, exec, s[10:11]
	s_waitcnt lgkmcnt(0)
	s_barrier
	ds_read2_b64 v[14:17], v95 offset1:4
	ds_read2_b64 v[10:13], v95 offset0:8 offset1:12
	ds_read2_b64 v[6:9], v95 offset0:16 offset1:20
	;; [unrolled: 1-line block ×3, first 2 shown]
	s_add_i32 s85, s58, -1
	s_cmp_ge_i32 s84, s85
	s_waitcnt lgkmcnt(0)
	s_barrier
	s_cbranch_scc1 .LBB25_85
; %bb.48:                               ;   in Loop: Header=BB25_12 Depth=1
	v_add_u32_e32 v18, s90, v97
	v_mul_hi_u32 v19, s44, v18
	v_add_u32_e32 v19, v18, v19
	v_lshrrev_b32_e32 v19, s45, v19
	v_mul_lo_u32 v19, v19, s36
	v_readlane_b32 s10, v224, 24
	v_sub_u32_e32 v18, v18, v19
	v_readlane_b32 s11, v224, 25
	v_mad_i64_i32 v[18:19], s[10:11], v18, s10, 0
	v_lshl_add_u64 v[18:19], v[18:19], 1, s[78:79]
	v_lshlrev_b32_e32 v50, 1, v48
	v_lshl_add_u64 v[130:131], v[18:19], 0, v[50:51]
	v_and_b32_e32 v18, 64, v214
	v_add_u32_e32 v18, 64, v18
	v_xor_b32_e32 v19, 32, v214
	v_cmp_lt_i32_e32 vcc, v19, v18
	s_lshl_b32 s10, s84, 6
	v_mov_b32_e32 v133, 0
	v_cndmask_b32_e32 v19, v214, v19, vcc
	v_lshlrev_b32_e32 v107, 2, v19
	v_xor_b32_e32 v19, 16, v214
	v_cmp_lt_i32_e32 vcc, v19, v18
	v_mov_b32_e32 v27, 0xfeffffff
	v_mov_b32_e32 v26, 0
	v_cndmask_b32_e32 v18, v214, v19, vcc
	v_lshlrev_b32_e32 v109, 2, v18
	v_mov_b32_e32 v132, 0
	v_mov_b32_e32 v43, 0
	;; [unrolled: 1-line block ×15, first 2 shown]
	s_ashr_i32 s11, s10, 31
	s_and_saveexec_b64 s[14:15], s[4:5]
	s_cbranch_execz .LBB25_50
.LBB25_49:                              ;   in Loop: Header=BB25_12 Depth=1
	v_lshl_add_u64 v[18:19], s[10:11], 1, v[130:131]
	global_load_dword v18, v[18:19], off
	s_waitcnt vmcnt(0)
	ds_write_b32 v99, v18 offset:17408
.LBB25_50:                              ;   Parent Loop BB25_12 Depth=1
                                        ; =>  This Inner Loop Header: Depth=2
	s_or_b64 exec, exec, s[14:15]
	s_mul_hi_i32 s15, s10, s38
	s_mul_i32 s14, s10, s38
	s_lshl_b64 s[14:15], s[14:15], 2
	s_add_u32 s14, s98, s14
	s_addc_u32 s15, s99, s15
	v_lshlrev_b32_e32 v50, 2, v72
	v_lshl_add_u64 v[20:21], v[56:57], 2, s[14:15]
	v_lshl_add_u64 v[18:19], v[52:53], 2, s[14:15]
	;; [unrolled: 1-line block ×8, first 2 shown]
	global_load_dwordx4 v[18:21], v[18:19], off
	v_add_u32_e32 v30, v183, v156
	s_waitcnt vmcnt(0)
	ds_write_b128 v154, v[18:21]
	global_load_dwordx4 v[18:21], v[22:23], off
	s_waitcnt vmcnt(0)
	ds_write_b128 v184, v[18:21]
	global_load_dwordx4 v[18:21], v[24:25], off
	;; [unrolled: 3-line block ×3, first 2 shown]
	s_waitcnt vmcnt(0)
	ds_write_b128 v186, v[18:21]
	s_waitcnt lgkmcnt(0)
	s_barrier
	ds_read2_b64 v[18:21], v30 offset1:4
	s_waitcnt lgkmcnt(0)
	v_mfma_f32_16x16x16_f16 v[22:25], v[18:19], v[14:15], 0
	v_mfma_f32_16x16x16_f16 v[18:21], v[20:21], v[16:17], v[22:25]
	s_nop 6
	ds_read2_b64 v[22:25], v30 offset0:8 offset1:12
	s_waitcnt lgkmcnt(0)
	v_mfma_f32_16x16x16_f16 v[18:21], v[22:23], v[10:11], v[18:21]
	v_mfma_f32_16x16x16_f16 v[18:21], v[24:25], v[12:13], v[18:21]
	ds_read2_b64 v[22:25], v30 offset0:16 offset1:20
	s_waitcnt lgkmcnt(0)
	v_mfma_f32_16x16x16_f16 v[18:21], v[22:23], v[6:7], v[18:21]
	v_mfma_f32_16x16x16_f16 v[18:21], v[24:25], v[8:9], v[18:21]
	ds_read2_b64 v[22:25], v30 offset0:24 offset1:28
	v_add_u32_e32 v30, 0x2000, v30
	s_waitcnt lgkmcnt(0)
	v_mfma_f32_16x16x16_f16 v[18:21], v[22:23], v[2:3], v[18:21]
	v_mfma_f32_16x16x16_f16 v[18:21], v[24:25], v[4:5], v[18:21]
	ds_read2_b64 v[22:25], v30 offset0:64 offset1:68
	s_waitcnt lgkmcnt(0)
	v_mfma_f32_16x16x16_f16 v[134:137], v[22:23], v[14:15], 0
	s_nop 4
	v_cmp_nlt_f32_e64 s[14:15], |v18|, s47
	v_mfma_f32_16x16x16_f16 v[22:25], v[24:25], v[16:17], v[134:137]
	s_nop 2
	ds_read2_b64 v[134:137], v30 offset0:72 offset1:76
	s_waitcnt lgkmcnt(0)
	v_mfma_f32_16x16x16_f16 v[22:25], v[134:135], v[10:11], v[22:25]
	v_mfma_f32_16x16x16_f16 v[22:25], v[136:137], v[12:13], v[22:25]
	ds_read2_b64 v[134:137], v30 offset0:80 offset1:84
	s_waitcnt lgkmcnt(0)
	v_mfma_f32_16x16x16_f16 v[22:25], v[134:135], v[6:7], v[22:25]
	v_mfma_f32_16x16x16_f16 v[22:25], v[136:137], v[8:9], v[22:25]
	ds_read2_b64 v[134:137], v30 offset0:88 offset1:92
	s_waitcnt lgkmcnt(0)
	s_barrier
	v_mfma_f32_16x16x16_f16 v[22:25], v[134:135], v[2:3], v[22:25]
                                        ; implicit-def: $vgpr30
	v_mfma_f32_16x16x16_f16 v[22:25], v[136:137], v[4:5], v[22:25]
	s_and_saveexec_b64 s[86:87], s[14:15]
	s_xor_b64 s[14:15], exec, s[86:87]
	s_cbranch_execz .LBB25_52
; %bb.51:                               ;   in Loop: Header=BB25_50 Depth=2
	v_add_f32_e64 v30, |v18|, |v18|
	v_mul_f32_e32 v41, 0x3fb8aa3b, v30
	v_rndne_f32_e32 v44, v41
	v_sub_f32_e32 v45, v41, v44
	v_fma_f32 v41, v30, s33, -v41
	v_fmac_f32_e32 v41, 0x32a5705f, v30
	v_add_f32_e32 v41, v45, v41
	v_cvt_i32_f32_e32 v44, v44
	v_exp_f32_e32 v41, v41
	v_cmp_ngt_f32_e32 vcc, s8, v30
	v_ldexp_f32 v41, v41, v44
	s_nop 0
	v_cndmask_b32_e32 v41, 0, v41, vcc
	v_cmp_nlt_f32_e32 vcc, s9, v30
	s_nop 1
	v_cndmask_b32_e32 v30, v215, v41, vcc
	v_add_f32_e32 v30, 1.0, v30
	v_rcp_f32_e32 v30, v30
	s_nop 0
	v_fma_f32 v30, v30, -2.0, 1.0
.LBB25_52:                              ;   in Loop: Header=BB25_50 Depth=2
	s_andn2_saveexec_b64 s[14:15], s[14:15]
; %bb.53:                               ;   in Loop: Header=BB25_50 Depth=2
	v_mul_f32_e32 v30, v18, v18
	v_fmamk_f32 v41, v30, 0xbbbac73d, v213
	v_fmaak_f32 v41, v30, v41, 0xbd5c1c4e
	v_fmaak_f32 v41, v30, v41, 0x3e088382
	;; [unrolled: 1-line block ×3, first 2 shown]
	v_mul_f32_e64 v41, |v18|, v41
	v_fma_f32 v30, v30, v41, |v18|
; %bb.54:                               ;   in Loop: Header=BB25_50 Depth=2
	s_or_b64 exec, exec, s[14:15]
	v_cmp_nlt_f32_e64 s[14:15], |v19|, s47
                                        ; implicit-def: $vgpr41
	s_and_saveexec_b64 s[86:87], s[14:15]
	s_xor_b64 s[14:15], exec, s[86:87]
	s_cbranch_execz .LBB25_56
; %bb.55:                               ;   in Loop: Header=BB25_50 Depth=2
	v_add_f32_e64 v41, |v19|, |v19|
	v_mul_f32_e32 v44, 0x3fb8aa3b, v41
	v_rndne_f32_e32 v45, v44
	v_sub_f32_e32 v103, v44, v45
	v_fma_f32 v44, v41, s33, -v44
	v_fmac_f32_e32 v44, 0x32a5705f, v41
	v_add_f32_e32 v44, v103, v44
	v_cvt_i32_f32_e32 v45, v45
	v_exp_f32_e32 v44, v44
	v_cmp_ngt_f32_e32 vcc, s8, v41
	v_ldexp_f32 v44, v44, v45
	s_nop 0
	v_cndmask_b32_e32 v44, 0, v44, vcc
	v_cmp_nlt_f32_e32 vcc, s9, v41
	s_nop 1
	v_cndmask_b32_e32 v41, v215, v44, vcc
	v_add_f32_e32 v41, 1.0, v41
	v_rcp_f32_e32 v41, v41
	s_nop 0
	v_fma_f32 v41, v41, -2.0, 1.0
.LBB25_56:                              ;   in Loop: Header=BB25_50 Depth=2
	s_andn2_saveexec_b64 s[14:15], s[14:15]
; %bb.57:                               ;   in Loop: Header=BB25_50 Depth=2
	v_mul_f32_e32 v41, v19, v19
	v_fmamk_f32 v44, v41, 0xbbbac73d, v213
	v_fmaak_f32 v44, v41, v44, 0xbd5c1c4e
	v_fmaak_f32 v44, v41, v44, 0x3e088382
	;; [unrolled: 1-line block ×3, first 2 shown]
	v_mul_f32_e64 v44, |v19|, v44
	v_fma_f32 v41, v41, v44, |v19|
; %bb.58:                               ;   in Loop: Header=BB25_50 Depth=2
	s_or_b64 exec, exec, s[14:15]
	v_cmp_nlt_f32_e64 s[14:15], |v20|, s47
                                        ; implicit-def: $vgpr44
	s_and_saveexec_b64 s[86:87], s[14:15]
	s_xor_b64 s[14:15], exec, s[86:87]
	s_cbranch_execz .LBB25_60
; %bb.59:                               ;   in Loop: Header=BB25_50 Depth=2
	v_add_f32_e64 v44, |v20|, |v20|
	v_mul_f32_e32 v45, 0x3fb8aa3b, v44
	v_rndne_f32_e32 v103, v45
	v_sub_f32_e32 v105, v45, v103
	v_fma_f32 v45, v44, s33, -v45
	v_fmac_f32_e32 v45, 0x32a5705f, v44
	v_add_f32_e32 v45, v105, v45
	v_cvt_i32_f32_e32 v103, v103
	v_exp_f32_e32 v45, v45
	v_cmp_ngt_f32_e32 vcc, s8, v44
	v_ldexp_f32 v45, v45, v103
	s_nop 0
	v_cndmask_b32_e32 v45, 0, v45, vcc
	v_cmp_nlt_f32_e32 vcc, s9, v44
	s_nop 1
	v_cndmask_b32_e32 v44, v215, v45, vcc
	v_add_f32_e32 v44, 1.0, v44
	v_rcp_f32_e32 v44, v44
	s_nop 0
	v_fma_f32 v44, v44, -2.0, 1.0
.LBB25_60:                              ;   in Loop: Header=BB25_50 Depth=2
	s_andn2_saveexec_b64 s[14:15], s[14:15]
; %bb.61:                               ;   in Loop: Header=BB25_50 Depth=2
	v_mul_f32_e32 v44, v20, v20
	v_fmamk_f32 v45, v44, 0xbbbac73d, v213
	v_fmaak_f32 v45, v44, v45, 0xbd5c1c4e
	v_fmaak_f32 v45, v44, v45, 0x3e088382
	;; [unrolled: 1-line block ×3, first 2 shown]
	v_mul_f32_e64 v45, |v20|, v45
	v_fma_f32 v44, v44, v45, |v20|
; %bb.62:                               ;   in Loop: Header=BB25_50 Depth=2
	s_or_b64 exec, exec, s[14:15]
	v_cmp_nlt_f32_e64 s[14:15], |v21|, s47
                                        ; implicit-def: $vgpr45
	s_and_saveexec_b64 s[86:87], s[14:15]
	s_xor_b64 s[14:15], exec, s[86:87]
	s_cbranch_execz .LBB25_64
; %bb.63:                               ;   in Loop: Header=BB25_50 Depth=2
	v_add_f32_e64 v45, |v21|, |v21|
	v_mul_f32_e32 v103, 0x3fb8aa3b, v45
	v_rndne_f32_e32 v105, v103
	v_sub_f32_e32 v134, v103, v105
	v_fma_f32 v103, v45, s33, -v103
	v_fmac_f32_e32 v103, 0x32a5705f, v45
	v_add_f32_e32 v103, v134, v103
	v_cvt_i32_f32_e32 v105, v105
	v_exp_f32_e32 v103, v103
	v_cmp_ngt_f32_e32 vcc, s8, v45
	v_ldexp_f32 v103, v103, v105
	s_nop 0
	v_cndmask_b32_e32 v103, 0, v103, vcc
	v_cmp_nlt_f32_e32 vcc, s9, v45
	s_nop 1
	v_cndmask_b32_e32 v45, v215, v103, vcc
	v_add_f32_e32 v45, 1.0, v45
	v_rcp_f32_e32 v45, v45
	s_nop 0
	v_fma_f32 v45, v45, -2.0, 1.0
.LBB25_64:                              ;   in Loop: Header=BB25_50 Depth=2
	s_andn2_saveexec_b64 s[14:15], s[14:15]
; %bb.65:                               ;   in Loop: Header=BB25_50 Depth=2
	v_mul_f32_e32 v45, v21, v21
	v_fmamk_f32 v103, v45, 0xbbbac73d, v213
	v_fmaak_f32 v103, v45, v103, 0xbd5c1c4e
	v_fmaak_f32 v103, v45, v103, 0x3e088382
	;; [unrolled: 1-line block ×3, first 2 shown]
	v_mul_f32_e64 v103, |v21|, v103
	v_fma_f32 v45, v45, v103, |v21|
; %bb.66:                               ;   in Loop: Header=BB25_50 Depth=2
	s_or_b64 exec, exec, s[14:15]
	v_cmp_nlt_f32_e64 s[14:15], |v22|, s47
                                        ; implicit-def: $vgpr103
	s_and_saveexec_b64 s[86:87], s[14:15]
	s_xor_b64 s[14:15], exec, s[86:87]
	s_cbranch_execz .LBB25_68
; %bb.67:                               ;   in Loop: Header=BB25_50 Depth=2
	v_add_f32_e64 v103, |v22|, |v22|
	v_mul_f32_e32 v105, 0x3fb8aa3b, v103
	v_rndne_f32_e32 v134, v105
	v_sub_f32_e32 v135, v105, v134
	v_fma_f32 v105, v103, s33, -v105
	v_fmac_f32_e32 v105, 0x32a5705f, v103
	v_add_f32_e32 v105, v135, v105
	v_cvt_i32_f32_e32 v134, v134
	v_exp_f32_e32 v105, v105
	v_cmp_ngt_f32_e32 vcc, s8, v103
	v_ldexp_f32 v105, v105, v134
	s_nop 0
	v_cndmask_b32_e32 v105, 0, v105, vcc
	v_cmp_nlt_f32_e32 vcc, s9, v103
	s_nop 1
	v_cndmask_b32_e32 v103, v215, v105, vcc
	v_add_f32_e32 v103, 1.0, v103
	v_rcp_f32_e32 v103, v103
	s_nop 0
	v_fma_f32 v103, v103, -2.0, 1.0
.LBB25_68:                              ;   in Loop: Header=BB25_50 Depth=2
	s_andn2_saveexec_b64 s[14:15], s[14:15]
; %bb.69:                               ;   in Loop: Header=BB25_50 Depth=2
	v_mul_f32_e32 v103, v22, v22
	v_fmamk_f32 v105, v103, 0xbbbac73d, v213
	v_fmaak_f32 v105, v103, v105, 0xbd5c1c4e
	v_fmaak_f32 v105, v103, v105, 0x3e088382
	;; [unrolled: 1-line block ×3, first 2 shown]
	v_mul_f32_e64 v105, |v22|, v105
	v_fma_f32 v103, v103, v105, |v22|
; %bb.70:                               ;   in Loop: Header=BB25_50 Depth=2
	s_or_b64 exec, exec, s[14:15]
	v_cmp_nlt_f32_e64 s[14:15], |v23|, s47
                                        ; implicit-def: $vgpr105
	s_and_saveexec_b64 s[86:87], s[14:15]
	s_xor_b64 s[14:15], exec, s[86:87]
	s_cbranch_execz .LBB25_72
; %bb.71:                               ;   in Loop: Header=BB25_50 Depth=2
	v_add_f32_e64 v105, |v23|, |v23|
	v_mul_f32_e32 v134, 0x3fb8aa3b, v105
	v_rndne_f32_e32 v135, v134
	v_sub_f32_e32 v136, v134, v135
	v_fma_f32 v134, v105, s33, -v134
	v_fmac_f32_e32 v134, 0x32a5705f, v105
	v_add_f32_e32 v134, v136, v134
	v_cvt_i32_f32_e32 v135, v135
	v_exp_f32_e32 v134, v134
	v_cmp_ngt_f32_e32 vcc, s8, v105
	v_ldexp_f32 v134, v134, v135
	s_nop 0
	v_cndmask_b32_e32 v134, 0, v134, vcc
	v_cmp_nlt_f32_e32 vcc, s9, v105
	s_nop 1
	v_cndmask_b32_e32 v105, v215, v134, vcc
	v_add_f32_e32 v105, 1.0, v105
	v_rcp_f32_e32 v105, v105
	s_nop 0
	v_fma_f32 v105, v105, -2.0, 1.0
.LBB25_72:                              ;   in Loop: Header=BB25_50 Depth=2
	s_andn2_saveexec_b64 s[14:15], s[14:15]
; %bb.73:                               ;   in Loop: Header=BB25_50 Depth=2
	v_mul_f32_e32 v105, v23, v23
	v_fmamk_f32 v134, v105, 0xbbbac73d, v213
	v_fmaak_f32 v134, v105, v134, 0xbd5c1c4e
	v_fmaak_f32 v134, v105, v134, 0x3e088382
	v_fmaak_f32 v134, v105, v134, 0xbeaaaa99
	v_mul_f32_e64 v134, |v23|, v134
	v_fma_f32 v105, v105, v134, |v23|
; %bb.74:                               ;   in Loop: Header=BB25_50 Depth=2
	s_or_b64 exec, exec, s[14:15]
	v_cmp_nlt_f32_e64 s[14:15], |v24|, s47
                                        ; implicit-def: $vgpr134
	s_and_saveexec_b64 s[86:87], s[14:15]
	s_xor_b64 s[14:15], exec, s[86:87]
	s_cbranch_execz .LBB25_76
; %bb.75:                               ;   in Loop: Header=BB25_50 Depth=2
	v_add_f32_e64 v134, |v24|, |v24|
	v_mul_f32_e32 v135, 0x3fb8aa3b, v134
	v_rndne_f32_e32 v136, v135
	v_sub_f32_e32 v137, v135, v136
	v_fma_f32 v135, v134, s33, -v135
	v_fmac_f32_e32 v135, 0x32a5705f, v134
	v_add_f32_e32 v135, v137, v135
	v_cvt_i32_f32_e32 v136, v136
	v_exp_f32_e32 v135, v135
	v_cmp_ngt_f32_e32 vcc, s8, v134
	v_ldexp_f32 v135, v135, v136
	s_nop 0
	v_cndmask_b32_e32 v135, 0, v135, vcc
	v_cmp_nlt_f32_e32 vcc, s9, v134
	s_nop 1
	v_cndmask_b32_e32 v134, v215, v135, vcc
	v_add_f32_e32 v134, 1.0, v134
	v_rcp_f32_e32 v134, v134
	s_nop 0
	v_fma_f32 v134, v134, -2.0, 1.0
.LBB25_76:                              ;   in Loop: Header=BB25_50 Depth=2
	s_andn2_saveexec_b64 s[14:15], s[14:15]
; %bb.77:                               ;   in Loop: Header=BB25_50 Depth=2
	v_mul_f32_e32 v134, v24, v24
	v_fmamk_f32 v135, v134, 0xbbbac73d, v213
	v_fmaak_f32 v135, v134, v135, 0xbd5c1c4e
	v_fmaak_f32 v135, v134, v135, 0x3e088382
	;; [unrolled: 1-line block ×3, first 2 shown]
	v_mul_f32_e64 v135, |v24|, v135
	v_fma_f32 v134, v134, v135, |v24|
; %bb.78:                               ;   in Loop: Header=BB25_50 Depth=2
	s_or_b64 exec, exec, s[14:15]
	v_cmp_nlt_f32_e64 s[14:15], |v25|, s47
                                        ; implicit-def: $vgpr135
	s_and_saveexec_b64 s[86:87], s[14:15]
	s_xor_b64 s[14:15], exec, s[86:87]
	s_cbranch_execz .LBB25_80
; %bb.79:                               ;   in Loop: Header=BB25_50 Depth=2
	v_add_f32_e64 v135, |v25|, |v25|
	v_mul_f32_e32 v136, 0x3fb8aa3b, v135
	v_rndne_f32_e32 v137, v136
	v_sub_f32_e32 v138, v136, v137
	v_fma_f32 v136, v135, s33, -v136
	v_fmac_f32_e32 v136, 0x32a5705f, v135
	v_add_f32_e32 v136, v138, v136
	v_cvt_i32_f32_e32 v137, v137
	v_exp_f32_e32 v136, v136
	v_cmp_ngt_f32_e32 vcc, s8, v135
	v_ldexp_f32 v136, v136, v137
	s_nop 0
	v_cndmask_b32_e32 v136, 0, v136, vcc
	v_cmp_nlt_f32_e32 vcc, s9, v135
	s_nop 1
	v_cndmask_b32_e32 v135, v215, v136, vcc
	v_add_f32_e32 v135, 1.0, v135
	v_rcp_f32_e32 v135, v135
	s_nop 0
	v_fma_f32 v135, v135, -2.0, 1.0
.LBB25_80:                              ;   in Loop: Header=BB25_50 Depth=2
	s_andn2_saveexec_b64 s[14:15], s[14:15]
; %bb.81:                               ;   in Loop: Header=BB25_50 Depth=2
	v_mul_f32_e32 v135, v25, v25
	v_fmamk_f32 v136, v135, 0xbbbac73d, v213
	v_fmaak_f32 v136, v135, v136, 0xbd5c1c4e
	v_fmaak_f32 v136, v135, v136, 0x3e088382
	;; [unrolled: 1-line block ×3, first 2 shown]
	v_mul_f32_e64 v136, |v25|, v136
	v_fma_f32 v135, v135, v136, |v25|
; %bb.82:                               ;   in Loop: Header=BB25_50 Depth=2
	s_or_b64 exec, exec, s[14:15]
	v_bfi_b32 v30, s89, v30, v18
	v_add_u32_e32 v18, 0x4400, v111
	v_bfi_b32 v41, s89, v41, v19
	ds_read2_b32 v[18:19], v18 offset1:1
	v_bfi_b32 v21, s89, v45, v21
	v_bfi_b32 v20, s89, v44, v20
	;; [unrolled: 1-line block ×4, first 2 shown]
	s_waitcnt lgkmcnt(0)
	v_fma_mix_f32 v20, s3, v20, v19 op_sel_hi:[0,0,1]
	v_fma_mix_f32 v19, s3, v21, v19 op_sel:[0,0,1] op_sel_hi:[0,0,1]
	ds_read_b32 v21, v157 offset:17408
	v_bfi_b32 v24, s89, v134, v24
	v_bfi_b32 v25, s89, v135, v25
	v_fma_mix_f32 v30, s3, v30, v18 op_sel_hi:[0,0,1]
	v_fma_mix_f32 v18, s3, v41, v18 op_sel:[0,0,1] op_sel_hi:[0,0,1]
	s_waitcnt lgkmcnt(0)
	v_fma_mix_f32 v44, s3, v22, v21 op_sel_hi:[0,0,1]
	ds_read_b32 v22, v158 offset:17408
	v_fma_mix_f32 v21, s3, v23, v21 op_sel:[0,0,1] op_sel_hi:[0,0,1]
	v_add_f32_e32 v23, 0x40051340, v18
	s_mul_hi_i32 s15, s10, s34
	s_mul_i32 s14, s10, s34
	s_waitcnt lgkmcnt(0)
	v_fma_mix_f32 v105, s3, v24, v22 op_sel_hi:[0,0,1]
	v_fma_mix_f32 v25, s3, v25, v22 op_sel:[0,0,1] op_sel_hi:[0,0,1]
	v_add_f32_e32 v22, 0x40051340, v30
	v_max3_f32 v22, v27, v22, v23
	v_add_f32_e32 v23, 0x40051340, v20
	v_add_f32_e32 v24, 0x40051340, v19
	v_max3_f32 v22, v22, v23, v24
	v_add_f32_e32 v23, 0x40051340, v44
	;; [unrolled: 3-line block ×3, first 2 shown]
	v_add_f32_e32 v24, 0x40051340, v25
	v_max3_f32 v22, v22, v23, v24
	ds_bpermute_b32 v23, v107, v22
	s_lshl_b64 s[14:15], s[14:15], 2
	s_add_u32 s14, s66, s14
	s_addc_u32 s15, s67, s15
	s_add_i32 s84, s84, 1
	s_waitcnt lgkmcnt(0)
	v_max_f32_e32 v23, v23, v23
	v_max_f32_e32 v22, v22, v23
	ds_bpermute_b32 v23, v109, v22
	s_add_i32 s10, s10, 64
	s_cmp_lt_i32 s84, s85
	s_waitcnt lgkmcnt(0)
	v_max_f32_e32 v23, v23, v23
	v_max_f32_e32 v103, v22, v23
	v_sub_f32_e32 v22, v30, v103
	v_mul_f32_e32 v23, 0x3fb8aa3b, v22
	v_fma_f32 v24, v22, s33, -v23
	v_rndne_f32_e32 v30, v23
	v_fmac_f32_e32 v24, 0x32a5705f, v22
	v_sub_f32_e32 v23, v23, v30
	v_add_f32_e32 v23, v23, v24
	v_exp_f32_e32 v23, v23
	v_cvt_i32_f32_e32 v24, v30
	v_cmp_ngt_f32_e32 vcc, s8, v22
	v_sub_f32_e32 v18, v18, v103
	v_sub_f32_e32 v20, v20, v103
	v_ldexp_f32 v23, v23, v24
	v_cndmask_b32_e32 v23, 0, v23, vcc
	v_cmp_nlt_f32_e32 vcc, s9, v22
	v_sub_f32_e32 v19, v19, v103
	s_nop 0
	v_cndmask_b32_e32 v22, v215, v23, vcc
	v_mul_f32_e32 v23, 0x3fb8aa3b, v18
	v_fma_f32 v24, v18, s33, -v23
	v_rndne_f32_e32 v30, v23
	v_fmac_f32_e32 v24, 0x32a5705f, v18
	v_sub_f32_e32 v23, v23, v30
	v_add_f32_e32 v23, v23, v24
	v_exp_f32_e32 v23, v23
	v_cvt_i32_f32_e32 v24, v30
	v_cmp_ngt_f32_e32 vcc, s8, v18
	v_ldexp_f32 v23, v23, v24
	v_mul_f32_e32 v24, 0x3fb8aa3b, v20
	v_fma_f32 v30, v20, s33, -v24
	v_rndne_f32_e32 v41, v24
	v_fmac_f32_e32 v30, 0x32a5705f, v20
	v_sub_f32_e32 v24, v24, v41
	v_add_f32_e32 v24, v24, v30
	v_exp_f32_e32 v24, v24
	v_cvt_i32_f32_e32 v30, v41
	v_cndmask_b32_e32 v23, 0, v23, vcc
	v_cmp_nlt_f32_e32 vcc, s9, v18
	v_ldexp_f32 v24, v24, v30
	s_nop 0
	v_cndmask_b32_e32 v23, v215, v23, vcc
	v_cmp_ngt_f32_e32 vcc, s8, v20
	v_add_f32_e32 v18, v22, v23
	s_nop 0
	v_cndmask_b32_e32 v24, 0, v24, vcc
	v_cmp_nlt_f32_e32 vcc, s9, v20
	v_mul_f32_e32 v20, 0x3fb8aa3b, v19
	v_fma_f32 v30, v19, s33, -v20
	v_rndne_f32_e32 v41, v20
	v_fmac_f32_e32 v30, 0x32a5705f, v19
	v_sub_f32_e32 v20, v20, v41
	v_add_f32_e32 v20, v20, v30
	v_exp_f32_e32 v20, v20
	v_cvt_i32_f32_e32 v30, v41
	v_cndmask_b32_e32 v24, v215, v24, vcc
	v_cmp_ngt_f32_e32 vcc, s8, v19
	v_add_f32_e32 v18, v24, v18
	v_ldexp_f32 v20, v20, v30
	v_cndmask_b32_e32 v20, 0, v20, vcc
	v_cmp_nlt_f32_e32 vcc, s9, v19
	v_sub_f32_e32 v19, v44, v103
	s_nop 0
	v_cndmask_b32_e32 v41, v215, v20, vcc
	v_mul_f32_e32 v20, 0x3fb8aa3b, v19
	v_fma_f32 v30, v19, s33, -v20
	v_rndne_f32_e32 v44, v20
	v_fmac_f32_e32 v30, 0x32a5705f, v19
	v_sub_f32_e32 v20, v20, v44
	v_add_f32_e32 v20, v20, v30
	v_exp_f32_e32 v20, v20
	v_cvt_i32_f32_e32 v30, v44
	v_cmp_ngt_f32_e32 vcc, s8, v19
	v_add_f32_e32 v18, v41, v18
	v_ldexp_f32 v20, v20, v30
	v_cndmask_b32_e32 v20, 0, v20, vcc
	v_cmp_nlt_f32_e32 vcc, s9, v19
	v_sub_f32_e32 v19, v21, v103
	s_nop 0
	v_cndmask_b32_e32 v44, v215, v20, vcc
	v_mul_f32_e32 v20, 0x3fb8aa3b, v19
	v_fma_f32 v21, v19, s33, -v20
	v_rndne_f32_e32 v30, v20
	v_fmac_f32_e32 v21, 0x32a5705f, v19
	v_sub_f32_e32 v20, v20, v30
	v_add_f32_e32 v20, v20, v21
	v_exp_f32_e32 v20, v20
	v_cvt_i32_f32_e32 v21, v30
	;; [unrolled: 16-line block ×4, first 2 shown]
	v_cmp_ngt_f32_e32 vcc, s8, v19
	v_add_f32_e32 v18, v138, v18
	v_ldexp_f32 v20, v20, v21
	v_cndmask_b32_e32 v20, 0, v20, vcc
	v_cmp_nlt_f32_e32 vcc, s9, v19
	s_nop 1
	v_cndmask_b32_e32 v139, v215, v20, vcc
	v_add_f32_e32 v105, v139, v18
	v_sub_f32_e32 v18, v27, v103
	v_mul_f32_e32 v19, 0x3fb8aa3b, v18
	v_fma_f32 v20, v18, s33, -v19
	v_rndne_f32_e32 v21, v19
	v_fmac_f32_e32 v20, 0x32a5705f, v18
	v_sub_f32_e32 v19, v19, v21
	v_add_f32_e32 v19, v19, v20
	v_exp_f32_e32 v19, v19
	v_cvt_i32_f32_e32 v20, v21
	v_cmp_ngt_f32_e32 vcc, s8, v18
	v_ldexp_f32 v19, v19, v20
	s_nop 0
	v_cndmask_b32_e32 v19, 0, v19, vcc
	v_cmp_nlt_f32_e32 vcc, s9, v18
	v_lshl_add_u64 v[20:21], v[64:65], 2, s[14:15]
	s_nop 0
	v_cndmask_b32_e32 v19, v215, v19, vcc
	v_cmp_le_f32_e32 vcc, s46, v18
	s_nop 1
	v_cndmask_b32_e32 v18, 0, v19, vcc
	v_fmac_f32_e32 v105, v26, v18
	v_cvt_f16_f32_e32 v18, v18
	v_mul_u32_u24_e32 v18, 0x10001, v18
	v_pk_mul_f16 v40, v40, v18
	v_pk_mul_f16 v37, v37, v18
	;; [unrolled: 1-line block ×16, first 2 shown]
	v_lshl_add_u64 v[18:19], v[62:63], 2, s[14:15]
	v_lshl_add_u64 v[28:29], v[20:21], 0, v[50:51]
	;; [unrolled: 1-line block ×7, first 2 shown]
	global_load_dwordx4 v[18:21], v[18:19], off
	v_cvt_f32_f16_e32 v140, v26
	v_cvt_f32_f16_sdwa v141, v26 dst_sel:DWORD dst_unused:UNUSED_PAD src0_sel:WORD_1
	s_waitcnt vmcnt(0)
	ds_write_b128 v154, v[18:21]
	global_load_dwordx4 v[18:21], v[28:29], off
	s_waitcnt vmcnt(0)
	ds_write_b128 v184, v[18:21]
	global_load_dwordx4 v[18:21], v[132:133], off
	v_cvt_pk_f16_f32 v133, v138, v139
	v_cvt_pk_f16_f32 v132, v44, v45
	v_cvt_f32_f16_e32 v138, v27
	v_cvt_f32_f16_sdwa v139, v27 dst_sel:DWORD dst_unused:UNUSED_PAD src0_sel:WORD_1
	s_waitcnt vmcnt(0)
	ds_write_b128 v185, v[18:21]
	global_load_dwordx4 v[18:21], v[134:135], off
	v_cvt_pk_f16_f32 v135, v24, v41
	v_cvt_pk_f16_f32 v134, v22, v23
	s_waitcnt vmcnt(0)
	ds_write_b128 v186, v[18:21]
	s_waitcnt lgkmcnt(0)
	s_barrier
	ds_read_u16 v28, v152 offset:272
	ds_read_u16 v29, v152 offset:544
	ds_read_u16 v31, v153
	ds_read_u16 v36, v153 offset:32
	v_cvt_f32_f16_e32 v20, v37
	v_cvt_f32_f16_sdwa v21, v37 dst_sel:DWORD dst_unused:UNUSED_PAD src0_sel:WORD_1
	v_cvt_f32_f16_e32 v18, v40
	s_waitcnt lgkmcnt(1)
	v_perm_b32 v29, v31, v29, s64
	ds_read_u16 v31, v152
	ds_read_u16 v37, v152 offset:32
	v_cvt_f32_f16_sdwa v19, v40 dst_sel:DWORD dst_unused:UNUSED_PAD src0_sel:WORD_1
	s_waitcnt lgkmcnt(1)
	v_perm_b32 v28, v28, v31, s64
	s_nop 1
	v_mfma_f32_16x16x16_f16 v[18:21], v[28:29], v[134:135], v[18:21]
	ds_read_u16 v22, v152 offset:8704
	ds_read_u16 v24, v152 offset:8976
	;; [unrolled: 1-line block ×4, first 2 shown]
	s_nop 3
	v_cvt_f16_f32_e32 v18, v18
	v_cvt_f16_f32_e32 v19, v19
	;; [unrolled: 1-line block ×4, first 2 shown]
	s_waitcnt lgkmcnt(0)
	v_perm_b32 v23, v28, v23, s64
	ds_read_u16 v28, v152 offset:304
	ds_read_u16 v29, v152 offset:576
	v_perm_b32 v22, v24, v22, s64
	v_cvt_f32_f16_e32 v18, v18
	v_cvt_f32_f16_e32 v19, v19
	;; [unrolled: 1-line block ×4, first 2 shown]
	s_waitcnt lgkmcnt(0)
	v_perm_b32 v29, v36, v29, s64
	v_perm_b32 v28, v28, v37, s64
	v_mfma_f32_16x16x16_f16 v[18:21], v[22:23], v[132:133], v[18:21]
	v_cvt_f32_f16_e32 v22, v33
	v_cvt_f32_f16_sdwa v23, v33 dst_sel:DWORD dst_unused:UNUSED_PAD src0_sel:WORD_1
	v_cvt_f32_f16_e32 v24, v25
	v_cvt_f32_f16_sdwa v25, v25 dst_sel:DWORD dst_unused:UNUSED_PAD src0_sel:WORD_1
	s_nop 1
	v_mfma_f32_16x16x16_f16 v[22:25], v[28:29], v[134:135], v[22:25]
	ds_read_u16 v28, v152 offset:8736
	ds_read_u16 v31, v152 offset:9008
	;; [unrolled: 1-line block ×4, first 2 shown]
	s_nop 3
	v_cvt_f16_f32_e32 v22, v22
	v_cvt_f16_f32_e32 v23, v23
	v_cvt_f16_f32_e32 v24, v24
	v_cvt_f16_f32_e32 v25, v25
	s_waitcnt lgkmcnt(0)
	v_perm_b32 v29, v33, v29, s64
	v_perm_b32 v28, v31, v28, s64
	v_cvt_f32_f16_e32 v22, v22
	v_cvt_f32_f16_e32 v23, v23
	;; [unrolled: 1-line block ×4, first 2 shown]
	s_nop 1
	v_mfma_f32_16x16x16_f16 v[22:25], v[28:29], v[132:133], v[22:25]
	ds_read_u16 v28, v152 offset:64
	ds_read_u16 v29, v152 offset:336
	;; [unrolled: 1-line block ×4, first 2 shown]
	s_waitcnt lgkmcnt(2)
	v_perm_b32 v26, v29, v28, s64
	s_waitcnt lgkmcnt(0)
	v_perm_b32 v27, v33, v31, s64
	ds_read_u16 v31, v152 offset:8768
	ds_read_u16 v33, v152 offset:9040
	;; [unrolled: 1-line block ×4, first 2 shown]
	v_mfma_f32_16x16x16_f16 v[26:29], v[26:27], v[134:135], v[138:141]
	s_waitcnt lgkmcnt(0)
	v_perm_b32 v37, v37, v36, s64
	v_perm_b32 v36, v33, v31, s64
	v_cvt_f32_f16_e32 v140, v30
	s_nop 3
	v_cvt_f16_f32_e32 v26, v26
	v_cvt_f16_f32_e32 v27, v27
	;; [unrolled: 1-line block ×4, first 2 shown]
	v_cvt_f32_f16_e32 v26, v26
	v_cvt_f32_f16_e32 v27, v27
	;; [unrolled: 1-line block ×4, first 2 shown]
	v_cvt_f32_f16_sdwa v141, v30 dst_sel:DWORD dst_unused:UNUSED_PAD src0_sel:WORD_1
	v_cvt_f32_f16_e32 v138, v32
	v_mfma_f32_16x16x16_f16 v[26:29], v[36:37], v[132:133], v[26:29]
	ds_read_u16 v33, v152 offset:96
	ds_read_u16 v36, v152 offset:368
	;; [unrolled: 1-line block ×4, first 2 shown]
	v_cvt_f32_f16_sdwa v139, v32 dst_sel:DWORD dst_unused:UNUSED_PAD src0_sel:WORD_1
	s_waitcnt lgkmcnt(2)
	v_perm_b32 v30, v36, v33, s64
	s_nop 0
	v_cvt_pk_f16_f32 v28, v28, v29
	s_waitcnt lgkmcnt(0)
	v_perm_b32 v31, v37, v31, s64
	ds_read_u16 v36, v152 offset:8800
	ds_read_u16 v40, v152 offset:9072
	;; [unrolled: 1-line block ×4, first 2 shown]
	v_mfma_f32_16x16x16_f16 v[30:33], v[30:31], v[134:135], v[138:141]
	s_waitcnt lgkmcnt(0)
	v_perm_b32 v37, v41, v37, s64
	v_perm_b32 v36, v40, v36, s64
	v_cvt_f32_f16_e32 v138, v35
	s_nop 3
	v_cvt_f16_f32_e32 v30, v30
	v_cvt_f16_f32_e32 v31, v31
	;; [unrolled: 1-line block ×4, first 2 shown]
	v_cvt_f32_f16_e32 v30, v30
	v_cvt_f32_f16_e32 v31, v31
	;; [unrolled: 1-line block ×4, first 2 shown]
	v_cvt_f32_f16_sdwa v139, v35 dst_sel:DWORD dst_unused:UNUSED_PAD src0_sel:WORD_1
	v_cvt_f32_f16_e32 v140, v34
	v_mfma_f32_16x16x16_f16 v[30:33], v[36:37], v[132:133], v[30:33]
	ds_read_u16 v36, v152 offset:128
	ds_read_u16 v37, v152 offset:400
	ds_read_u16 v40, v152 offset:672
	ds_read_u16 v41, v153 offset:128
	v_cvt_f32_f16_sdwa v141, v34 dst_sel:DWORD dst_unused:UNUSED_PAD src0_sel:WORD_1
	v_cvt_pk_f16_f32 v29, v24, v25
	s_waitcnt lgkmcnt(2)
	v_perm_b32 v34, v37, v36, s64
	s_waitcnt lgkmcnt(0)
	v_perm_b32 v35, v41, v40, s64
	ds_read_u16 v40, v152 offset:8832
	ds_read_u16 v44, v152 offset:9104
	;; [unrolled: 1-line block ×4, first 2 shown]
	v_mfma_f32_16x16x16_f16 v[34:37], v[34:35], v[134:135], v[138:141]
	s_waitcnt lgkmcnt(0)
	v_perm_b32 v41, v45, v41, s64
	v_perm_b32 v40, v44, v40, s64
	v_cvt_f32_f16_e32 v138, v39
	s_nop 3
	v_cvt_f16_f32_e32 v34, v34
	v_cvt_f16_f32_e32 v35, v35
	;; [unrolled: 1-line block ×4, first 2 shown]
	v_cvt_f32_f16_e32 v34, v34
	v_cvt_f32_f16_e32 v35, v35
	;; [unrolled: 1-line block ×4, first 2 shown]
	v_cvt_f32_f16_sdwa v139, v39 dst_sel:DWORD dst_unused:UNUSED_PAD src0_sel:WORD_1
	v_cvt_f32_f16_e32 v140, v38
	v_mfma_f32_16x16x16_f16 v[34:37], v[40:41], v[132:133], v[34:37]
	ds_read_u16 v40, v152 offset:160
	ds_read_u16 v41, v152 offset:432
	;; [unrolled: 1-line block ×4, first 2 shown]
	v_cvt_f32_f16_sdwa v141, v38 dst_sel:DWORD dst_unused:UNUSED_PAD src0_sel:WORD_1
	s_waitcnt lgkmcnt(2)
	v_perm_b32 v38, v41, v40, s64
	s_nop 0
	v_cvt_pk_f16_f32 v35, v34, v35
	s_waitcnt lgkmcnt(0)
	v_perm_b32 v39, v45, v44, s64
	v_cvt_pk_f16_f32 v34, v36, v37
	v_cvt_pk_f16_f32 v36, v30, v31
	v_mfma_f32_16x16x16_f16 v[38:41], v[38:39], v[134:135], v[138:141]
	ds_read_u16 v44, v152 offset:8864
	ds_read_u16 v50, v152 offset:9136
	;; [unrolled: 1-line block ×4, first 2 shown]
	v_cvt_f32_f16_sdwa v139, v43 dst_sel:DWORD dst_unused:UNUSED_PAD src0_sel:WORD_1
	v_cvt_f32_f16_e32 v140, v42
	s_nop 1
	v_cvt_f16_f32_e32 v38, v38
	v_cvt_f16_f32_e32 v39, v39
	v_cvt_f16_f32_e32 v40, v40
	v_cvt_f16_f32_e32 v41, v41
	s_waitcnt lgkmcnt(0)
	v_perm_b32 v45, v138, v45, s64
	v_perm_b32 v44, v50, v44, s64
	v_cvt_f32_f16_e32 v38, v38
	v_cvt_f32_f16_e32 v39, v39
	;; [unrolled: 1-line block ×5, first 2 shown]
	v_cvt_f32_f16_sdwa v141, v42 dst_sel:DWORD dst_unused:UNUSED_PAD src0_sel:WORD_1
	v_mfma_f32_16x16x16_f16 v[38:41], v[44:45], v[132:133], v[38:41]
	ds_read_u16 v44, v152 offset:192
	ds_read_u16 v45, v152 offset:464
	;; [unrolled: 1-line block ×4, first 2 shown]
	v_cvt_pk_f16_f32 v31, v32, v33
	v_cvt_pk_f16_f32 v32, v26, v27
	s_waitcnt lgkmcnt(2)
	v_perm_b32 v42, v45, v44, s64
	v_cvt_pk_f16_f32 v39, v38, v39
	s_waitcnt lgkmcnt(0)
	v_perm_b32 v43, v142, v50, s64
	v_cvt_pk_f16_f32 v38, v40, v41
	v_cvt_pk_f16_f32 v33, v22, v23
	v_mfma_f32_16x16x16_f16 v[42:45], v[42:43], v[134:135], v[138:141]
	ds_read_u16 v50, v152 offset:8896
	s_nop 1
	ds_read_u16 v138, v152 offset:9168
	ds_read_u16 v139, v152 offset:9440
	;; [unrolled: 1-line block ×3, first 2 shown]
	v_cvt_f32_f16_sdwa v141, v136 dst_sel:DWORD dst_unused:UNUSED_PAD src0_sel:WORD_1
	v_cvt_pk_f16_f32 v40, v18, v19
	v_cvt_f16_f32_e32 v42, v42
	v_cvt_f16_f32_e32 v43, v43
	;; [unrolled: 1-line block ×4, first 2 shown]
	s_waitcnt lgkmcnt(0)
	v_perm_b32 v139, v140, v139, s64
	v_perm_b32 v138, v138, v50, s64
	ds_read_u16 v50, v152 offset:224
	ds_read_u16 v142, v152 offset:496
	;; [unrolled: 1-line block ×4, first 2 shown]
	v_cvt_f32_f16_e32 v42, v42
	v_cvt_f32_f16_e32 v43, v43
	;; [unrolled: 1-line block ×5, first 2 shown]
	s_waitcnt lgkmcnt(2)
	v_perm_b32 v136, v142, v50, s64
	v_mfma_f32_16x16x16_f16 v[42:45], v[138:139], v[132:133], v[42:45]
	v_cvt_f32_f16_e32 v138, v137
	v_cvt_f32_f16_sdwa v139, v137 dst_sel:DWORD dst_unused:UNUSED_PAD src0_sel:WORD_1
	s_waitcnt lgkmcnt(0)
	v_perm_b32 v137, v144, v143, s64
	v_cvt_pk_f16_f32 v37, v20, v21
	s_nop 2
	v_cvt_pk_f16_f32 v43, v42, v43
	v_mfma_f32_16x16x16_f16 v[136:139], v[136:137], v[134:135], v[138:141]
	v_cvt_pk_f16_f32 v42, v44, v45
	s_nop 6
	v_cvt_f16_f32_e32 v135, v136
	v_cvt_f16_f32_e32 v136, v137
	;; [unrolled: 1-line block ×4, first 2 shown]
	ds_read_u16 v50, v152 offset:8928
	ds_read_u16 v134, v152 offset:9200
	;; [unrolled: 1-line block ×4, first 2 shown]
	v_cvt_f32_f16_e32 v140, v135
	v_cvt_f32_f16_e32 v141, v136
	s_waitcnt lgkmcnt(2)
	v_perm_b32 v134, v134, v50, s64
	v_cvt_f32_f16_e32 v142, v137
	s_waitcnt lgkmcnt(0)
	v_perm_b32 v135, v144, v139, s64
	v_cvt_f32_f16_e32 v143, v138
	s_barrier
	s_nop 0
	v_mfma_f32_16x16x16_f16 v[132:135], v[134:135], v[132:133], v[140:143]
	s_nop 7
	v_cvt_pk_f16_f32 v133, v132, v133
	v_cvt_pk_f16_f32 v132, v134, v135
	s_cbranch_scc0 .LBB25_86
; %bb.83:                               ;   in Loop: Header=BB25_50 Depth=2
	v_mov_b32_e32 v26, v105
	v_mov_b32_e32 v27, v103
	s_ashr_i32 s11, s10, 31
	s_and_saveexec_b64 s[14:15], s[4:5]
	s_cbranch_execnz .LBB25_49
	s_branch .LBB25_50
.LBB25_84:                              ;   in Loop: Header=BB25_12 Depth=1
	s_cbranch_execz .LBB25_11
	s_branch .LBB25_211
.LBB25_85:                              ;   in Loop: Header=BB25_12 Depth=1
	v_mov_b32_e32 v103, 0xfeffffff
	v_mov_b32_e32 v105, 0
	;; [unrolled: 1-line block ×18, first 2 shown]
.LBB25_86:                              ;   in Loop: Header=BB25_12 Depth=1
	s_lshl_b32 s10, s84, 6
	s_ashr_i32 s11, s10, 31
	s_and_saveexec_b64 s[14:15], s[4:5]
	s_cbranch_execz .LBB25_88
; %bb.87:                               ;   in Loop: Header=BB25_12 Depth=1
	v_or_b32_e32 v18, s90, v97
	v_mul_hi_u32 v19, s44, v18
	v_add_u32_e32 v19, v18, v19
	v_lshrrev_b32_e32 v19, s45, v19
	s_lshl_b64 s[84:85], s[10:11], 1
	v_mul_lo_u32 v19, v19, s36
	v_readlane_b32 s86, v224, 24
	s_add_u32 s84, s78, s84
	v_sub_u32_e32 v18, v18, v19
	v_readlane_b32 s87, v224, 25
	s_addc_u32 s85, s79, s85
	v_mad_i64_i32 v[18:19], s[86:87], v18, s86, 0
	v_lshl_add_u64 v[18:19], v[18:19], 1, s[84:85]
	v_lshlrev_b32_e32 v50, 1, v48
	v_lshl_add_u64 v[18:19], v[18:19], 0, v[50:51]
	global_load_dword v18, v[18:19], off
	s_waitcnt vmcnt(0)
	ds_write_b32 v99, v18 offset:17408
.LBB25_88:                              ;   in Loop: Header=BB25_12 Depth=1
	s_or_b64 exec, exec, s[14:15]
	s_mul_hi_i32 s15, s10, s38
	s_mul_i32 s14, s10, s38
	s_lshl_b64 s[14:15], s[14:15], 2
	s_add_u32 s14, s98, s14
	s_addc_u32 s15, s99, s15
	v_lshlrev_b32_e32 v50, 2, v72
	v_lshl_add_u64 v[20:21], v[56:57], 2, s[14:15]
	v_lshl_add_u64 v[18:19], v[52:53], 2, s[14:15]
	v_lshl_add_u64 v[22:23], v[20:21], 0, v[50:51]
	v_lshl_add_u64 v[20:21], v[58:59], 2, s[14:15]
	v_lshl_add_u64 v[18:19], v[18:19], 0, v[50:51]
	v_lshl_add_u64 v[24:25], v[20:21], 0, v[50:51]
	v_lshl_add_u64 v[20:21], v[60:61], 2, s[14:15]
	v_lshl_add_u64 v[26:27], v[20:21], 0, v[50:51]
	global_load_dwordx4 v[18:21], v[18:19], off
	s_waitcnt vmcnt(0)
	ds_write_b128 v154, v[18:21]
	global_load_dwordx4 v[18:21], v[22:23], off
	s_waitcnt vmcnt(0)
	ds_write_b128 v184, v[18:21]
	;; [unrolled: 3-line block ×3, first 2 shown]
	global_load_dwordx4 v[18:21], v[26:27], off
	v_add_u32_e32 v26, v183, v156
	s_waitcnt vmcnt(0)
	ds_write_b128 v186, v[18:21]
	s_waitcnt lgkmcnt(0)
	s_barrier
	ds_read2_b64 v[18:21], v26 offset1:4
	s_waitcnt lgkmcnt(0)
	v_mfma_f32_16x16x16_f16 v[22:25], v[18:19], v[14:15], 0
	v_mfma_f32_16x16x16_f16 v[18:21], v[20:21], v[16:17], v[22:25]
	s_nop 6
	ds_read2_b64 v[22:25], v26 offset0:8 offset1:12
	s_waitcnt lgkmcnt(0)
	v_mfma_f32_16x16x16_f16 v[18:21], v[22:23], v[10:11], v[18:21]
	v_mfma_f32_16x16x16_f16 v[18:21], v[24:25], v[12:13], v[18:21]
	ds_read2_b64 v[22:25], v26 offset0:16 offset1:20
	s_waitcnt lgkmcnt(0)
	v_mfma_f32_16x16x16_f16 v[18:21], v[22:23], v[6:7], v[18:21]
	v_mfma_f32_16x16x16_f16 v[18:21], v[24:25], v[8:9], v[18:21]
	ds_read2_b64 v[22:25], v26 offset0:24 offset1:28
	v_add_u32_e32 v26, 0x2000, v26
	s_waitcnt lgkmcnt(0)
	v_mfma_f32_16x16x16_f16 v[18:21], v[22:23], v[2:3], v[18:21]
	v_mfma_f32_16x16x16_f16 v[18:21], v[24:25], v[4:5], v[18:21]
	ds_read2_b64 v[22:25], v26 offset0:64 offset1:68
	s_waitcnt lgkmcnt(0)
	v_mfma_f32_16x16x16_f16 v[134:137], v[22:23], v[14:15], 0
	s_nop 4
	v_cmp_nlt_f32_e64 s[14:15], |v18|, s47
	v_mfma_f32_16x16x16_f16 v[14:17], v[24:25], v[16:17], v[134:137]
	ds_read2_b64 v[22:25], v26 offset0:72 offset1:76
	s_waitcnt lgkmcnt(0)
	v_mfma_f32_16x16x16_f16 v[14:17], v[22:23], v[10:11], v[14:17]
	v_mfma_f32_16x16x16_f16 v[10:13], v[24:25], v[12:13], v[14:17]
	s_nop 6
	ds_read2_b64 v[14:17], v26 offset0:80 offset1:84
	s_waitcnt lgkmcnt(0)
	v_mfma_f32_16x16x16_f16 v[10:13], v[14:15], v[6:7], v[10:13]
	v_mfma_f32_16x16x16_f16 v[6:9], v[16:17], v[8:9], v[10:13]
	s_nop 6
	ds_read2_b64 v[10:13], v26 offset0:88 offset1:92
	s_waitcnt lgkmcnt(0)
	v_mfma_f32_16x16x16_f16 v[6:9], v[10:11], v[2:3], v[6:9]
	s_barrier
	v_mfma_f32_16x16x16_f16 v[2:5], v[12:13], v[4:5], v[6:9]
                                        ; implicit-def: $vgpr6
	s_and_saveexec_b64 s[84:85], s[14:15]
	s_xor_b64 s[14:15], exec, s[84:85]
	s_cbranch_execz .LBB25_90
; %bb.89:                               ;   in Loop: Header=BB25_12 Depth=1
	s_nop 2
	v_add_f32_e64 v6, |v18|, |v18|
	v_mul_f32_e32 v7, 0x3fb8aa3b, v6
	v_rndne_f32_e32 v8, v7
	v_sub_f32_e32 v9, v7, v8
	v_fma_f32 v7, v6, s33, -v7
	v_fmac_f32_e32 v7, 0x32a5705f, v6
	v_add_f32_e32 v7, v9, v7
	v_cvt_i32_f32_e32 v8, v8
	v_exp_f32_e32 v7, v7
	v_cmp_ngt_f32_e32 vcc, s8, v6
	v_ldexp_f32 v7, v7, v8
	s_nop 0
	v_cndmask_b32_e32 v7, 0, v7, vcc
	v_cmp_nlt_f32_e32 vcc, s9, v6
	s_nop 1
	v_cndmask_b32_e32 v6, v215, v7, vcc
	v_add_f32_e32 v6, 1.0, v6
	v_rcp_f32_e32 v6, v6
	s_nop 0
	v_fma_f32 v6, v6, -2.0, 1.0
.LBB25_90:                              ;   in Loop: Header=BB25_12 Depth=1
	s_andn2_saveexec_b64 s[14:15], s[14:15]
; %bb.91:                               ;   in Loop: Header=BB25_12 Depth=1
	s_nop 1
	v_mul_f32_e32 v6, v18, v18
	v_fmamk_f32 v7, v6, 0xbbbac73d, v213
	v_fmaak_f32 v7, v6, v7, 0xbd5c1c4e
	v_fmaak_f32 v7, v6, v7, 0x3e088382
	;; [unrolled: 1-line block ×3, first 2 shown]
	v_mul_f32_e64 v7, |v18|, v7
	v_fma_f32 v6, v6, v7, |v18|
; %bb.92:                               ;   in Loop: Header=BB25_12 Depth=1
	s_or_b64 exec, exec, s[14:15]
	v_cmp_nlt_f32_e64 s[14:15], |v19|, s47
                                        ; implicit-def: $vgpr7
	s_and_saveexec_b64 s[84:85], s[14:15]
	s_xor_b64 s[14:15], exec, s[84:85]
	s_cbranch_execz .LBB25_94
; %bb.93:                               ;   in Loop: Header=BB25_12 Depth=1
	v_add_f32_e64 v7, |v19|, |v19|
	v_mul_f32_e32 v8, 0x3fb8aa3b, v7
	v_rndne_f32_e32 v9, v8
	v_sub_f32_e32 v10, v8, v9
	v_fma_f32 v8, v7, s33, -v8
	v_fmac_f32_e32 v8, 0x32a5705f, v7
	v_add_f32_e32 v8, v10, v8
	v_cvt_i32_f32_e32 v9, v9
	v_exp_f32_e32 v8, v8
	v_cmp_ngt_f32_e32 vcc, s8, v7
	v_ldexp_f32 v8, v8, v9
	s_nop 0
	v_cndmask_b32_e32 v8, 0, v8, vcc
	v_cmp_nlt_f32_e32 vcc, s9, v7
	s_nop 1
	v_cndmask_b32_e32 v7, v215, v8, vcc
	v_add_f32_e32 v7, 1.0, v7
	v_rcp_f32_e32 v7, v7
	s_nop 0
	v_fma_f32 v7, v7, -2.0, 1.0
.LBB25_94:                              ;   in Loop: Header=BB25_12 Depth=1
	s_andn2_saveexec_b64 s[14:15], s[14:15]
; %bb.95:                               ;   in Loop: Header=BB25_12 Depth=1
	v_mul_f32_e32 v7, v19, v19
	v_fmamk_f32 v8, v7, 0xbbbac73d, v213
	v_fmaak_f32 v8, v7, v8, 0xbd5c1c4e
	v_fmaak_f32 v8, v7, v8, 0x3e088382
	;; [unrolled: 1-line block ×3, first 2 shown]
	v_mul_f32_e64 v8, |v19|, v8
	v_fma_f32 v7, v7, v8, |v19|
; %bb.96:                               ;   in Loop: Header=BB25_12 Depth=1
	s_or_b64 exec, exec, s[14:15]
	v_cmp_nlt_f32_e64 s[14:15], |v20|, s47
                                        ; implicit-def: $vgpr8
	s_and_saveexec_b64 s[84:85], s[14:15]
	s_xor_b64 s[14:15], exec, s[84:85]
	s_cbranch_execz .LBB25_98
; %bb.97:                               ;   in Loop: Header=BB25_12 Depth=1
	v_add_f32_e64 v8, |v20|, |v20|
	v_mul_f32_e32 v9, 0x3fb8aa3b, v8
	v_rndne_f32_e32 v10, v9
	v_sub_f32_e32 v11, v9, v10
	v_fma_f32 v9, v8, s33, -v9
	v_fmac_f32_e32 v9, 0x32a5705f, v8
	v_add_f32_e32 v9, v11, v9
	v_cvt_i32_f32_e32 v10, v10
	v_exp_f32_e32 v9, v9
	v_cmp_ngt_f32_e32 vcc, s8, v8
	v_ldexp_f32 v9, v9, v10
	s_nop 0
	v_cndmask_b32_e32 v9, 0, v9, vcc
	v_cmp_nlt_f32_e32 vcc, s9, v8
	s_nop 1
	v_cndmask_b32_e32 v8, v215, v9, vcc
	v_add_f32_e32 v8, 1.0, v8
	v_rcp_f32_e32 v8, v8
	s_nop 0
	v_fma_f32 v8, v8, -2.0, 1.0
.LBB25_98:                              ;   in Loop: Header=BB25_12 Depth=1
	s_andn2_saveexec_b64 s[14:15], s[14:15]
; %bb.99:                               ;   in Loop: Header=BB25_12 Depth=1
	v_mul_f32_e32 v8, v20, v20
	v_fmamk_f32 v9, v8, 0xbbbac73d, v213
	v_fmaak_f32 v9, v8, v9, 0xbd5c1c4e
	v_fmaak_f32 v9, v8, v9, 0x3e088382
	;; [unrolled: 1-line block ×3, first 2 shown]
	v_mul_f32_e64 v9, |v20|, v9
	v_fma_f32 v8, v8, v9, |v20|
; %bb.100:                              ;   in Loop: Header=BB25_12 Depth=1
	s_or_b64 exec, exec, s[14:15]
	v_cmp_nlt_f32_e64 s[14:15], |v21|, s47
                                        ; implicit-def: $vgpr9
	s_and_saveexec_b64 s[84:85], s[14:15]
	s_xor_b64 s[14:15], exec, s[84:85]
	s_cbranch_execz .LBB25_102
; %bb.101:                              ;   in Loop: Header=BB25_12 Depth=1
	v_add_f32_e64 v9, |v21|, |v21|
	v_mul_f32_e32 v10, 0x3fb8aa3b, v9
	v_rndne_f32_e32 v11, v10
	v_sub_f32_e32 v12, v10, v11
	v_fma_f32 v10, v9, s33, -v10
	v_fmac_f32_e32 v10, 0x32a5705f, v9
	v_add_f32_e32 v10, v12, v10
	v_cvt_i32_f32_e32 v11, v11
	v_exp_f32_e32 v10, v10
	v_cmp_ngt_f32_e32 vcc, s8, v9
	v_ldexp_f32 v10, v10, v11
	s_nop 0
	v_cndmask_b32_e32 v10, 0, v10, vcc
	v_cmp_nlt_f32_e32 vcc, s9, v9
	s_nop 1
	v_cndmask_b32_e32 v9, v215, v10, vcc
	v_add_f32_e32 v9, 1.0, v9
	v_rcp_f32_e32 v9, v9
	s_nop 0
	v_fma_f32 v9, v9, -2.0, 1.0
.LBB25_102:                             ;   in Loop: Header=BB25_12 Depth=1
	s_andn2_saveexec_b64 s[14:15], s[14:15]
; %bb.103:                              ;   in Loop: Header=BB25_12 Depth=1
	v_mul_f32_e32 v9, v21, v21
	v_fmamk_f32 v10, v9, 0xbbbac73d, v213
	v_fmaak_f32 v10, v9, v10, 0xbd5c1c4e
	v_fmaak_f32 v10, v9, v10, 0x3e088382
	;; [unrolled: 1-line block ×3, first 2 shown]
	v_mul_f32_e64 v10, |v21|, v10
	v_fma_f32 v9, v9, v10, |v21|
; %bb.104:                              ;   in Loop: Header=BB25_12 Depth=1
	s_or_b64 exec, exec, s[14:15]
	v_cmp_nlt_f32_e64 s[14:15], |v2|, s47
                                        ; implicit-def: $vgpr10
	s_and_saveexec_b64 s[84:85], s[14:15]
	s_xor_b64 s[14:15], exec, s[84:85]
	s_cbranch_execz .LBB25_106
; %bb.105:                              ;   in Loop: Header=BB25_12 Depth=1
	v_add_f32_e64 v10, |v2|, |v2|
	v_mul_f32_e32 v11, 0x3fb8aa3b, v10
	v_rndne_f32_e32 v12, v11
	v_sub_f32_e32 v13, v11, v12
	v_fma_f32 v11, v10, s33, -v11
	v_fmac_f32_e32 v11, 0x32a5705f, v10
	v_add_f32_e32 v11, v13, v11
	v_cvt_i32_f32_e32 v12, v12
	v_exp_f32_e32 v11, v11
	v_cmp_ngt_f32_e32 vcc, s8, v10
	v_ldexp_f32 v11, v11, v12
	s_nop 0
	v_cndmask_b32_e32 v11, 0, v11, vcc
	v_cmp_nlt_f32_e32 vcc, s9, v10
	s_nop 1
	v_cndmask_b32_e32 v10, v215, v11, vcc
	v_add_f32_e32 v10, 1.0, v10
	v_rcp_f32_e32 v10, v10
	s_nop 0
	v_fma_f32 v10, v10, -2.0, 1.0
.LBB25_106:                             ;   in Loop: Header=BB25_12 Depth=1
	s_andn2_saveexec_b64 s[14:15], s[14:15]
; %bb.107:                              ;   in Loop: Header=BB25_12 Depth=1
	v_mul_f32_e32 v10, v2, v2
	v_fmamk_f32 v11, v10, 0xbbbac73d, v213
	v_fmaak_f32 v11, v10, v11, 0xbd5c1c4e
	v_fmaak_f32 v11, v10, v11, 0x3e088382
	;; [unrolled: 1-line block ×3, first 2 shown]
	v_mul_f32_e64 v11, |v2|, v11
	v_fma_f32 v10, v10, v11, |v2|
; %bb.108:                              ;   in Loop: Header=BB25_12 Depth=1
	s_or_b64 exec, exec, s[14:15]
	v_cmp_nlt_f32_e64 s[14:15], |v3|, s47
                                        ; implicit-def: $vgpr11
	s_and_saveexec_b64 s[84:85], s[14:15]
	s_xor_b64 s[14:15], exec, s[84:85]
	s_cbranch_execz .LBB25_110
; %bb.109:                              ;   in Loop: Header=BB25_12 Depth=1
	v_add_f32_e64 v11, |v3|, |v3|
	v_mul_f32_e32 v12, 0x3fb8aa3b, v11
	v_rndne_f32_e32 v13, v12
	v_sub_f32_e32 v14, v12, v13
	v_fma_f32 v12, v11, s33, -v12
	v_fmac_f32_e32 v12, 0x32a5705f, v11
	v_add_f32_e32 v12, v14, v12
	v_cvt_i32_f32_e32 v13, v13
	v_exp_f32_e32 v12, v12
	v_cmp_ngt_f32_e32 vcc, s8, v11
	v_ldexp_f32 v12, v12, v13
	s_nop 0
	v_cndmask_b32_e32 v12, 0, v12, vcc
	v_cmp_nlt_f32_e32 vcc, s9, v11
	s_nop 1
	v_cndmask_b32_e32 v11, v215, v12, vcc
	v_add_f32_e32 v11, 1.0, v11
	v_rcp_f32_e32 v11, v11
	s_nop 0
	v_fma_f32 v11, v11, -2.0, 1.0
.LBB25_110:                             ;   in Loop: Header=BB25_12 Depth=1
	s_andn2_saveexec_b64 s[14:15], s[14:15]
; %bb.111:                              ;   in Loop: Header=BB25_12 Depth=1
	v_mul_f32_e32 v11, v3, v3
	v_fmamk_f32 v12, v11, 0xbbbac73d, v213
	v_fmaak_f32 v12, v11, v12, 0xbd5c1c4e
	v_fmaak_f32 v12, v11, v12, 0x3e088382
	v_fmaak_f32 v12, v11, v12, 0xbeaaaa99
	v_mul_f32_e64 v12, |v3|, v12
	v_fma_f32 v11, v11, v12, |v3|
; %bb.112:                              ;   in Loop: Header=BB25_12 Depth=1
	s_or_b64 exec, exec, s[14:15]
	v_cmp_nlt_f32_e64 s[14:15], |v4|, s47
                                        ; implicit-def: $vgpr12
	s_and_saveexec_b64 s[84:85], s[14:15]
	s_xor_b64 s[14:15], exec, s[84:85]
	s_cbranch_execz .LBB25_114
; %bb.113:                              ;   in Loop: Header=BB25_12 Depth=1
	v_add_f32_e64 v12, |v4|, |v4|
	v_mul_f32_e32 v13, 0x3fb8aa3b, v12
	v_rndne_f32_e32 v14, v13
	v_sub_f32_e32 v15, v13, v14
	v_fma_f32 v13, v12, s33, -v13
	v_fmac_f32_e32 v13, 0x32a5705f, v12
	v_add_f32_e32 v13, v15, v13
	v_cvt_i32_f32_e32 v14, v14
	v_exp_f32_e32 v13, v13
	v_cmp_ngt_f32_e32 vcc, s8, v12
	v_ldexp_f32 v13, v13, v14
	s_nop 0
	v_cndmask_b32_e32 v13, 0, v13, vcc
	v_cmp_nlt_f32_e32 vcc, s9, v12
	s_nop 1
	v_cndmask_b32_e32 v12, v215, v13, vcc
	v_add_f32_e32 v12, 1.0, v12
	v_rcp_f32_e32 v12, v12
	s_nop 0
	v_fma_f32 v12, v12, -2.0, 1.0
.LBB25_114:                             ;   in Loop: Header=BB25_12 Depth=1
	s_andn2_saveexec_b64 s[14:15], s[14:15]
; %bb.115:                              ;   in Loop: Header=BB25_12 Depth=1
	v_mul_f32_e32 v12, v4, v4
	v_fmamk_f32 v13, v12, 0xbbbac73d, v213
	v_fmaak_f32 v13, v12, v13, 0xbd5c1c4e
	v_fmaak_f32 v13, v12, v13, 0x3e088382
	;; [unrolled: 1-line block ×3, first 2 shown]
	v_mul_f32_e64 v13, |v4|, v13
	v_fma_f32 v12, v12, v13, |v4|
; %bb.116:                              ;   in Loop: Header=BB25_12 Depth=1
	s_or_b64 exec, exec, s[14:15]
	v_cmp_nlt_f32_e64 s[14:15], |v5|, s47
                                        ; implicit-def: $vgpr13
	s_and_saveexec_b64 s[84:85], s[14:15]
	s_xor_b64 s[14:15], exec, s[84:85]
	s_cbranch_execz .LBB25_118
; %bb.117:                              ;   in Loop: Header=BB25_12 Depth=1
	v_add_f32_e64 v13, |v5|, |v5|
	v_mul_f32_e32 v14, 0x3fb8aa3b, v13
	v_rndne_f32_e32 v15, v14
	v_sub_f32_e32 v16, v14, v15
	v_fma_f32 v14, v13, s33, -v14
	v_fmac_f32_e32 v14, 0x32a5705f, v13
	v_add_f32_e32 v14, v16, v14
	v_cvt_i32_f32_e32 v15, v15
	v_exp_f32_e32 v14, v14
	v_cmp_ngt_f32_e32 vcc, s8, v13
	v_ldexp_f32 v14, v14, v15
	s_nop 0
	v_cndmask_b32_e32 v14, 0, v14, vcc
	v_cmp_nlt_f32_e32 vcc, s9, v13
	s_nop 1
	v_cndmask_b32_e32 v13, v215, v14, vcc
	v_add_f32_e32 v13, 1.0, v13
	v_rcp_f32_e32 v13, v13
	s_nop 0
	v_fma_f32 v13, v13, -2.0, 1.0
.LBB25_118:                             ;   in Loop: Header=BB25_12 Depth=1
	s_andn2_saveexec_b64 s[14:15], s[14:15]
; %bb.119:                              ;   in Loop: Header=BB25_12 Depth=1
	v_mul_f32_e32 v13, v5, v5
	v_fmamk_f32 v14, v13, 0xbbbac73d, v213
	v_fmaak_f32 v14, v13, v14, 0xbd5c1c4e
	v_fmaak_f32 v14, v13, v14, 0x3e088382
	;; [unrolled: 1-line block ×3, first 2 shown]
	v_mul_f32_e64 v14, |v5|, v14
	v_fma_f32 v13, v13, v14, |v5|
; %bb.120:                              ;   in Loop: Header=BB25_12 Depth=1
	s_or_b64 exec, exec, s[14:15]
	v_bfi_b32 v10, s89, v10, v2
	v_add_u32_e32 v2, 0x4400, v111
	v_bfi_b32 v11, s89, v11, v3
	ds_read2_b32 v[2:3], v2 offset1:1
	v_bfi_b32 v6, s89, v6, v18
	v_bfi_b32 v7, s89, v7, v19
	;; [unrolled: 1-line block ×3, first 2 shown]
	ds_read_b32 v12, v157 offset:17408
	s_waitcnt lgkmcnt(1)
	v_fma_mix_f32 v6, s3, v6, v2 op_sel_hi:[0,0,1]
	v_fma_mix_f32 v2, s3, v7, v2 op_sel:[0,0,1] op_sel_hi:[0,0,1]
	ds_read_b32 v7, v158 offset:17408
	v_bfi_b32 v9, s89, v9, v21
	v_bfi_b32 v8, s89, v8, v20
	;; [unrolled: 1-line block ×3, first 2 shown]
	v_fma_mix_f32 v8, s3, v8, v3 op_sel_hi:[0,0,1]
	v_fma_mix_f32 v3, s3, v9, v3 op_sel:[0,0,1] op_sel_hi:[0,0,1]
	s_waitcnt lgkmcnt(0)
	v_fma_mix_f32 v17, s3, v4, v7 op_sel_hi:[0,0,1]
	v_fma_mix_f32 v18, s3, v5, v7 op_sel:[0,0,1] op_sel_hi:[0,0,1]
	v_add_f32_e32 v4, 0x40051340, v6
	v_add_f32_e32 v5, 0x40051340, v2
	v_fma_mix_f32 v9, s3, v10, v12 op_sel_hi:[0,0,1]
	v_fma_mix_f32 v16, s3, v11, v12 op_sel:[0,0,1] op_sel_hi:[0,0,1]
	v_max3_f32 v4, v103, v4, v5
	v_add_f32_e32 v5, 0x40051340, v8
	v_add_f32_e32 v7, 0x40051340, v3
	v_max3_f32 v4, v4, v5, v7
	v_add_f32_e32 v5, 0x40051340, v9
	v_add_f32_e32 v7, 0x40051340, v16
	v_max3_f32 v4, v4, v5, v7
	v_add_f32_e32 v5, 0x40051340, v17
	v_add_f32_e32 v7, 0x40051340, v18
	v_max3_f32 v4, v4, v5, v7
	v_and_b32_e32 v5, 64, v214
	v_add_u32_e32 v5, 64, v5
	v_xor_b32_e32 v7, 32, v214
	v_cmp_lt_i32_e32 vcc, v7, v5
	s_mul_hi_i32 s11, s10, s34
	s_mul_i32 s10, s10, s34
	v_cndmask_b32_e32 v7, v214, v7, vcc
	v_lshlrev_b32_e32 v27, 2, v7
	ds_bpermute_b32 v7, v27, v4
	s_lshl_b64 s[10:11], s[10:11], 2
	s_add_u32 s10, s66, s10
	s_addc_u32 s11, s67, s11
	s_cmp_lg_u64 s[76:77], 0
	s_waitcnt lgkmcnt(0)
	v_max_f32_e32 v7, v7, v7
	v_max_f32_e32 v4, v4, v7
	v_xor_b32_e32 v7, 16, v214
	v_cmp_lt_i32_e32 vcc, v7, v5
	s_nop 1
	v_cndmask_b32_e32 v5, v214, v7, vcc
	v_lshlrev_b32_e32 v30, 2, v5
	ds_bpermute_b32 v5, v30, v4
	s_waitcnt lgkmcnt(0)
	v_max_f32_e32 v5, v5, v5
	v_max_f32_e32 v26, v4, v5
	v_sub_f32_e32 v4, v6, v26
	v_mul_f32_e32 v5, 0x3fb8aa3b, v4
	v_fma_f32 v6, v4, s33, -v5
	v_rndne_f32_e32 v7, v5
	v_fmac_f32_e32 v6, 0x32a5705f, v4
	v_sub_f32_e32 v5, v5, v7
	v_add_f32_e32 v5, v5, v6
	v_exp_f32_e32 v5, v5
	v_cvt_i32_f32_e32 v6, v7
	v_sub_f32_e32 v2, v2, v26
	v_cmp_ngt_f32_e32 vcc, s8, v4
	v_sub_f32_e32 v3, v3, v26
	v_ldexp_f32 v5, v5, v6
	v_mul_f32_e32 v6, 0x3fb8aa3b, v2
	v_fma_f32 v7, v2, s33, -v6
	v_rndne_f32_e32 v10, v6
	v_fmac_f32_e32 v7, 0x32a5705f, v2
	v_sub_f32_e32 v6, v6, v10
	v_add_f32_e32 v6, v6, v7
	v_exp_f32_e32 v6, v6
	v_cvt_i32_f32_e32 v7, v10
	v_cndmask_b32_e32 v5, 0, v5, vcc
	v_cmp_nlt_f32_e32 vcc, s9, v4
	v_sub_f32_e32 v41, v9, v26
	v_ldexp_f32 v4, v6, v7
	v_cndmask_b32_e32 v19, v215, v5, vcc
	v_sub_f32_e32 v5, v8, v26
	v_mul_f32_e32 v6, 0x3fb8aa3b, v5
	v_fma_f32 v7, v5, s33, -v6
	v_rndne_f32_e32 v8, v6
	v_fmac_f32_e32 v7, 0x32a5705f, v5
	v_sub_f32_e32 v6, v6, v8
	v_add_f32_e32 v6, v6, v7
	v_exp_f32_e32 v6, v6
	v_cvt_i32_f32_e32 v7, v8
	v_cmp_ngt_f32_e32 vcc, s8, v2
	s_nop 1
	v_cndmask_b32_e32 v4, 0, v4, vcc
	v_cmp_nlt_f32_e32 vcc, s9, v2
	s_nop 1
	v_cndmask_b32_e32 v24, v215, v4, vcc
	v_ldexp_f32 v4, v6, v7
	v_mul_f32_e32 v6, 0x3fb8aa3b, v3
	v_fma_f32 v7, v3, s33, -v6
	v_rndne_f32_e32 v8, v6
	v_fmac_f32_e32 v7, 0x32a5705f, v3
	v_sub_f32_e32 v6, v6, v8
	v_add_f32_e32 v6, v6, v7
	v_exp_f32_e32 v6, v6
	v_cvt_i32_f32_e32 v7, v8
	v_cmp_ngt_f32_e32 vcc, s8, v5
	v_add_f32_e32 v2, v19, v24
	s_nop 0
	v_cndmask_b32_e32 v4, 0, v4, vcc
	v_cmp_nlt_f32_e32 vcc, s9, v5
	v_mul_f32_e32 v5, 0x3fb8aa3b, v41
	s_nop 0
	v_cndmask_b32_e32 v25, v215, v4, vcc
	v_ldexp_f32 v4, v6, v7
	v_fma_f32 v6, v41, s33, -v5
	v_rndne_f32_e32 v7, v5
	v_fmac_f32_e32 v6, 0x32a5705f, v41
	v_sub_f32_e32 v5, v5, v7
	v_add_f32_e32 v5, v5, v6
	v_exp_f32_e32 v5, v5
	v_cvt_i32_f32_e32 v6, v7
	v_cmp_ngt_f32_e32 vcc, s8, v3
	v_add_f32_e32 v2, v25, v2
	s_nop 0
	v_cndmask_b32_e32 v4, 0, v4, vcc
	v_cmp_nlt_f32_e32 vcc, s9, v3
	s_nop 1
	v_cndmask_b32_e32 v44, v215, v4, vcc
	v_add_f32_e32 v45, v44, v2
	v_ldexp_f32 v2, v5, v6
	v_cmp_ngt_f32_e32 vcc, s8, v41
	v_lshl_add_u64 v[4:5], v[64:65], 2, s[10:11]
	v_lshl_add_u64 v[6:7], v[4:5], 0, v[50:51]
	v_cndmask_b32_e32 v107, 0, v2, vcc
	v_lshl_add_u64 v[2:3], v[62:63], 2, s[10:11]
	v_lshl_add_u64 v[4:5], v[66:67], 2, s[10:11]
	;; [unrolled: 1-line block ×6, first 2 shown]
	global_load_dwordx4 v[2:5], v[2:3], off
	s_nop 0
	global_load_dwordx4 v[6:9], v[6:7], off
	s_nop 0
	;; [unrolled: 2-line block ×3, first 2 shown]
	global_load_dwordx4 v[20:23], v[14:15], off
	v_sub_f32_e32 v14, v16, v26
	v_mul_f32_e32 v15, 0x3fb8aa3b, v14
	v_fma_f32 v16, v14, s33, -v15
	v_rndne_f32_e32 v50, v15
	v_fmac_f32_e32 v16, 0x32a5705f, v14
	v_sub_f32_e32 v15, v15, v50
	v_add_f32_e32 v15, v15, v16
	v_exp_f32_e32 v15, v15
	v_cvt_i32_f32_e32 v16, v50
	v_cmp_nlt_f32_e32 vcc, s9, v41
	s_waitcnt vmcnt(3)
	ds_write_b128 v154, v[2:5]
	s_waitcnt vmcnt(2)
	ds_write_b128 v184, v[6:9]
	;; [unrolled: 2-line block ×4, first 2 shown]
	v_ldexp_f32 v15, v15, v16
	v_sub_f32_e32 v16, v17, v26
	v_cndmask_b32_e32 v50, v215, v107, vcc
	v_mul_f32_e32 v17, 0x3fb8aa3b, v16
	v_add_f32_e32 v41, v50, v45
	v_fma_f32 v45, v16, s33, -v17
	v_rndne_f32_e32 v107, v17
	v_fmac_f32_e32 v45, 0x32a5705f, v16
	v_sub_f32_e32 v17, v17, v107
	v_add_f32_e32 v17, v17, v45
	v_exp_f32_e32 v17, v17
	v_cvt_i32_f32_e32 v45, v107
	v_cmp_ngt_f32_e32 vcc, s8, v14
	s_waitcnt lgkmcnt(0)
	s_barrier
	v_cndmask_b32_e32 v15, 0, v15, vcc
	v_cmp_nlt_f32_e32 vcc, s9, v14
	ds_read_u16 v5, v152 offset:272
	ds_read_u16 v6, v152 offset:544
	ds_read_u16 v7, v153
	ds_read_u16 v8, v152
	v_cndmask_b32_e32 v107, v215, v15, vcc
	v_ldexp_f32 v15, v17, v45
	v_sub_f32_e32 v17, v18, v26
	v_mul_f32_e32 v18, 0x3fb8aa3b, v17
	v_add_f32_e32 v14, v107, v41
	v_fma_f32 v41, v17, s33, -v18
	v_rndne_f32_e32 v45, v18
	v_fmac_f32_e32 v41, 0x32a5705f, v17
	v_sub_f32_e32 v18, v18, v45
	v_add_f32_e32 v18, v18, v41
	v_exp_f32_e32 v18, v18
	v_cvt_i32_f32_e32 v41, v45
	v_cmp_ngt_f32_e32 vcc, s8, v16
	s_waitcnt lgkmcnt(1)
	v_perm_b32 v7, v7, v6, s64
	s_waitcnt lgkmcnt(0)
	v_perm_b32 v6, v5, v8, s64
	v_cndmask_b32_e32 v15, 0, v15, vcc
	v_cmp_nlt_f32_e32 vcc, s9, v16
	ds_read_u16 v9, v153 offset:32
	s_nop 0
	v_cndmask_b32_e32 v16, v215, v15, vcc
	v_ldexp_f32 v15, v18, v41
	v_sub_f32_e32 v18, v103, v26
	v_mul_f32_e32 v41, 0x3fb8aa3b, v18
	v_fma_f32 v45, v18, s33, -v41
	v_rndne_f32_e32 v103, v41
	v_fmac_f32_e32 v45, 0x32a5705f, v18
	v_sub_f32_e32 v41, v41, v103
	v_add_f32_e32 v41, v41, v45
	v_exp_f32_e32 v41, v41
	v_cvt_i32_f32_e32 v45, v103
	v_cmp_ngt_f32_e32 vcc, s8, v17
	v_cmp_ngt_f32_e64 s[10:11], s8, v18
	v_add_f32_e32 v14, v16, v14
	v_cndmask_b32_e32 v15, 0, v15, vcc
	v_cmp_nlt_f32_e32 vcc, s9, v17
	v_ldexp_f32 v17, v41, v45
	v_cndmask_b32_e64 v17, 0, v17, s[10:11]
	v_cmp_nlt_f32_e64 s[10:11], s9, v18
	v_cndmask_b32_e32 v45, v215, v15, vcc
	v_add_f32_e32 v41, v45, v14
	v_cndmask_b32_e64 v17, v215, v17, s[10:11]
	v_cmp_le_f32_e64 s[10:11], s46, v18
	s_nop 1
	v_cndmask_b32_e64 v17, 0, v17, s[10:11]
	v_cvt_f16_f32_e32 v18, v17
	v_fmac_f32_e32 v41, v105, v17
	ds_bpermute_b32 v27, v27, v41
	s_cselect_b64 s[10:11], -1, 0
	v_mul_u32_u24_e32 v103, 0x10001, v18
	v_pk_mul_f16 v17, v40, v103
	v_pk_mul_f16 v37, v37, v103
	v_cvt_f32_f16_e32 v2, v17
	v_cvt_f32_f16_sdwa v3, v17 dst_sel:DWORD dst_unused:UNUSED_PAD src0_sel:WORD_1
	v_cvt_f32_f16_e32 v4, v37
	v_cvt_f32_f16_sdwa v5, v37 dst_sel:DWORD dst_unused:UNUSED_PAD src0_sel:WORD_1
	v_pk_mul_f16 v40, v29, v103
	v_pk_mul_f16 v105, v28, v103
	v_cvt_pk_f16_f32 v29, v25, v44
	v_cvt_pk_f16_f32 v28, v19, v24
	v_pk_mul_f16 v33, v33, v103
	v_cvt_pk_f16_f32 v25, v16, v45
	v_mfma_f32_16x16x16_f16 v[2:5], v[6:7], v[28:29], v[2:5]
	ds_read_u16 v6, v152 offset:8704
	ds_read_u16 v7, v152 offset:9248
	;; [unrolled: 1-line block ×4, first 2 shown]
	v_cvt_pk_f16_f32 v24, v50, v107
	v_pk_mul_f16 v32, v32, v103
	s_nop 1
	v_cvt_f16_f32_e32 v2, v2
	v_cvt_f16_f32_e32 v3, v3
	v_cvt_f16_f32_e32 v4, v4
	v_cvt_f16_f32_e32 v5, v5
	s_waitcnt lgkmcnt(0)
	v_perm_b32 v6, v10, v6, s64
	ds_read_u16 v10, v152 offset:32
	ds_read_u16 v11, v152 offset:576
	;; [unrolled: 1-line block ×3, first 2 shown]
	v_perm_b32 v7, v8, v7, s64
	v_cvt_f32_f16_e32 v2, v2
	v_cvt_f32_f16_e32 v3, v3
	;; [unrolled: 1-line block ×4, first 2 shown]
	s_waitcnt lgkmcnt(1)
	v_perm_b32 v11, v9, v11, s64
	s_waitcnt lgkmcnt(0)
	v_perm_b32 v10, v12, v10, s64
	v_mfma_f32_16x16x16_f16 v[2:5], v[6:7], v[24:25], v[2:5]
	v_cvt_f32_f16_e32 v6, v33
	v_cvt_f32_f16_sdwa v7, v33 dst_sel:DWORD dst_unused:UNUSED_PAD src0_sel:WORD_1
	v_cvt_f32_f16_e32 v8, v40
	v_cvt_f32_f16_sdwa v9, v40 dst_sel:DWORD dst_unused:UNUSED_PAD src0_sel:WORD_1
	v_pk_mul_f16 v14, v31, v103
	s_nop 2
	v_cvt_f16_f32_e32 v31, v5
	v_mfma_f32_16x16x16_f16 v[6:9], v[10:11], v[28:29], v[6:9]
	ds_read_u16 v10, v152 offset:8736
	ds_read_u16 v11, v152 offset:9280
	;; [unrolled: 1-line block ×4, first 2 shown]
	v_pk_mul_f16 v15, v36, v103
	v_pk_mul_f16 v21, v39, v103
	s_nop 1
	v_cvt_f16_f32_e32 v6, v6
	v_cvt_f16_f32_e32 v7, v7
	;; [unrolled: 1-line block ×4, first 2 shown]
	s_waitcnt lgkmcnt(0)
	v_perm_b32 v10, v13, v10, s64
	ds_read_u16 v13, v152 offset:64
	ds_read_u16 v16, v152 offset:608
	;; [unrolled: 1-line block ×4, first 2 shown]
	v_perm_b32 v11, v12, v11, s64
	v_cvt_f32_f16_e32 v6, v6
	v_cvt_f32_f16_e32 v7, v7
	;; [unrolled: 1-line block ×4, first 2 shown]
	s_waitcnt lgkmcnt(1)
	v_perm_b32 v17, v17, v16, s64
	s_waitcnt lgkmcnt(0)
	v_perm_b32 v16, v19, v13, s64
	v_mfma_f32_16x16x16_f16 v[6:9], v[10:11], v[24:25], v[6:9]
	v_cvt_f32_f16_e32 v10, v32
	v_cvt_f32_f16_sdwa v11, v32 dst_sel:DWORD dst_unused:UNUSED_PAD src0_sel:WORD_1
	v_cvt_f32_f16_e32 v12, v105
	v_cvt_f32_f16_sdwa v13, v105 dst_sel:DWORD dst_unused:UNUSED_PAD src0_sel:WORD_1
	v_cvt_f16_f32_e32 v19, v4
	v_pk_mul_f16 v20, v38, v103
	v_mfma_f32_16x16x16_f16 v[10:13], v[16:17], v[28:29], v[10:13]
	ds_read_u16 v16, v152 offset:8768
	ds_read_u16 v17, v152 offset:9312
	;; [unrolled: 1-line block ×4, first 2 shown]
	v_perm_b32 v31, v31, v19, s64
	v_cvt_f32_f16_e32 v36, v15
	s_nop 1
	v_cvt_f16_f32_e32 v4, v10
	v_cvt_f16_f32_e32 v5, v11
	;; [unrolled: 1-line block ×4, first 2 shown]
	s_waitcnt lgkmcnt(1)
	v_perm_b32 v17, v32, v17, s64
	s_waitcnt lgkmcnt(0)
	v_perm_b32 v16, v33, v16, s64
	v_cvt_f32_f16_e32 v10, v4
	v_cvt_f32_f16_e32 v11, v5
	v_cvt_f32_f16_e32 v12, v12
	v_cvt_f32_f16_e32 v13, v13
	v_cvt_f32_f16_sdwa v37, v15 dst_sel:DWORD dst_unused:UNUSED_PAD src0_sel:WORD_1
	v_cvt_f32_f16_e32 v38, v14
	v_mfma_f32_16x16x16_f16 v[10:13], v[16:17], v[24:25], v[10:13]
	ds_read_u16 v16, v152 offset:96
	ds_read_u16 v17, v152 offset:640
	;; [unrolled: 1-line block ×4, first 2 shown]
	v_cvt_f32_f16_sdwa v39, v14 dst_sel:DWORD dst_unused:UNUSED_PAD src0_sel:WORD_1
	v_pk_mul_f16 v40, v34, v103
	v_cvt_f16_f32_e32 v8, v8
	s_waitcnt lgkmcnt(1)
	v_perm_b32 v17, v19, v17, s64
	s_waitcnt lgkmcnt(0)
	v_perm_b32 v16, v32, v16, s64
	v_cvt_f16_f32_e32 v9, v9
	v_pk_mul_f16 v18, v35, v103
	v_mfma_f32_16x16x16_f16 v[14:17], v[16:17], v[28:29], v[36:39]
	ds_read_u16 v19, v152 offset:8800
	ds_read_u16 v33, v152 offset:9344
	;; [unrolled: 1-line block ×4, first 2 shown]
	v_perm_b32 v8, v9, v8, s64
	v_cvt_f32_f16_e32 v130, v18
	s_nop 1
	v_cvt_f16_f32_e32 v14, v14
	v_cvt_f16_f32_e32 v15, v15
	;; [unrolled: 1-line block ×4, first 2 shown]
	s_waitcnt lgkmcnt(1)
	v_perm_b32 v37, v34, v33, s64
	s_waitcnt lgkmcnt(0)
	v_perm_b32 v36, v36, v19, s64
	v_cvt_f32_f16_e32 v14, v14
	v_cvt_f32_f16_e32 v15, v15
	;; [unrolled: 1-line block ×4, first 2 shown]
	v_cvt_f32_f16_sdwa v131, v18 dst_sel:DWORD dst_unused:UNUSED_PAD src0_sel:WORD_1
	v_pk_mul_f16 v35, v133, v103
	v_mfma_f32_16x16x16_f16 v[14:17], v[36:37], v[24:25], v[14:17]
	ds_read_u16 v9, v152 offset:128
	ds_read_u16 v19, v152 offset:672
	;; [unrolled: 1-line block ×4, first 2 shown]
	v_pk_mul_f16 v44, v132, v103
	v_cvt_f32_f16_e32 v132, v40
	v_cvt_f32_f16_sdwa v133, v40 dst_sel:DWORD dst_unused:UNUSED_PAD src0_sel:WORD_1
	s_waitcnt lgkmcnt(1)
	v_perm_b32 v19, v36, v19, s64
	s_waitcnt lgkmcnt(0)
	v_perm_b32 v18, v37, v9, s64
	v_pk_mul_f16 v22, v42, v103
	ds_read_u16 v38, v152 offset:8832
	ds_read_u16 v39, v152 offset:9376
	;; [unrolled: 1-line block ×4, first 2 shown]
	v_mfma_f32_16x16x16_f16 v[130:133], v[18:19], v[28:29], v[130:133]
	v_cvt_f16_f32_e32 v9, v12
	v_cvt_f16_f32_e32 v37, v13
	v_pk_mul_f16 v23, v43, v103
	s_nop 4
	v_cvt_f16_f32_e32 v12, v130
	v_cvt_f16_f32_e32 v13, v131
	;; [unrolled: 1-line block ×4, first 2 shown]
	v_cvt_f32_f16_e32 v130, v12
	v_cvt_f32_f16_e32 v131, v13
	s_waitcnt lgkmcnt(1)
	v_perm_b32 v13, v40, v39, s64
	s_waitcnt lgkmcnt(0)
	v_perm_b32 v12, v42, v38, s64
	v_cvt_f32_f16_e32 v132, v18
	v_cvt_f32_f16_e32 v133, v19
	v_perm_b32 v9, v37, v9, s64
	v_cvt_f16_f32_e32 v39, v16
	v_cvt_f16_f32_e32 v40, v17
	v_mfma_f32_16x16x16_f16 v[16:19], v[12:13], v[24:25], v[130:133]
	ds_read_u16 v12, v152 offset:160
	ds_read_u16 v13, v152 offset:704
	;; [unrolled: 1-line block ×4, first 2 shown]
	v_cvt_f32_f16_e32 v130, v21
	v_cvt_f32_f16_sdwa v131, v21 dst_sel:DWORD dst_unused:UNUSED_PAD src0_sel:WORD_1
	v_cvt_f32_f16_e32 v132, v20
	s_waitcnt lgkmcnt(1)
	v_perm_b32 v43, v37, v13, s64
	s_waitcnt lgkmcnt(0)
	v_perm_b32 v42, v38, v12, s64
	v_cvt_f32_f16_sdwa v133, v20 dst_sel:DWORD dst_unused:UNUSED_PAD src0_sel:WORD_1
	v_perm_b32 v12, v40, v39, s64
	v_add_f32_e32 v27, v41, v27
	v_mfma_f32_16x16x16_f16 v[130:133], v[42:43], v[28:29], v[130:133]
	ds_read_u16 v40, v152 offset:8864
	ds_read_u16 v42, v152 offset:9408
	;; [unrolled: 1-line block ×4, first 2 shown]
	ds_bpermute_b32 v41, v30, v27
	v_cvt_f16_f32_e32 v4, v2
	s_nop 1
	v_cvt_f16_f32_e32 v20, v131
	v_cvt_f16_f32_e32 v21, v132
	;; [unrolled: 1-line block ×4, first 2 shown]
	v_cvt_f32_f16_e32 v131, v20
	v_cvt_f32_f16_e32 v132, v21
	s_waitcnt lgkmcnt(2)
	v_perm_b32 v21, v43, v42, s64
	s_waitcnt lgkmcnt(1)
	v_perm_b32 v20, v45, v40, s64
	ds_read_u16 v40, v152 offset:192
	ds_read_u16 v43, v152 offset:736
	;; [unrolled: 1-line block ×4, first 2 shown]
	v_cvt_f32_f16_e32 v130, v13
	v_cvt_f32_f16_e32 v133, v39
	v_cvt_f16_f32_e32 v13, v18
	s_waitcnt lgkmcnt(1)
	v_perm_b32 v135, v45, v43, s64
	s_waitcnt lgkmcnt(0)
	v_perm_b32 v134, v50, v40, s64
	v_cvt_f16_f32_e32 v42, v19
	v_mfma_f32_16x16x16_f16 v[18:21], v[20:21], v[24:25], v[130:133]
	ds_read_u16 v50, v152 offset:8896
	ds_read_u16 v103, v152 offset:9440
	;; [unrolled: 1-line block ×4, first 2 shown]
	v_cvt_f32_f16_e32 v130, v23
	v_cvt_f32_f16_sdwa v131, v23 dst_sel:DWORD dst_unused:UNUSED_PAD src0_sel:WORD_1
	v_cvt_f32_f16_e32 v132, v22
	v_cvt_f32_f16_sdwa v133, v22 dst_sel:DWORD dst_unused:UNUSED_PAD src0_sel:WORD_1
	v_cvt_f16_f32_e32 v5, v3
	v_cvt_f16_f32_e32 v32, v6
	v_mfma_f32_16x16x16_f16 v[130:133], v[134:135], v[28:29], v[130:133]
	v_cvt_f16_f32_e32 v33, v7
	v_cvt_f16_f32_e32 v34, v10
	;; [unrolled: 1-line block ×4, first 2 shown]
	s_nop 3
	v_cvt_f16_f32_e32 v22, v130
	v_cvt_f16_f32_e32 v23, v131
	;; [unrolled: 1-line block ×4, first 2 shown]
	v_cvt_f32_f16_e32 v130, v22
	v_cvt_f32_f16_e32 v131, v23
	s_waitcnt lgkmcnt(1)
	v_perm_b32 v23, v105, v103, s64
	s_waitcnt lgkmcnt(0)
	v_perm_b32 v22, v107, v50, s64
	ds_read_u16 v103, v152 offset:224
	ds_read_u16 v105, v152 offset:768
	;; [unrolled: 1-line block ×4, first 2 shown]
	v_cvt_f32_f16_e32 v132, v43
	v_cvt_f32_f16_e32 v133, v45
	v_cvt_f16_f32_e32 v45, v20
	s_waitcnt lgkmcnt(1)
	v_perm_b32 v135, v107, v105, s64
	s_waitcnt lgkmcnt(0)
	v_perm_b32 v134, v109, v103, s64
	v_cvt_f16_f32_e32 v50, v21
	v_mfma_f32_16x16x16_f16 v[20:23], v[22:23], v[24:25], v[130:133]
	v_cvt_f16_f32_e32 v38, v15
	v_cvt_f16_f32_e32 v39, v16
	;; [unrolled: 1-line block ×3, first 2 shown]
	v_cvt_f32_f16_e32 v130, v35
	v_cvt_f32_f16_sdwa v131, v35 dst_sel:DWORD dst_unused:UNUSED_PAD src0_sel:WORD_1
	v_cvt_f32_f16_e32 v132, v44
	v_cvt_f32_f16_sdwa v133, v44 dst_sel:DWORD dst_unused:UNUSED_PAD src0_sel:WORD_1
	v_perm_b32 v35, v50, v45, s64
	v_cvt_f16_f32_e32 v22, v22
	v_mfma_f32_16x16x16_f16 v[130:133], v[134:135], v[28:29], v[130:133]
	ds_read_u16 v29, v152 offset:8928
	ds_read_u16 v103, v152 offset:9472
	;; [unrolled: 1-line block ×4, first 2 shown]
	v_cvt_f16_f32_e32 v23, v23
	v_perm_b32 v13, v42, v13, s64
	s_nop 1
	v_cvt_f16_f32_e32 v44, v130
	v_cvt_f16_f32_e32 v45, v131
	;; [unrolled: 1-line block ×4, first 2 shown]
	v_cvt_f32_f16_e32 v130, v44
	v_cvt_f32_f16_e32 v131, v45
	s_waitcnt lgkmcnt(1)
	v_perm_b32 v45, v105, v103, s64
	s_waitcnt lgkmcnt(0)
	v_perm_b32 v44, v107, v29, s64
	v_cvt_f32_f16_e32 v132, v50
	v_cvt_f32_f16_e32 v133, v28
	v_perm_b32 v28, v23, v22, s64
	v_cvt_f16_f32_e32 v42, v18
	v_mfma_f32_16x16x16_f16 v[22:25], v[44:45], v[24:25], v[130:133]
	v_cvt_f16_f32_e32 v43, v19
	v_cvt_f16_f32_e32 v29, v20
	;; [unrolled: 1-line block ×3, first 2 shown]
	v_add_f32_e32 v27, v27, v41
	s_nop 3
	v_cvt_f16_f32_e32 v44, v22
	v_cvt_f16_f32_e32 v24, v24
	;; [unrolled: 1-line block ×4, first 2 shown]
	s_and_b64 s[14:15], s[0:1], s[10:11]
	v_perm_b32 v29, v50, v29, s64
	v_perm_b32 v24, v25, v24, s64
	;; [unrolled: 1-line block ×9, first 2 shown]
	s_barrier
	s_and_saveexec_b64 s[10:11], s[14:15]
	s_cbranch_execz .LBB25_122
; %bb.121:                              ;   in Loop: Header=BB25_12 Depth=1
	v_cvt_pk_f16_f32 v3, v2, v3
	v_lshlrev_b32_e32 v2, 2, v98
	v_cvt_pk_f16_f32 v4, v6, v7
	v_cvt_pk_f16_f32 v6, v14, v15
	global_load_dword v15, v2, s[76:77]
	v_cvt_pk_f16_f32 v7, v16, v17
	v_max_f32_e32 v16, v26, v26
	v_cvt_pk_f16_f32 v5, v10, v11
	v_cvt_pk_f16_f32 v10, v18, v19
	;; [unrolled: 1-line block ×4, first 2 shown]
	s_waitcnt vmcnt(0)
	v_max_f32_e32 v2, v15, v15
	v_max_f32_e32 v2, v16, v2
	v_sub_f32_e32 v16, v26, v2
	v_mul_f32_e32 v17, 0x3fb8aa3b, v16
	v_fma_f32 v18, v16, s33, -v17
	v_rndne_f32_e32 v19, v17
	v_fmac_f32_e32 v18, 0x32a5705f, v16
	v_sub_f32_e32 v17, v17, v19
	v_add_f32_e32 v17, v17, v18
	v_exp_f32_e32 v17, v17
	v_cvt_i32_f32_e32 v18, v19
	v_cmp_ngt_f32_e32 vcc, s8, v16
	v_sub_f32_e32 v15, v15, v2
	v_ldexp_f32 v17, v17, v18
	v_cndmask_b32_e32 v17, 0, v17, vcc
	v_cmp_nlt_f32_e32 vcc, s9, v16
	s_nop 1
	v_cndmask_b32_e32 v17, v215, v17, vcc
	v_cmp_le_f32_e32 vcc, s46, v16
	s_nop 1
	v_cndmask_b32_e32 v16, 0, v17, vcc
	v_cvt_f16_f32_e32 v17, v16
	v_cmp_ngt_f32_e32 vcc, s8, v15
	v_mul_u32_u24_e32 v17, 0x10001, v17
	v_pk_mul_f16 v33, v3, v17
	v_mul_f32_e32 v3, 0x3fb8aa3b, v15
	v_pk_mul_f16 v32, v4, v17
	v_pk_mul_f16 v34, v5, v17
	v_fma_f32 v4, v15, s33, -v3
	v_rndne_f32_e32 v5, v3
	v_fmac_f32_e32 v4, 0x32a5705f, v15
	v_sub_f32_e32 v3, v3, v5
	v_add_f32_e32 v3, v3, v4
	v_exp_f32_e32 v3, v3
	v_cvt_i32_f32_e32 v4, v5
	v_pk_mul_f16 v31, v31, v17
	v_pk_mul_f16 v8, v8, v17
	;; [unrolled: 1-line block ×3, first 2 shown]
	v_ldexp_f32 v3, v3, v4
	v_cndmask_b32_e32 v3, 0, v3, vcc
	v_cmp_nlt_f32_e32 vcc, s9, v15
	v_pk_mul_f16 v37, v6, v17
	v_pk_mul_f16 v12, v12, v17
	v_cndmask_b32_e32 v3, v215, v3, vcc
	v_fmac_f32_e32 v3, v27, v16
	v_pk_mul_f16 v39, v7, v17
	v_pk_mul_f16 v13, v13, v17
	;; [unrolled: 1-line block ×8, first 2 shown]
	v_mov_b64_e32 v[26:27], v[2:3]
.LBB25_122:                             ;   in Loop: Header=BB25_12 Depth=1
	s_or_b64 exec, exec, s[10:11]
	s_and_saveexec_b64 s[10:11], s[6:7]
; %bb.123:                              ;   in Loop: Header=BB25_12 Depth=1
	v_add_u32_e32 v2, 0, v159
	ds_write2_b32 v2, v26, v27 offset0:64 offset1:65
; %bb.124:                              ;   in Loop: Header=BB25_12 Depth=1
	s_or_b64 exec, exec, s[10:11]
	s_waitcnt lgkmcnt(0)
	s_barrier
	s_mov_b64 s[10:11], exec
	v_readlane_b32 s14, v224, 10
	v_readlane_b32 s15, v224, 11
	s_and_b64 s[14:15], s[10:11], s[14:15]
	s_xor_b64 s[10:11], s[14:15], s[10:11]
	s_mov_b64 exec, s[14:15]
	s_cbranch_execz .LBB25_126
; %bb.125:                              ;   in Loop: Header=BB25_12 Depth=1
	s_barrier
                                        ; implicit-def: $vgpr30
.LBB25_126:                             ;   in Loop: Header=BB25_12 Depth=1
	s_andn2_saveexec_b64 s[10:11], s[10:11]
	s_cbranch_execz .LBB25_132
; %bb.127:                              ;   in Loop: Header=BB25_12 Depth=1
	v_add_u32_e32 v3, 0, v160
	ds_read_b64 v[6:7], v3 offset:256
	s_waitcnt lgkmcnt(0)
	s_barrier
	ds_bpermute_b32 v2, v30, v6
	v_max_f32_e32 v4, v6, v6
	s_waitcnt lgkmcnt(0)
	v_max_f32_e32 v2, v2, v2
	v_max_f32_e32 v2, v4, v2
	v_sub_f32_e32 v4, v6, v2
	v_mul_f32_e32 v5, 0x3fb8aa3b, v4
	v_fma_f32 v6, v4, s33, -v5
	v_rndne_f32_e32 v10, v5
	v_fmac_f32_e32 v6, 0x32a5705f, v4
	v_sub_f32_e32 v5, v5, v10
	v_add_f32_e32 v5, v5, v6
	v_cvt_i32_f32_e32 v10, v10
	v_exp_f32_e32 v5, v5
	v_cmp_ngt_f32_e32 vcc, s8, v4
	v_ldexp_f32 v5, v5, v10
	s_nop 0
	v_cndmask_b32_e32 v5, 0, v5, vcc
	v_cmp_nlt_f32_e32 vcc, s9, v4
	s_nop 1
	v_cndmask_b32_e32 v4, v215, v5, vcc
	v_mul_f32_e32 v5, v7, v4
	ds_bpermute_b32 v5, v30, v5
	s_waitcnt lgkmcnt(0)
	v_fmac_f32_e32 v5, v7, v4
	s_mov_b64 s[14:15], exec
	v_readlane_b32 s84, v224, 15
	v_readlane_b32 s85, v224, 16
	s_and_b64 s[84:85], s[14:15], s[84:85]
	s_mov_b64 exec, s[84:85]
; %bb.128:                              ;   in Loop: Header=BB25_12 Depth=1
	ds_write_b64 v3, v[4:5] offset:256
; %bb.129:                              ;   in Loop: Header=BB25_12 Depth=1
	s_or_b64 exec, exec, s[14:15]
	s_and_saveexec_b64 s[14:15], s[6:7]
	s_cbranch_execz .LBB25_131
; %bb.130:                              ;   in Loop: Header=BB25_12 Depth=1
	v_mov_b32_e32 v3, v5
	global_store_dwordx2 v[70:71], v[2:3], off
.LBB25_131:                             ;   in Loop: Header=BB25_12 Depth=1
	s_or_b64 exec, exec, s[14:15]
.LBB25_132:                             ;   in Loop: Header=BB25_12 Depth=1
	s_or_b64 exec, exec, s[10:11]
	v_add_u32_e32 v2, v155, v161
	ds_write2_b32 v2, v33, v31 offset1:1
	ds_write2_b32 v2, v32, v8 offset0:8 offset1:9
	ds_write2_b32 v2, v34, v9 offset0:16 offset1:17
	;; [unrolled: 1-line block ×7, first 2 shown]
	s_waitcnt lgkmcnt(0)
	s_barrier
	s_and_saveexec_b64 s[84:85], s[0:1]
	s_cbranch_execz .LBB25_210
; %bb.133:                              ;   in Loop: Header=BB25_12 Depth=1
	v_add_u32_e32 v3, s90, v200
	v_or_b32_e32 v2, s65, v110
	v_cmp_gt_i32_e64 s[10:11], s36, v3
	v_cmp_gt_i32_e32 vcc, s88, v2
	s_and_b64 s[14:15], s[10:11], vcc
	v_mov_b32_e32 v2, 0x47
	s_and_saveexec_b64 s[10:11], s[14:15]
	s_cbranch_execz .LBB25_135
; %bb.134:                              ;   in Loop: Header=BB25_12 Depth=1
	v_mad_u64_u32 v[2:3], s[14:15], v3, s37, v[110:111]
	v_add_u32_e32 v3, 0, v162
	ds_read2st64_b32 v[4:5], v3 offset0:1 offset1:18
	v_add_u32_e32 v3, v182, v162
	ds_read2st64_b32 v[6:7], v3 offset1:17
	v_lshl_add_u32 v2, v2, 6, v46
	v_ashrrev_i32_e32 v3, 31, v2
	v_lshl_add_u64 v[2:3], v[2:3], 3, s[74:75]
	s_waitcnt lgkmcnt(0)
	v_cvt_f32_f16_e32 v8, v6
	v_cvt_f32_f16_sdwa v9, v6 dst_sel:DWORD dst_unused:UNUSED_PAD src0_sel:WORD_1
	v_cvt_f32_f16_e32 v6, v7
	v_cvt_f32_f16_sdwa v7, v7 dst_sel:DWORD dst_unused:UNUSED_PAD src0_sel:WORD_1
	v_pk_fma_f32 v[8:9], v[4:5], v[8:9], 0 op_sel_hi:[0,1,0]
	v_mov_b32_e32 v4, v5
	v_pk_fma_f32 v[4:5], v[4:5], v[6:7], v[8:9] op_sel_hi:[0,1,1]
	global_store_dwordx2 v[2:3], v[4:5], off
	v_mov_b32_e32 v2, 0
.LBB25_135:                             ;   in Loop: Header=BB25_12 Depth=1
	s_or_b64 exec, exec, s[10:11]
	s_movk_i32 s10, 0x47
	v_cmp_gt_i32_e64 s[10:11], s10, v2
	s_mov_b64 s[14:15], -1
	s_and_saveexec_b64 s[86:87], s[10:11]
; %bb.136:                              ;   in Loop: Header=BB25_12 Depth=1
	v_cmp_eq_u32_e64 s[10:11], 0, v2
	s_orn2_b64 s[14:15], s[10:11], exec
; %bb.137:                              ;   in Loop: Header=BB25_12 Depth=1
	s_or_b64 exec, exec, s[86:87]
	s_and_b64 exec, exec, s[14:15]
	s_cbranch_execz .LBB25_210
; %bb.138:                              ;   in Loop: Header=BB25_12 Depth=1
	v_add_u32_e32 v3, s90, v201
	v_or_b32_e32 v2, s65, v74
	v_cmp_gt_i32_e64 s[10:11], s36, v3
	v_cmp_gt_i32_e64 s[14:15], s88, v2
	s_and_b64 s[14:15], s[10:11], s[14:15]
	v_mov_b32_e32 v2, 0x47
	s_and_saveexec_b64 s[10:11], s[14:15]
	s_cbranch_execz .LBB25_140
; %bb.139:                              ;   in Loop: Header=BB25_12 Depth=1
	v_mad_u64_u32 v[2:3], s[14:15], v3, s37, v[74:75]
	v_add_u32_e32 v3, 0, v163
	ds_read2st64_b32 v[4:5], v3 offset0:1 offset1:18
	v_add_u32_e32 v3, v182, v163
	ds_read2st64_b32 v[6:7], v3 offset1:17
	v_lshl_add_u32 v2, v2, 6, v46
	v_ashrrev_i32_e32 v3, 31, v2
	v_lshl_add_u64 v[2:3], v[2:3], 3, s[74:75]
	s_waitcnt lgkmcnt(0)
	v_cvt_f32_f16_e32 v8, v6
	v_cvt_f32_f16_sdwa v9, v6 dst_sel:DWORD dst_unused:UNUSED_PAD src0_sel:WORD_1
	v_cvt_f32_f16_e32 v6, v7
	v_cvt_f32_f16_sdwa v7, v7 dst_sel:DWORD dst_unused:UNUSED_PAD src0_sel:WORD_1
	v_pk_fma_f32 v[8:9], v[4:5], v[8:9], 0 op_sel_hi:[0,1,0]
	v_mov_b32_e32 v4, v5
	v_pk_fma_f32 v[4:5], v[4:5], v[6:7], v[8:9] op_sel_hi:[0,1,1]
	global_store_dwordx2 v[2:3], v[4:5], off
	v_mov_b32_e32 v2, 0
.LBB25_140:                             ;   in Loop: Header=BB25_12 Depth=1
	s_or_b64 exec, exec, s[10:11]
	s_movk_i32 s10, 0x47
	v_cmp_gt_i32_e64 s[10:11], s10, v2
	s_mov_b64 s[14:15], -1
	s_and_saveexec_b64 s[86:87], s[10:11]
; %bb.141:                              ;   in Loop: Header=BB25_12 Depth=1
	v_cmp_eq_u32_e64 s[10:11], 0, v2
	s_orn2_b64 s[14:15], s[10:11], exec
; %bb.142:                              ;   in Loop: Header=BB25_12 Depth=1
	s_or_b64 exec, exec, s[86:87]
	s_and_b64 exec, exec, s[14:15]
	s_cbranch_execz .LBB25_210
; %bb.143:                              ;   in Loop: Header=BB25_12 Depth=1
	v_add_u32_e32 v3, s90, v202
	v_or_b32_e32 v2, s65, v76
	v_cmp_gt_i32_e64 s[10:11], s36, v3
	v_cmp_gt_i32_e64 s[14:15], s88, v2
	s_and_b64 s[14:15], s[10:11], s[14:15]
	;; [unrolled: 41-line block ×3, first 2 shown]
	v_mov_b32_e32 v2, 0x47
	s_and_saveexec_b64 s[10:11], s[14:15]
	s_cbranch_execz .LBB25_150
; %bb.149:                              ;   in Loop: Header=BB25_12 Depth=1
	v_mad_u64_u32 v[2:3], s[14:15], v3, s37, v[78:79]
	v_add_u32_e32 v3, 0, v165
	ds_read2st64_b32 v[4:5], v3 offset0:1 offset1:18
	v_add_u32_e32 v3, v182, v165
	ds_read2st64_b32 v[6:7], v3 offset1:17
	v_lshl_add_u32 v2, v2, 6, v46
	v_ashrrev_i32_e32 v3, 31, v2
	v_lshl_add_u64 v[2:3], v[2:3], 3, s[74:75]
	s_waitcnt lgkmcnt(0)
	v_cvt_f32_f16_e32 v8, v6
	v_cvt_f32_f16_sdwa v9, v6 dst_sel:DWORD dst_unused:UNUSED_PAD src0_sel:WORD_1
	v_cvt_f32_f16_e32 v6, v7
	v_cvt_f32_f16_sdwa v7, v7 dst_sel:DWORD dst_unused:UNUSED_PAD src0_sel:WORD_1
	v_pk_fma_f32 v[8:9], v[4:5], v[8:9], 0 op_sel_hi:[0,1,0]
	v_mov_b32_e32 v4, v5
	v_pk_fma_f32 v[4:5], v[4:5], v[6:7], v[8:9] op_sel_hi:[0,1,1]
	global_store_dwordx2 v[2:3], v[4:5], off
	v_mov_b32_e32 v2, 0
.LBB25_150:                             ;   in Loop: Header=BB25_12 Depth=1
	s_or_b64 exec, exec, s[10:11]
	s_movk_i32 s10, 0x47
	v_cmp_gt_i32_e64 s[10:11], s10, v2
	s_mov_b64 s[14:15], -1
	s_and_saveexec_b64 s[86:87], s[10:11]
; %bb.151:                              ;   in Loop: Header=BB25_12 Depth=1
	v_cmp_eq_u32_e64 s[10:11], 0, v2
	s_orn2_b64 s[14:15], s[10:11], exec
; %bb.152:                              ;   in Loop: Header=BB25_12 Depth=1
	s_or_b64 exec, exec, s[86:87]
	s_and_b64 exec, exec, s[14:15]
	s_cbranch_execz .LBB25_210
; %bb.153:                              ;   in Loop: Header=BB25_12 Depth=1
	v_add_u32_e32 v3, s90, v166
	v_cmp_gt_i32_e64 s[10:11], s36, v3
	s_and_b64 s[14:15], s[10:11], vcc
	v_mov_b32_e32 v2, 0x47
	s_and_saveexec_b64 s[10:11], s[14:15]
	s_cbranch_execz .LBB25_155
; %bb.154:                              ;   in Loop: Header=BB25_12 Depth=1
	v_mad_u64_u32 v[2:3], s[14:15], v3, s37, v[110:111]
	v_add_u32_e32 v3, 0, v167
	ds_read2st64_b32 v[4:5], v3 offset0:1 offset1:18
	v_add_u32_e32 v3, v182, v167
	ds_read2st64_b32 v[6:7], v3 offset1:17
	v_lshl_add_u32 v2, v2, 6, v46
	v_ashrrev_i32_e32 v3, 31, v2
	v_lshl_add_u64 v[2:3], v[2:3], 3, s[74:75]
	s_waitcnt lgkmcnt(0)
	v_cvt_f32_f16_e32 v8, v6
	v_cvt_f32_f16_sdwa v9, v6 dst_sel:DWORD dst_unused:UNUSED_PAD src0_sel:WORD_1
	v_cvt_f32_f16_e32 v6, v7
	v_cvt_f32_f16_sdwa v7, v7 dst_sel:DWORD dst_unused:UNUSED_PAD src0_sel:WORD_1
	v_pk_fma_f32 v[8:9], v[4:5], v[8:9], 0 op_sel_hi:[0,1,0]
	v_mov_b32_e32 v4, v5
	v_pk_fma_f32 v[4:5], v[4:5], v[6:7], v[8:9] op_sel_hi:[0,1,1]
	global_store_dwordx2 v[2:3], v[4:5], off
	v_mov_b32_e32 v2, 0
.LBB25_155:                             ;   in Loop: Header=BB25_12 Depth=1
	s_or_b64 exec, exec, s[10:11]
	s_movk_i32 s10, 0x47
	v_cmp_gt_i32_e64 s[10:11], s10, v2
	s_mov_b64 s[14:15], -1
	s_and_saveexec_b64 s[86:87], s[10:11]
; %bb.156:                              ;   in Loop: Header=BB25_12 Depth=1
	v_cmp_eq_u32_e64 s[10:11], 0, v2
	s_orn2_b64 s[14:15], s[10:11], exec
; %bb.157:                              ;   in Loop: Header=BB25_12 Depth=1
	s_or_b64 exec, exec, s[86:87]
	s_and_b64 exec, exec, s[14:15]
	s_cbranch_execz .LBB25_210
; %bb.158:                              ;   in Loop: Header=BB25_12 Depth=1
	v_add_u32_e32 v3, s90, v204
	v_or_b32_e32 v2, s65, v80
	v_cmp_gt_i32_e64 s[10:11], s36, v3
	v_cmp_gt_i32_e64 s[14:15], s88, v2
	s_and_b64 s[14:15], s[10:11], s[14:15]
	v_mov_b32_e32 v2, 0x47
	s_and_saveexec_b64 s[10:11], s[14:15]
	s_cbranch_execz .LBB25_160
; %bb.159:                              ;   in Loop: Header=BB25_12 Depth=1
	v_mad_u64_u32 v[2:3], s[14:15], v3, s37, v[80:81]
	v_add_u32_e32 v3, 0, v168
	ds_read2st64_b32 v[4:5], v3 offset0:1 offset1:18
	v_add_u32_e32 v3, v182, v168
	ds_read2st64_b32 v[6:7], v3 offset1:17
	v_lshl_add_u32 v2, v2, 6, v46
	v_ashrrev_i32_e32 v3, 31, v2
	v_lshl_add_u64 v[2:3], v[2:3], 3, s[74:75]
	s_waitcnt lgkmcnt(0)
	v_cvt_f32_f16_e32 v8, v6
	v_cvt_f32_f16_sdwa v9, v6 dst_sel:DWORD dst_unused:UNUSED_PAD src0_sel:WORD_1
	v_cvt_f32_f16_e32 v6, v7
	v_cvt_f32_f16_sdwa v7, v7 dst_sel:DWORD dst_unused:UNUSED_PAD src0_sel:WORD_1
	v_pk_fma_f32 v[8:9], v[4:5], v[8:9], 0 op_sel_hi:[0,1,0]
	v_mov_b32_e32 v4, v5
	v_pk_fma_f32 v[4:5], v[4:5], v[6:7], v[8:9] op_sel_hi:[0,1,1]
	global_store_dwordx2 v[2:3], v[4:5], off
	v_mov_b32_e32 v2, 0
.LBB25_160:                             ;   in Loop: Header=BB25_12 Depth=1
	s_or_b64 exec, exec, s[10:11]
	s_movk_i32 s10, 0x47
	v_cmp_gt_i32_e64 s[10:11], s10, v2
	s_mov_b64 s[14:15], -1
	s_and_saveexec_b64 s[86:87], s[10:11]
; %bb.161:                              ;   in Loop: Header=BB25_12 Depth=1
	v_cmp_eq_u32_e64 s[10:11], 0, v2
	s_orn2_b64 s[14:15], s[10:11], exec
; %bb.162:                              ;   in Loop: Header=BB25_12 Depth=1
	s_or_b64 exec, exec, s[86:87]
	s_and_b64 exec, exec, s[14:15]
	s_cbranch_execz .LBB25_210
; %bb.163:                              ;   in Loop: Header=BB25_12 Depth=1
	v_add_u32_e32 v3, s90, v205
	v_or_b32_e32 v2, s65, v82
	v_cmp_gt_i32_e64 s[10:11], s36, v3
	v_cmp_gt_i32_e64 s[14:15], s88, v2
	s_and_b64 s[14:15], s[10:11], s[14:15]
	;; [unrolled: 41-line block ×3, first 2 shown]
	v_mov_b32_e32 v2, 0x47
	s_and_saveexec_b64 s[10:11], s[14:15]
	s_cbranch_execz .LBB25_170
; %bb.169:                              ;   in Loop: Header=BB25_12 Depth=1
	v_mad_u64_u32 v[2:3], s[14:15], v3, s37, v[84:85]
	v_add_u32_e32 v3, 0, v170
	ds_read2st64_b32 v[4:5], v3 offset0:1 offset1:18
	v_add_u32_e32 v3, v182, v170
	ds_read2st64_b32 v[6:7], v3 offset1:17
	v_lshl_add_u32 v2, v2, 6, v46
	v_ashrrev_i32_e32 v3, 31, v2
	v_lshl_add_u64 v[2:3], v[2:3], 3, s[74:75]
	s_waitcnt lgkmcnt(0)
	v_cvt_f32_f16_e32 v8, v6
	v_cvt_f32_f16_sdwa v9, v6 dst_sel:DWORD dst_unused:UNUSED_PAD src0_sel:WORD_1
	v_cvt_f32_f16_e32 v6, v7
	v_cvt_f32_f16_sdwa v7, v7 dst_sel:DWORD dst_unused:UNUSED_PAD src0_sel:WORD_1
	v_pk_fma_f32 v[8:9], v[4:5], v[8:9], 0 op_sel_hi:[0,1,0]
	v_mov_b32_e32 v4, v5
	v_pk_fma_f32 v[4:5], v[4:5], v[6:7], v[8:9] op_sel_hi:[0,1,1]
	global_store_dwordx2 v[2:3], v[4:5], off
	v_mov_b32_e32 v2, 0
.LBB25_170:                             ;   in Loop: Header=BB25_12 Depth=1
	s_or_b64 exec, exec, s[10:11]
	s_movk_i32 s10, 0x47
	v_cmp_gt_i32_e64 s[10:11], s10, v2
	s_mov_b64 s[14:15], -1
	s_and_saveexec_b64 s[86:87], s[10:11]
; %bb.171:                              ;   in Loop: Header=BB25_12 Depth=1
	v_cmp_eq_u32_e64 s[10:11], 0, v2
	s_orn2_b64 s[14:15], s[10:11], exec
; %bb.172:                              ;   in Loop: Header=BB25_12 Depth=1
	s_or_b64 exec, exec, s[86:87]
	s_and_b64 exec, exec, s[14:15]
	s_cbranch_execz .LBB25_210
; %bb.173:                              ;   in Loop: Header=BB25_12 Depth=1
	v_add_u32_e32 v3, s90, v171
	v_cmp_gt_i32_e64 s[10:11], s36, v3
	s_and_b64 s[14:15], s[10:11], vcc
	v_mov_b32_e32 v2, 0x47
	s_and_saveexec_b64 s[10:11], s[14:15]
	s_cbranch_execz .LBB25_175
; %bb.174:                              ;   in Loop: Header=BB25_12 Depth=1
	v_mad_u64_u32 v[2:3], s[14:15], v3, s37, v[110:111]
	v_add_u32_e32 v3, 0, v172
	ds_read2st64_b32 v[4:5], v3 offset0:1 offset1:18
	v_add_u32_e32 v3, v182, v172
	ds_read2st64_b32 v[6:7], v3 offset1:17
	v_lshl_add_u32 v2, v2, 6, v46
	v_ashrrev_i32_e32 v3, 31, v2
	v_lshl_add_u64 v[2:3], v[2:3], 3, s[74:75]
	s_waitcnt lgkmcnt(0)
	v_cvt_f32_f16_e32 v8, v6
	v_cvt_f32_f16_sdwa v9, v6 dst_sel:DWORD dst_unused:UNUSED_PAD src0_sel:WORD_1
	v_cvt_f32_f16_e32 v6, v7
	v_cvt_f32_f16_sdwa v7, v7 dst_sel:DWORD dst_unused:UNUSED_PAD src0_sel:WORD_1
	v_pk_fma_f32 v[8:9], v[4:5], v[8:9], 0 op_sel_hi:[0,1,0]
	v_mov_b32_e32 v4, v5
	v_pk_fma_f32 v[4:5], v[4:5], v[6:7], v[8:9] op_sel_hi:[0,1,1]
	global_store_dwordx2 v[2:3], v[4:5], off
	v_mov_b32_e32 v2, 0
.LBB25_175:                             ;   in Loop: Header=BB25_12 Depth=1
	s_or_b64 exec, exec, s[10:11]
	s_movk_i32 s10, 0x47
	v_cmp_gt_i32_e64 s[10:11], s10, v2
	s_mov_b64 s[14:15], -1
	s_and_saveexec_b64 s[86:87], s[10:11]
; %bb.176:                              ;   in Loop: Header=BB25_12 Depth=1
	v_cmp_eq_u32_e64 s[10:11], 0, v2
	s_orn2_b64 s[14:15], s[10:11], exec
; %bb.177:                              ;   in Loop: Header=BB25_12 Depth=1
	s_or_b64 exec, exec, s[86:87]
	s_and_b64 exec, exec, s[14:15]
	s_cbranch_execz .LBB25_210
; %bb.178:                              ;   in Loop: Header=BB25_12 Depth=1
	v_add_u32_e32 v3, s90, v207
	v_or_b32_e32 v2, s65, v86
	v_cmp_gt_i32_e64 s[10:11], s36, v3
	v_cmp_gt_i32_e64 s[14:15], s88, v2
	s_and_b64 s[14:15], s[10:11], s[14:15]
	v_mov_b32_e32 v2, 0x47
	s_and_saveexec_b64 s[10:11], s[14:15]
	s_cbranch_execz .LBB25_180
; %bb.179:                              ;   in Loop: Header=BB25_12 Depth=1
	v_mad_u64_u32 v[2:3], s[14:15], v3, s37, v[86:87]
	v_add_u32_e32 v3, 0, v173
	ds_read2st64_b32 v[4:5], v3 offset0:1 offset1:18
	v_add_u32_e32 v3, v182, v173
	ds_read2st64_b32 v[6:7], v3 offset1:17
	v_lshl_add_u32 v2, v2, 6, v46
	v_ashrrev_i32_e32 v3, 31, v2
	v_lshl_add_u64 v[2:3], v[2:3], 3, s[74:75]
	s_waitcnt lgkmcnt(0)
	v_cvt_f32_f16_e32 v8, v6
	v_cvt_f32_f16_sdwa v9, v6 dst_sel:DWORD dst_unused:UNUSED_PAD src0_sel:WORD_1
	v_cvt_f32_f16_e32 v6, v7
	v_cvt_f32_f16_sdwa v7, v7 dst_sel:DWORD dst_unused:UNUSED_PAD src0_sel:WORD_1
	v_pk_fma_f32 v[8:9], v[4:5], v[8:9], 0 op_sel_hi:[0,1,0]
	v_mov_b32_e32 v4, v5
	v_pk_fma_f32 v[4:5], v[4:5], v[6:7], v[8:9] op_sel_hi:[0,1,1]
	global_store_dwordx2 v[2:3], v[4:5], off
	v_mov_b32_e32 v2, 0
.LBB25_180:                             ;   in Loop: Header=BB25_12 Depth=1
	s_or_b64 exec, exec, s[10:11]
	s_movk_i32 s10, 0x47
	v_cmp_gt_i32_e64 s[10:11], s10, v2
	s_mov_b64 s[14:15], -1
	s_and_saveexec_b64 s[86:87], s[10:11]
; %bb.181:                              ;   in Loop: Header=BB25_12 Depth=1
	v_cmp_eq_u32_e64 s[10:11], 0, v2
	s_orn2_b64 s[14:15], s[10:11], exec
; %bb.182:                              ;   in Loop: Header=BB25_12 Depth=1
	s_or_b64 exec, exec, s[86:87]
	s_and_b64 exec, exec, s[14:15]
	s_cbranch_execz .LBB25_210
; %bb.183:                              ;   in Loop: Header=BB25_12 Depth=1
	v_add_u32_e32 v3, s90, v208
	v_or_b32_e32 v2, s65, v88
	v_cmp_gt_i32_e64 s[10:11], s36, v3
	v_cmp_gt_i32_e64 s[14:15], s88, v2
	s_and_b64 s[14:15], s[10:11], s[14:15]
	;; [unrolled: 41-line block ×3, first 2 shown]
	v_mov_b32_e32 v2, 0x47
	s_and_saveexec_b64 s[10:11], s[14:15]
	s_cbranch_execz .LBB25_190
; %bb.189:                              ;   in Loop: Header=BB25_12 Depth=1
	v_mad_u64_u32 v[2:3], s[14:15], v3, s37, v[90:91]
	v_add_u32_e32 v3, 0, v175
	ds_read2st64_b32 v[4:5], v3 offset0:1 offset1:18
	v_add_u32_e32 v3, v182, v175
	ds_read2st64_b32 v[6:7], v3 offset1:17
	v_lshl_add_u32 v2, v2, 6, v46
	v_ashrrev_i32_e32 v3, 31, v2
	v_lshl_add_u64 v[2:3], v[2:3], 3, s[74:75]
	s_waitcnt lgkmcnt(0)
	v_cvt_f32_f16_e32 v8, v6
	v_cvt_f32_f16_sdwa v9, v6 dst_sel:DWORD dst_unused:UNUSED_PAD src0_sel:WORD_1
	v_cvt_f32_f16_e32 v6, v7
	v_cvt_f32_f16_sdwa v7, v7 dst_sel:DWORD dst_unused:UNUSED_PAD src0_sel:WORD_1
	v_pk_fma_f32 v[8:9], v[4:5], v[8:9], 0 op_sel_hi:[0,1,0]
	v_mov_b32_e32 v4, v5
	v_pk_fma_f32 v[4:5], v[4:5], v[6:7], v[8:9] op_sel_hi:[0,1,1]
	global_store_dwordx2 v[2:3], v[4:5], off
	v_mov_b32_e32 v2, 0
.LBB25_190:                             ;   in Loop: Header=BB25_12 Depth=1
	s_or_b64 exec, exec, s[10:11]
	s_movk_i32 s10, 0x47
	v_cmp_gt_i32_e64 s[10:11], s10, v2
	s_mov_b64 s[14:15], -1
	s_and_saveexec_b64 s[86:87], s[10:11]
; %bb.191:                              ;   in Loop: Header=BB25_12 Depth=1
	v_cmp_eq_u32_e64 s[10:11], 0, v2
	s_orn2_b64 s[14:15], s[10:11], exec
; %bb.192:                              ;   in Loop: Header=BB25_12 Depth=1
	s_or_b64 exec, exec, s[86:87]
	s_and_b64 exec, exec, s[14:15]
	s_cbranch_execz .LBB25_210
; %bb.193:                              ;   in Loop: Header=BB25_12 Depth=1
	v_add_u32_e32 v3, s90, v176
	v_cmp_gt_i32_e64 s[10:11], s36, v3
	s_and_b64 s[14:15], s[10:11], vcc
	v_mov_b32_e32 v2, 0x47
	s_and_saveexec_b64 s[10:11], s[14:15]
	s_cbranch_execz .LBB25_195
; %bb.194:                              ;   in Loop: Header=BB25_12 Depth=1
	v_mad_u64_u32 v[2:3], s[14:15], v3, s37, v[110:111]
	v_add_u32_e32 v3, 0, v177
	ds_read2st64_b32 v[4:5], v3 offset0:1 offset1:18
	v_add_u32_e32 v3, v182, v177
	ds_read2st64_b32 v[6:7], v3 offset1:17
	v_lshl_add_u32 v2, v2, 6, v46
	v_ashrrev_i32_e32 v3, 31, v2
	v_lshl_add_u64 v[2:3], v[2:3], 3, s[74:75]
	s_waitcnt lgkmcnt(0)
	v_cvt_f32_f16_e32 v8, v6
	v_cvt_f32_f16_sdwa v9, v6 dst_sel:DWORD dst_unused:UNUSED_PAD src0_sel:WORD_1
	v_cvt_f32_f16_e32 v6, v7
	v_cvt_f32_f16_sdwa v7, v7 dst_sel:DWORD dst_unused:UNUSED_PAD src0_sel:WORD_1
	v_pk_fma_f32 v[8:9], v[4:5], v[8:9], 0 op_sel_hi:[0,1,0]
	v_mov_b32_e32 v4, v5
	v_pk_fma_f32 v[4:5], v[4:5], v[6:7], v[8:9] op_sel_hi:[0,1,1]
	global_store_dwordx2 v[2:3], v[4:5], off
	v_mov_b32_e32 v2, 0
.LBB25_195:                             ;   in Loop: Header=BB25_12 Depth=1
	s_or_b64 exec, exec, s[10:11]
	s_movk_i32 s10, 0x47
	v_cmp_gt_i32_e32 vcc, s10, v2
	s_mov_b64 s[10:11], -1
	s_and_saveexec_b64 s[14:15], vcc
; %bb.196:                              ;   in Loop: Header=BB25_12 Depth=1
	v_cmp_eq_u32_e32 vcc, 0, v2
	s_orn2_b64 s[10:11], vcc, exec
; %bb.197:                              ;   in Loop: Header=BB25_12 Depth=1
	s_or_b64 exec, exec, s[14:15]
	s_and_b64 exec, exec, s[10:11]
	s_cbranch_execz .LBB25_210
; %bb.198:                              ;   in Loop: Header=BB25_12 Depth=1
	v_add_u32_e32 v3, s90, v210
	v_or_b32_e32 v2, s65, v92
	v_cmp_gt_i32_e32 vcc, s36, v3
	v_cmp_gt_i32_e64 s[10:11], s88, v2
	s_and_b64 s[14:15], vcc, s[10:11]
	v_mov_b32_e32 v2, 0x47
	s_and_saveexec_b64 s[10:11], s[14:15]
	s_cbranch_execz .LBB25_200
; %bb.199:                              ;   in Loop: Header=BB25_12 Depth=1
	v_mad_u64_u32 v[2:3], s[14:15], v3, s37, v[92:93]
	v_add_u32_e32 v3, 0, v178
	ds_read2st64_b32 v[4:5], v3 offset0:1 offset1:18
	v_add_u32_e32 v3, v182, v178
	ds_read2st64_b32 v[6:7], v3 offset1:17
	v_lshl_add_u32 v2, v2, 6, v46
	v_ashrrev_i32_e32 v3, 31, v2
	v_lshl_add_u64 v[2:3], v[2:3], 3, s[74:75]
	s_waitcnt lgkmcnt(0)
	v_cvt_f32_f16_e32 v8, v6
	v_cvt_f32_f16_sdwa v9, v6 dst_sel:DWORD dst_unused:UNUSED_PAD src0_sel:WORD_1
	v_cvt_f32_f16_e32 v6, v7
	v_cvt_f32_f16_sdwa v7, v7 dst_sel:DWORD dst_unused:UNUSED_PAD src0_sel:WORD_1
	v_pk_fma_f32 v[8:9], v[4:5], v[8:9], 0 op_sel_hi:[0,1,0]
	v_mov_b32_e32 v4, v5
	v_pk_fma_f32 v[4:5], v[4:5], v[6:7], v[8:9] op_sel_hi:[0,1,1]
	global_store_dwordx2 v[2:3], v[4:5], off
	v_mov_b32_e32 v2, 0
.LBB25_200:                             ;   in Loop: Header=BB25_12 Depth=1
	s_or_b64 exec, exec, s[10:11]
	s_movk_i32 s10, 0x47
	v_cmp_gt_i32_e32 vcc, s10, v2
	s_mov_b64 s[10:11], -1
	s_and_saveexec_b64 s[14:15], vcc
; %bb.201:                              ;   in Loop: Header=BB25_12 Depth=1
	v_cmp_eq_u32_e32 vcc, 0, v2
	s_orn2_b64 s[10:11], vcc, exec
; %bb.202:                              ;   in Loop: Header=BB25_12 Depth=1
	s_or_b64 exec, exec, s[14:15]
	s_and_b64 exec, exec, s[10:11]
	s_cbranch_execz .LBB25_210
; %bb.203:                              ;   in Loop: Header=BB25_12 Depth=1
	v_add_u32_e32 v3, s90, v211
	v_or_b32_e32 v2, s65, v94
	v_cmp_gt_i32_e32 vcc, s36, v3
	v_cmp_gt_i32_e64 s[10:11], s88, v2
	s_and_b64 s[14:15], vcc, s[10:11]
	;; [unrolled: 41-line block ×3, first 2 shown]
	s_and_b64 exec, exec, s[10:11]
	s_cbranch_execz .LBB25_210
; %bb.209:                              ;   in Loop: Header=BB25_12 Depth=1
	v_mad_u64_u32 v[2:3], s[10:11], v2, s37, v[96:97]
	v_add_u32_e32 v3, 0, v180
	ds_read2st64_b32 v[4:5], v3 offset0:1 offset1:18
	v_add_u32_e32 v3, v182, v180
	ds_read2st64_b32 v[6:7], v3 offset1:17
	v_lshl_add_u32 v2, v2, 6, v46
	v_ashrrev_i32_e32 v3, 31, v2
	v_lshl_add_u64 v[2:3], v[2:3], 3, s[74:75]
	s_waitcnt lgkmcnt(0)
	v_cvt_f32_f16_e32 v8, v6
	v_cvt_f32_f16_sdwa v9, v6 dst_sel:DWORD dst_unused:UNUSED_PAD src0_sel:WORD_1
	v_cvt_f32_f16_e32 v6, v7
	v_cvt_f32_f16_sdwa v7, v7 dst_sel:DWORD dst_unused:UNUSED_PAD src0_sel:WORD_1
	v_pk_fma_f32 v[8:9], v[4:5], v[8:9], 0 op_sel_hi:[0,1,0]
	v_mov_b32_e32 v4, v5
	v_pk_fma_f32 v[4:5], v[4:5], v[6:7], v[8:9] op_sel_hi:[0,1,1]
	global_store_dwordx2 v[2:3], v[4:5], off
.LBB25_210:                             ;   in Loop: Header=BB25_12 Depth=1
	s_or_b64 exec, exec, s[84:85]
	s_barrier
	s_branch .LBB25_11
.LBB25_211:                             ;   in Loop: Header=BB25_12 Depth=1
	s_lshl_b32 s84, s13, 2
	v_add_u32_e32 v2, s84, v187
	v_cmp_le_i32_e64 s[10:11], s36, v2
	v_cmp_le_i32_e64 s[14:15], s88, v101
	v_cmp_gt_i32_e32 vcc, s88, v101
	s_or_b64 s[10:11], s[10:11], s[14:15]
	s_and_saveexec_b64 s[14:15], s[10:11]
	s_xor_b64 s[10:11], exec, s[14:15]
; %bb.212:                              ;   in Loop: Header=BB25_12 Depth=1
	v_add_u32_e32 v2, v182, v188
	ds_write_b32 v2, v51
                                        ; implicit-def: $vgpr2
; %bb.213:                              ;   in Loop: Header=BB25_12 Depth=1
	s_andn2_saveexec_b64 s[10:11], s[10:11]
	s_cbranch_execz .LBB25_215
; %bb.214:                              ;   in Loop: Header=BB25_12 Depth=1
	v_mad_u64_u32 v[2:3], s[14:15], v2, s57, v[100:101]
	v_ashrrev_i32_e32 v3, 31, v2
	v_lshl_add_u64 v[2:3], v[2:3], 3, s[82:83]
	global_load_dwordx2 v[2:3], v[2:3], off
	s_waitcnt vmcnt(0)
	v_cvt_pk_f16_f32 v2, v2, v3
	v_pk_mul_f16 v2, v2, v181
	v_add_u32_e32 v3, v182, v188
	ds_write_b32 v3, v2
.LBB25_215:                             ;   in Loop: Header=BB25_12 Depth=1
	s_or_b64 exec, exec, s[10:11]
	v_add_u32_e32 v2, s84, v189
	v_or_b32_e32 v3, s65, v190
	v_cmp_le_i32_e64 s[10:11], s36, v2
	v_cmp_le_i32_e64 s[14:15], s88, v3
	s_or_b64 s[10:11], s[10:11], s[14:15]
	s_and_saveexec_b64 s[14:15], s[10:11]
	s_xor_b64 s[10:11], exec, s[14:15]
; %bb.216:                              ;   in Loop: Header=BB25_12 Depth=1
	v_add_u32_e32 v2, v182, v188
	ds_write_b32 v2, v51 offset:1088
                                        ; implicit-def: $vgpr2
; %bb.217:                              ;   in Loop: Header=BB25_12 Depth=1
	s_andn2_saveexec_b64 s[10:11], s[10:11]
	s_cbranch_execz .LBB25_219
; %bb.218:                              ;   in Loop: Header=BB25_12 Depth=1
	v_mad_u64_u32 v[2:3], s[14:15], v2, s57, v[102:103]
	v_ashrrev_i32_e32 v3, 31, v2
	v_lshl_add_u64 v[2:3], v[2:3], 3, s[82:83]
	global_load_dwordx2 v[2:3], v[2:3], off
	s_waitcnt vmcnt(0)
	v_cvt_pk_f16_f32 v2, v2, v3
	v_pk_mul_f16 v2, v2, v181
	v_add_u32_e32 v3, v182, v188
	ds_write_b32 v3, v2 offset:1088
.LBB25_219:                             ;   in Loop: Header=BB25_12 Depth=1
	s_or_b64 exec, exec, s[10:11]
	v_add_u32_e32 v2, s84, v191
	v_cmp_le_i32_e64 s[10:11], s36, v2
	s_xor_b64 s[14:15], vcc, -1
	s_or_b64 s[10:11], s[10:11], s[14:15]
	s_and_saveexec_b64 s[86:87], s[10:11]
	s_xor_b64 s[10:11], exec, s[86:87]
; %bb.220:                              ;   in Loop: Header=BB25_12 Depth=1
	v_add_u32_e32 v2, v182, v188
	ds_write_b32 v2, v51 offset:2176
                                        ; implicit-def: $vgpr2
; %bb.221:                              ;   in Loop: Header=BB25_12 Depth=1
	s_andn2_saveexec_b64 s[10:11], s[10:11]
	s_cbranch_execz .LBB25_223
; %bb.222:                              ;   in Loop: Header=BB25_12 Depth=1
	v_mad_u64_u32 v[2:3], s[86:87], v2, s57, v[100:101]
	v_ashrrev_i32_e32 v3, 31, v2
	v_lshl_add_u64 v[2:3], v[2:3], 3, s[82:83]
	global_load_dwordx2 v[2:3], v[2:3], off
	s_waitcnt vmcnt(0)
	v_cvt_pk_f16_f32 v2, v2, v3
	v_pk_mul_f16 v2, v2, v181
	v_add_u32_e32 v3, v182, v188
	ds_write_b32 v3, v2 offset:2176
.LBB25_223:                             ;   in Loop: Header=BB25_12 Depth=1
	s_or_b64 exec, exec, s[10:11]
	v_add_u32_e32 v2, s84, v192
	v_or_b32_e32 v3, s65, v193
	v_cmp_le_i32_e32 vcc, s36, v2
	v_cmp_le_i32_e64 s[10:11], s88, v3
	s_or_b64 s[10:11], vcc, s[10:11]
	s_and_saveexec_b64 s[86:87], s[10:11]
	s_xor_b64 s[10:11], exec, s[86:87]
; %bb.224:                              ;   in Loop: Header=BB25_12 Depth=1
	v_add_u32_e32 v2, v182, v188
	ds_write_b32 v2, v51 offset:3264
                                        ; implicit-def: $vgpr2
; %bb.225:                              ;   in Loop: Header=BB25_12 Depth=1
	s_andn2_saveexec_b64 s[10:11], s[10:11]
	s_cbranch_execz .LBB25_227
; %bb.226:                              ;   in Loop: Header=BB25_12 Depth=1
	v_mad_u64_u32 v[2:3], s[86:87], v2, s57, v[104:105]
	v_ashrrev_i32_e32 v3, 31, v2
	v_lshl_add_u64 v[2:3], v[2:3], 3, s[82:83]
	global_load_dwordx2 v[2:3], v[2:3], off
	s_waitcnt vmcnt(0)
	v_cvt_pk_f16_f32 v2, v2, v3
	v_pk_mul_f16 v2, v2, v181
	v_add_u32_e32 v3, v182, v188
	ds_write_b32 v3, v2 offset:3264
.LBB25_227:                             ;   in Loop: Header=BB25_12 Depth=1
	s_or_b64 exec, exec, s[10:11]
	v_add_u32_e32 v2, s84, v194
	v_cmp_le_i32_e32 vcc, s36, v2
	s_or_b64 s[10:11], vcc, s[14:15]
	s_and_saveexec_b64 s[86:87], s[10:11]
	s_xor_b64 s[10:11], exec, s[86:87]
; %bb.228:                              ;   in Loop: Header=BB25_12 Depth=1
	v_add_u32_e32 v2, v182, v188
	ds_write_b32 v2, v51 offset:4352
                                        ; implicit-def: $vgpr2
; %bb.229:                              ;   in Loop: Header=BB25_12 Depth=1
	s_andn2_saveexec_b64 s[10:11], s[10:11]
	s_cbranch_execz .LBB25_231
; %bb.230:                              ;   in Loop: Header=BB25_12 Depth=1
	v_mad_u64_u32 v[2:3], s[86:87], v2, s57, v[100:101]
	v_ashrrev_i32_e32 v3, 31, v2
	v_lshl_add_u64 v[2:3], v[2:3], 3, s[82:83]
	global_load_dwordx2 v[2:3], v[2:3], off
	s_waitcnt vmcnt(0)
	v_cvt_pk_f16_f32 v2, v2, v3
	v_pk_mul_f16 v2, v2, v181
	v_add_u32_e32 v3, v182, v188
	ds_write_b32 v3, v2 offset:4352
.LBB25_231:                             ;   in Loop: Header=BB25_12 Depth=1
	s_or_b64 exec, exec, s[10:11]
	v_add_u32_e32 v2, s84, v195
	v_or_b32_e32 v3, s65, v196
	v_cmp_le_i32_e32 vcc, s36, v2
	v_cmp_le_i32_e64 s[10:11], s88, v3
	s_or_b64 s[10:11], vcc, s[10:11]
	s_and_saveexec_b64 s[86:87], s[10:11]
	s_xor_b64 s[10:11], exec, s[86:87]
; %bb.232:                              ;   in Loop: Header=BB25_12 Depth=1
	v_add_u32_e32 v2, v182, v188
	ds_write_b32 v2, v51 offset:5440
                                        ; implicit-def: $vgpr2
; %bb.233:                              ;   in Loop: Header=BB25_12 Depth=1
	s_andn2_saveexec_b64 s[10:11], s[10:11]
	s_cbranch_execz .LBB25_235
; %bb.234:                              ;   in Loop: Header=BB25_12 Depth=1
	v_mad_u64_u32 v[2:3], s[86:87], v2, s57, v[106:107]
	v_ashrrev_i32_e32 v3, 31, v2
	v_lshl_add_u64 v[2:3], v[2:3], 3, s[82:83]
	global_load_dwordx2 v[2:3], v[2:3], off
	s_waitcnt vmcnt(0)
	v_cvt_pk_f16_f32 v2, v2, v3
	v_pk_mul_f16 v2, v2, v181
	v_add_u32_e32 v3, v182, v188
	ds_write_b32 v3, v2 offset:5440
.LBB25_235:                             ;   in Loop: Header=BB25_12 Depth=1
	s_or_b64 exec, exec, s[10:11]
	v_add_u32_e32 v2, s84, v197
	v_cmp_le_i32_e32 vcc, s36, v2
	s_or_b64 s[10:11], vcc, s[14:15]
	s_and_saveexec_b64 s[14:15], s[10:11]
	s_xor_b64 s[10:11], exec, s[14:15]
; %bb.236:                              ;   in Loop: Header=BB25_12 Depth=1
	v_add_u32_e32 v2, v182, v188
	ds_write_b32 v2, v51 offset:6528
                                        ; implicit-def: $vgpr2
; %bb.237:                              ;   in Loop: Header=BB25_12 Depth=1
	s_andn2_saveexec_b64 s[10:11], s[10:11]
	s_cbranch_execz .LBB25_239
; %bb.238:                              ;   in Loop: Header=BB25_12 Depth=1
	v_mad_u64_u32 v[2:3], s[14:15], v2, s57, v[100:101]
	v_ashrrev_i32_e32 v3, 31, v2
	v_lshl_add_u64 v[2:3], v[2:3], 3, s[82:83]
	global_load_dwordx2 v[2:3], v[2:3], off
	s_waitcnt vmcnt(0)
	v_cvt_pk_f16_f32 v2, v2, v3
	v_pk_mul_f16 v2, v2, v181
	v_add_u32_e32 v3, v182, v188
	ds_write_b32 v3, v2 offset:6528
.LBB25_239:                             ;   in Loop: Header=BB25_12 Depth=1
	s_or_b64 exec, exec, s[10:11]
	v_add_u32_e32 v2, s84, v198
	v_or_b32_e32 v3, s65, v199
	v_cmp_le_i32_e32 vcc, s36, v2
	v_cmp_le_i32_e64 s[10:11], s88, v3
	s_or_b64 s[10:11], vcc, s[10:11]
	s_and_saveexec_b64 s[14:15], s[10:11]
	s_xor_b64 s[10:11], exec, s[14:15]
; %bb.240:                              ;   in Loop: Header=BB25_12 Depth=1
	v_add_u32_e32 v2, v182, v188
	ds_write_b32 v2, v51 offset:7616
                                        ; implicit-def: $vgpr2
; %bb.241:                              ;   in Loop: Header=BB25_12 Depth=1
	s_andn2_saveexec_b64 s[10:11], s[10:11]
	s_cbranch_execz .LBB25_243
; %bb.242:                              ;   in Loop: Header=BB25_12 Depth=1
	v_mad_u64_u32 v[2:3], s[14:15], v2, s57, v[108:109]
	v_ashrrev_i32_e32 v3, 31, v2
	v_lshl_add_u64 v[2:3], v[2:3], 3, s[82:83]
	global_load_dwordx2 v[2:3], v[2:3], off
	s_waitcnt vmcnt(0)
	v_cvt_pk_f16_f32 v2, v2, v3
	v_pk_mul_f16 v2, v2, v181
	v_add_u32_e32 v3, v182, v188
	ds_write_b32 v3, v2 offset:7616
.LBB25_243:                             ;   in Loop: Header=BB25_12 Depth=1
	s_or_b64 exec, exec, s[10:11]
	s_waitcnt lgkmcnt(0)
	s_barrier
	ds_read2_b64 v[14:17], v95 offset1:4
	ds_read2_b64 v[10:13], v95 offset0:8 offset1:12
	ds_read2_b64 v[6:9], v95 offset0:16 offset1:20
	;; [unrolled: 1-line block ×3, first 2 shown]
	s_cmp_lt_i32 s58, 2
	s_waitcnt lgkmcnt(0)
	s_barrier
	s_cbranch_scc1 .LBB25_280
; %bb.244:                              ;   in Loop: Header=BB25_12 Depth=1
	v_add_u32_e32 v18, s84, v97
	v_mul_hi_u32 v19, s44, v18
	v_add_u32_e32 v19, v18, v19
	v_lshrrev_b32_e32 v19, s45, v19
	v_mul_lo_u32 v19, v19, s36
	v_sub_u32_e32 v20, v18, v19
	v_and_b32_e32 v18, 64, v214
	v_add_u32_e32 v18, 64, v18
	v_xor_b32_e32 v19, 32, v214
	v_cmp_lt_i32_e32 vcc, v19, v18
	v_readlane_b32 s10, v224, 26
	v_readlane_b32 s11, v224, 27
	v_cndmask_b32_e32 v19, v214, v19, vcc
	v_lshlrev_b32_e32 v50, 2, v19
	v_xor_b32_e32 v19, 16, v214
	v_cmp_lt_i32_e32 vcc, v19, v18
	s_add_i32 s13, s58, -1
	v_mov_b32_e32 v109, 0
	v_cndmask_b32_e32 v18, v214, v19, vcc
	v_lshlrev_b32_e32 v105, 2, v18
	v_mov_b64_e32 v[18:19], s[80:81]
	v_mad_i64_i32 v[18:19], s[10:11], s10, v20, v[18:19]
	s_add_u32 s10, s42, s53
	s_addc_u32 s11, s62, s12
	v_lshl_add_u64 v[132:133], v[114:115], 0, s[10:11]
	v_lshl_add_u64 v[134:135], v[116:117], 0, s[10:11]
	;; [unrolled: 1-line block ×4, first 2 shown]
	s_add_u32 s10, s69, s61
	s_addc_u32 s11, s68, s2
	v_lshl_add_u64 v[130:131], v[112:113], 0, v[18:19]
	v_lshl_add_u64 v[140:141], v[122:123], 0, s[10:11]
	;; [unrolled: 1-line block ×5, first 2 shown]
	v_mov_b32_e32 v27, 0xfeffffff
	v_mov_b32_e32 v26, 0
	s_mov_b32 s2, s13
	v_mov_b32_e32 v107, 0
	v_mov_b32_e32 v43, 0
	;; [unrolled: 1-line block ×15, first 2 shown]
	s_and_saveexec_b64 s[10:11], s[4:5]
	s_cbranch_execz .LBB25_246
.LBB25_245:                             ;   in Loop: Header=BB25_12 Depth=1
	global_load_dword v18, v[130:131], off
	s_waitcnt vmcnt(0)
	ds_write_b32 v99, v18 offset:17408
.LBB25_246:                             ;   Parent Loop BB25_12 Depth=1
                                        ; =>  This Inner Loop Header: Depth=2
	s_or_b64 exec, exec, s[10:11]
	v_lshl_add_u64 v[18:19], v[140:141], 0, v[54:55]
	global_load_dwordx4 v[18:21], v[18:19], off
	v_lshl_add_u64 v[22:23], v[142:143], 0, v[54:55]
	v_lshl_add_u64 v[24:25], v[144:145], 0, v[54:55]
	;; [unrolled: 1-line block ×3, first 2 shown]
	v_add_u32_e32 v30, v183, v156
	s_waitcnt vmcnt(0)
	ds_write_b128 v154, v[18:21]
	global_load_dwordx4 v[18:21], v[22:23], off
	s_waitcnt vmcnt(0)
	ds_write_b128 v184, v[18:21]
	global_load_dwordx4 v[18:21], v[24:25], off
	;; [unrolled: 3-line block ×3, first 2 shown]
	s_waitcnt vmcnt(0)
	ds_write_b128 v186, v[18:21]
	s_waitcnt lgkmcnt(0)
	s_barrier
	ds_read2_b64 v[18:21], v30 offset1:4
	s_waitcnt lgkmcnt(0)
	v_mfma_f32_16x16x16_f16 v[22:25], v[18:19], v[14:15], 0
	v_mfma_f32_16x16x16_f16 v[18:21], v[20:21], v[16:17], v[22:25]
	s_nop 6
	ds_read2_b64 v[22:25], v30 offset0:8 offset1:12
	s_waitcnt lgkmcnt(0)
	v_mfma_f32_16x16x16_f16 v[18:21], v[22:23], v[10:11], v[18:21]
	v_mfma_f32_16x16x16_f16 v[18:21], v[24:25], v[12:13], v[18:21]
	ds_read2_b64 v[22:25], v30 offset0:16 offset1:20
	s_waitcnt lgkmcnt(0)
	v_mfma_f32_16x16x16_f16 v[18:21], v[22:23], v[6:7], v[18:21]
	v_mfma_f32_16x16x16_f16 v[18:21], v[24:25], v[8:9], v[18:21]
	ds_read2_b64 v[22:25], v30 offset0:24 offset1:28
	v_add_u32_e32 v30, 0x2000, v30
	s_waitcnt lgkmcnt(0)
	v_mfma_f32_16x16x16_f16 v[18:21], v[22:23], v[2:3], v[18:21]
	v_mfma_f32_16x16x16_f16 v[18:21], v[24:25], v[4:5], v[18:21]
	ds_read2_b64 v[22:25], v30 offset0:64 offset1:68
	s_waitcnt lgkmcnt(0)
	v_mfma_f32_16x16x16_f16 v[148:151], v[22:23], v[14:15], 0
	s_nop 4
	v_cmp_nlt_f32_e64 s[10:11], |v18|, s47
	v_mfma_f32_16x16x16_f16 v[22:25], v[24:25], v[16:17], v[148:151]
	s_nop 2
	ds_read2_b64 v[148:151], v30 offset0:72 offset1:76
	s_waitcnt lgkmcnt(0)
	v_mfma_f32_16x16x16_f16 v[22:25], v[148:149], v[10:11], v[22:25]
	v_mfma_f32_16x16x16_f16 v[22:25], v[150:151], v[12:13], v[22:25]
	ds_read2_b64 v[148:151], v30 offset0:80 offset1:84
	s_waitcnt lgkmcnt(0)
	v_mfma_f32_16x16x16_f16 v[22:25], v[148:149], v[6:7], v[22:25]
	v_mfma_f32_16x16x16_f16 v[22:25], v[150:151], v[8:9], v[22:25]
	ds_read2_b64 v[148:151], v30 offset0:88 offset1:92
	s_waitcnt lgkmcnt(0)
	s_barrier
	v_mfma_f32_16x16x16_f16 v[22:25], v[148:149], v[2:3], v[22:25]
                                        ; implicit-def: $vgpr30
	v_mfma_f32_16x16x16_f16 v[22:25], v[150:151], v[4:5], v[22:25]
	s_and_saveexec_b64 s[14:15], s[10:11]
	s_xor_b64 s[10:11], exec, s[14:15]
	s_cbranch_execz .LBB25_248
; %bb.247:                              ;   in Loop: Header=BB25_246 Depth=2
	v_add_f32_e64 v30, |v18|, |v18|
	v_mul_f32_e32 v41, 0x3fb8aa3b, v30
	v_rndne_f32_e32 v44, v41
	v_sub_f32_e32 v45, v41, v44
	v_fma_f32 v41, v30, s33, -v41
	v_fmac_f32_e32 v41, 0x32a5705f, v30
	v_add_f32_e32 v41, v45, v41
	v_cvt_i32_f32_e32 v44, v44
	v_exp_f32_e32 v41, v41
	v_cmp_ngt_f32_e32 vcc, s8, v30
	v_ldexp_f32 v41, v41, v44
	s_nop 0
	v_cndmask_b32_e32 v41, 0, v41, vcc
	v_cmp_nlt_f32_e32 vcc, s9, v30
	s_nop 1
	v_cndmask_b32_e32 v30, v215, v41, vcc
	v_add_f32_e32 v30, 1.0, v30
	v_rcp_f32_e32 v30, v30
	s_nop 0
	v_fma_f32 v30, v30, -2.0, 1.0
.LBB25_248:                             ;   in Loop: Header=BB25_246 Depth=2
	s_andn2_saveexec_b64 s[10:11], s[10:11]
; %bb.249:                              ;   in Loop: Header=BB25_246 Depth=2
	v_mul_f32_e32 v30, v18, v18
	v_fmamk_f32 v41, v30, 0xbbbac73d, v213
	v_fmaak_f32 v41, v30, v41, 0xbd5c1c4e
	v_fmaak_f32 v41, v30, v41, 0x3e088382
	;; [unrolled: 1-line block ×3, first 2 shown]
	v_mul_f32_e64 v41, |v18|, v41
	v_fma_f32 v30, v30, v41, |v18|
; %bb.250:                              ;   in Loop: Header=BB25_246 Depth=2
	s_or_b64 exec, exec, s[10:11]
	v_cmp_nlt_f32_e64 s[10:11], |v19|, s47
                                        ; implicit-def: $vgpr41
	s_and_saveexec_b64 s[14:15], s[10:11]
	s_xor_b64 s[10:11], exec, s[14:15]
	s_cbranch_execz .LBB25_252
; %bb.251:                              ;   in Loop: Header=BB25_246 Depth=2
	v_add_f32_e64 v41, |v19|, |v19|
	v_mul_f32_e32 v44, 0x3fb8aa3b, v41
	v_rndne_f32_e32 v45, v44
	v_sub_f32_e32 v101, v44, v45
	v_fma_f32 v44, v41, s33, -v44
	v_fmac_f32_e32 v44, 0x32a5705f, v41
	v_add_f32_e32 v44, v101, v44
	v_cvt_i32_f32_e32 v45, v45
	v_exp_f32_e32 v44, v44
	v_cmp_ngt_f32_e32 vcc, s8, v41
	v_ldexp_f32 v44, v44, v45
	s_nop 0
	v_cndmask_b32_e32 v44, 0, v44, vcc
	v_cmp_nlt_f32_e32 vcc, s9, v41
	s_nop 1
	v_cndmask_b32_e32 v41, v215, v44, vcc
	v_add_f32_e32 v41, 1.0, v41
	v_rcp_f32_e32 v41, v41
	s_nop 0
	v_fma_f32 v41, v41, -2.0, 1.0
.LBB25_252:                             ;   in Loop: Header=BB25_246 Depth=2
	s_andn2_saveexec_b64 s[10:11], s[10:11]
; %bb.253:                              ;   in Loop: Header=BB25_246 Depth=2
	v_mul_f32_e32 v41, v19, v19
	v_fmamk_f32 v44, v41, 0xbbbac73d, v213
	v_fmaak_f32 v44, v41, v44, 0xbd5c1c4e
	v_fmaak_f32 v44, v41, v44, 0x3e088382
	;; [unrolled: 1-line block ×3, first 2 shown]
	v_mul_f32_e64 v44, |v19|, v44
	v_fma_f32 v41, v41, v44, |v19|
; %bb.254:                              ;   in Loop: Header=BB25_246 Depth=2
	s_or_b64 exec, exec, s[10:11]
	v_cmp_nlt_f32_e64 s[10:11], |v20|, s47
                                        ; implicit-def: $vgpr44
	s_and_saveexec_b64 s[14:15], s[10:11]
	s_xor_b64 s[10:11], exec, s[14:15]
	s_cbranch_execz .LBB25_256
; %bb.255:                              ;   in Loop: Header=BB25_246 Depth=2
	v_add_f32_e64 v44, |v20|, |v20|
	v_mul_f32_e32 v45, 0x3fb8aa3b, v44
	v_rndne_f32_e32 v101, v45
	v_sub_f32_e32 v103, v45, v101
	v_fma_f32 v45, v44, s33, -v45
	v_fmac_f32_e32 v45, 0x32a5705f, v44
	v_add_f32_e32 v45, v103, v45
	v_cvt_i32_f32_e32 v101, v101
	v_exp_f32_e32 v45, v45
	v_cmp_ngt_f32_e32 vcc, s8, v44
	v_ldexp_f32 v45, v45, v101
	s_nop 0
	v_cndmask_b32_e32 v45, 0, v45, vcc
	v_cmp_nlt_f32_e32 vcc, s9, v44
	s_nop 1
	v_cndmask_b32_e32 v44, v215, v45, vcc
	v_add_f32_e32 v44, 1.0, v44
	v_rcp_f32_e32 v44, v44
	s_nop 0
	v_fma_f32 v44, v44, -2.0, 1.0
.LBB25_256:                             ;   in Loop: Header=BB25_246 Depth=2
	s_andn2_saveexec_b64 s[10:11], s[10:11]
; %bb.257:                              ;   in Loop: Header=BB25_246 Depth=2
	v_mul_f32_e32 v44, v20, v20
	v_fmamk_f32 v45, v44, 0xbbbac73d, v213
	v_fmaak_f32 v45, v44, v45, 0xbd5c1c4e
	v_fmaak_f32 v45, v44, v45, 0x3e088382
	;; [unrolled: 1-line block ×3, first 2 shown]
	v_mul_f32_e64 v45, |v20|, v45
	v_fma_f32 v44, v44, v45, |v20|
; %bb.258:                              ;   in Loop: Header=BB25_246 Depth=2
	s_or_b64 exec, exec, s[10:11]
	v_cmp_nlt_f32_e64 s[10:11], |v21|, s47
                                        ; implicit-def: $vgpr45
	s_and_saveexec_b64 s[14:15], s[10:11]
	s_xor_b64 s[10:11], exec, s[14:15]
	s_cbranch_execz .LBB25_260
; %bb.259:                              ;   in Loop: Header=BB25_246 Depth=2
	v_add_f32_e64 v45, |v21|, |v21|
	v_mul_f32_e32 v101, 0x3fb8aa3b, v45
	v_rndne_f32_e32 v103, v101
	v_sub_f32_e32 v148, v101, v103
	v_fma_f32 v101, v45, s33, -v101
	v_fmac_f32_e32 v101, 0x32a5705f, v45
	v_add_f32_e32 v101, v148, v101
	v_cvt_i32_f32_e32 v103, v103
	v_exp_f32_e32 v101, v101
	v_cmp_ngt_f32_e32 vcc, s8, v45
	v_ldexp_f32 v101, v101, v103
	s_nop 0
	v_cndmask_b32_e32 v101, 0, v101, vcc
	v_cmp_nlt_f32_e32 vcc, s9, v45
	s_nop 1
	v_cndmask_b32_e32 v45, v215, v101, vcc
	v_add_f32_e32 v45, 1.0, v45
	v_rcp_f32_e32 v45, v45
	s_nop 0
	v_fma_f32 v45, v45, -2.0, 1.0
.LBB25_260:                             ;   in Loop: Header=BB25_246 Depth=2
	s_andn2_saveexec_b64 s[10:11], s[10:11]
; %bb.261:                              ;   in Loop: Header=BB25_246 Depth=2
	v_mul_f32_e32 v45, v21, v21
	v_fmamk_f32 v101, v45, 0xbbbac73d, v213
	v_fmaak_f32 v101, v45, v101, 0xbd5c1c4e
	v_fmaak_f32 v101, v45, v101, 0x3e088382
	v_fmaak_f32 v101, v45, v101, 0xbeaaaa99
	v_mul_f32_e64 v101, |v21|, v101
	v_fma_f32 v45, v45, v101, |v21|
; %bb.262:                              ;   in Loop: Header=BB25_246 Depth=2
	s_or_b64 exec, exec, s[10:11]
	v_cmp_nlt_f32_e64 s[10:11], |v22|, s47
                                        ; implicit-def: $vgpr101
	s_and_saveexec_b64 s[14:15], s[10:11]
	s_xor_b64 s[10:11], exec, s[14:15]
	s_cbranch_execz .LBB25_264
; %bb.263:                              ;   in Loop: Header=BB25_246 Depth=2
	v_add_f32_e64 v101, |v22|, |v22|
	v_mul_f32_e32 v103, 0x3fb8aa3b, v101
	v_rndne_f32_e32 v148, v103
	v_sub_f32_e32 v149, v103, v148
	v_fma_f32 v103, v101, s33, -v103
	v_fmac_f32_e32 v103, 0x32a5705f, v101
	v_add_f32_e32 v103, v149, v103
	v_cvt_i32_f32_e32 v148, v148
	v_exp_f32_e32 v103, v103
	v_cmp_ngt_f32_e32 vcc, s8, v101
	v_ldexp_f32 v103, v103, v148
	s_nop 0
	v_cndmask_b32_e32 v103, 0, v103, vcc
	v_cmp_nlt_f32_e32 vcc, s9, v101
	s_nop 1
	v_cndmask_b32_e32 v101, v215, v103, vcc
	v_add_f32_e32 v101, 1.0, v101
	v_rcp_f32_e32 v101, v101
	s_nop 0
	v_fma_f32 v101, v101, -2.0, 1.0
.LBB25_264:                             ;   in Loop: Header=BB25_246 Depth=2
	s_andn2_saveexec_b64 s[10:11], s[10:11]
; %bb.265:                              ;   in Loop: Header=BB25_246 Depth=2
	v_mul_f32_e32 v101, v22, v22
	v_fmamk_f32 v103, v101, 0xbbbac73d, v213
	v_fmaak_f32 v103, v101, v103, 0xbd5c1c4e
	v_fmaak_f32 v103, v101, v103, 0x3e088382
	;; [unrolled: 1-line block ×3, first 2 shown]
	v_mul_f32_e64 v103, |v22|, v103
	v_fma_f32 v101, v101, v103, |v22|
; %bb.266:                              ;   in Loop: Header=BB25_246 Depth=2
	s_or_b64 exec, exec, s[10:11]
	v_cmp_nlt_f32_e64 s[10:11], |v23|, s47
                                        ; implicit-def: $vgpr103
	s_and_saveexec_b64 s[14:15], s[10:11]
	s_xor_b64 s[10:11], exec, s[14:15]
	s_cbranch_execz .LBB25_268
; %bb.267:                              ;   in Loop: Header=BB25_246 Depth=2
	v_add_f32_e64 v103, |v23|, |v23|
	v_mul_f32_e32 v148, 0x3fb8aa3b, v103
	v_rndne_f32_e32 v149, v148
	v_sub_f32_e32 v150, v148, v149
	v_fma_f32 v148, v103, s33, -v148
	v_fmac_f32_e32 v148, 0x32a5705f, v103
	v_add_f32_e32 v148, v150, v148
	v_cvt_i32_f32_e32 v149, v149
	v_exp_f32_e32 v148, v148
	v_cmp_ngt_f32_e32 vcc, s8, v103
	v_ldexp_f32 v148, v148, v149
	s_nop 0
	v_cndmask_b32_e32 v148, 0, v148, vcc
	v_cmp_nlt_f32_e32 vcc, s9, v103
	s_nop 1
	v_cndmask_b32_e32 v103, v215, v148, vcc
	v_add_f32_e32 v103, 1.0, v103
	v_rcp_f32_e32 v103, v103
	s_nop 0
	v_fma_f32 v103, v103, -2.0, 1.0
.LBB25_268:                             ;   in Loop: Header=BB25_246 Depth=2
	s_andn2_saveexec_b64 s[10:11], s[10:11]
; %bb.269:                              ;   in Loop: Header=BB25_246 Depth=2
	v_mul_f32_e32 v103, v23, v23
	v_fmamk_f32 v148, v103, 0xbbbac73d, v213
	v_fmaak_f32 v148, v103, v148, 0xbd5c1c4e
	v_fmaak_f32 v148, v103, v148, 0x3e088382
	;; [unrolled: 1-line block ×3, first 2 shown]
	v_mul_f32_e64 v148, |v23|, v148
	v_fma_f32 v103, v103, v148, |v23|
; %bb.270:                              ;   in Loop: Header=BB25_246 Depth=2
	s_or_b64 exec, exec, s[10:11]
	v_cmp_nlt_f32_e64 s[10:11], |v24|, s47
                                        ; implicit-def: $vgpr148
	s_and_saveexec_b64 s[14:15], s[10:11]
	s_xor_b64 s[10:11], exec, s[14:15]
	s_cbranch_execz .LBB25_272
; %bb.271:                              ;   in Loop: Header=BB25_246 Depth=2
	v_add_f32_e64 v148, |v24|, |v24|
	v_mul_f32_e32 v149, 0x3fb8aa3b, v148
	v_rndne_f32_e32 v150, v149
	v_sub_f32_e32 v151, v149, v150
	v_fma_f32 v149, v148, s33, -v149
	v_fmac_f32_e32 v149, 0x32a5705f, v148
	v_add_f32_e32 v149, v151, v149
	v_cvt_i32_f32_e32 v150, v150
	v_exp_f32_e32 v149, v149
	v_cmp_ngt_f32_e32 vcc, s8, v148
	v_ldexp_f32 v149, v149, v150
	s_nop 0
	v_cndmask_b32_e32 v149, 0, v149, vcc
	v_cmp_nlt_f32_e32 vcc, s9, v148
	s_nop 1
	v_cndmask_b32_e32 v148, v215, v149, vcc
	v_add_f32_e32 v148, 1.0, v148
	v_rcp_f32_e32 v148, v148
	s_nop 0
	v_fma_f32 v148, v148, -2.0, 1.0
.LBB25_272:                             ;   in Loop: Header=BB25_246 Depth=2
	s_andn2_saveexec_b64 s[10:11], s[10:11]
; %bb.273:                              ;   in Loop: Header=BB25_246 Depth=2
	v_mul_f32_e32 v148, v24, v24
	v_fmamk_f32 v149, v148, 0xbbbac73d, v213
	v_fmaak_f32 v149, v148, v149, 0xbd5c1c4e
	v_fmaak_f32 v149, v148, v149, 0x3e088382
	;; [unrolled: 1-line block ×3, first 2 shown]
	v_mul_f32_e64 v149, |v24|, v149
	v_fma_f32 v148, v148, v149, |v24|
; %bb.274:                              ;   in Loop: Header=BB25_246 Depth=2
	s_or_b64 exec, exec, s[10:11]
	v_cmp_nlt_f32_e64 s[10:11], |v25|, s47
                                        ; implicit-def: $vgpr149
	s_and_saveexec_b64 s[14:15], s[10:11]
	s_xor_b64 s[10:11], exec, s[14:15]
	s_cbranch_execz .LBB25_276
; %bb.275:                              ;   in Loop: Header=BB25_246 Depth=2
	v_add_f32_e64 v149, |v25|, |v25|
	v_mul_f32_e32 v150, 0x3fb8aa3b, v149
	v_rndne_f32_e32 v151, v150
	v_sub_f32_e32 v216, v150, v151
	v_fma_f32 v150, v149, s33, -v150
	v_fmac_f32_e32 v150, 0x32a5705f, v149
	v_add_f32_e32 v150, v216, v150
	v_cvt_i32_f32_e32 v151, v151
	v_exp_f32_e32 v150, v150
	v_cmp_ngt_f32_e32 vcc, s8, v149
	v_ldexp_f32 v150, v150, v151
	s_nop 0
	v_cndmask_b32_e32 v150, 0, v150, vcc
	v_cmp_nlt_f32_e32 vcc, s9, v149
	s_nop 1
	v_cndmask_b32_e32 v149, v215, v150, vcc
	v_add_f32_e32 v149, 1.0, v149
	v_rcp_f32_e32 v149, v149
	s_nop 0
	v_fma_f32 v149, v149, -2.0, 1.0
.LBB25_276:                             ;   in Loop: Header=BB25_246 Depth=2
	s_andn2_saveexec_b64 s[10:11], s[10:11]
; %bb.277:                              ;   in Loop: Header=BB25_246 Depth=2
	v_mul_f32_e32 v149, v25, v25
	v_fmamk_f32 v150, v149, 0xbbbac73d, v213
	v_fmaak_f32 v150, v149, v150, 0xbd5c1c4e
	v_fmaak_f32 v150, v149, v150, 0x3e088382
	;; [unrolled: 1-line block ×3, first 2 shown]
	v_mul_f32_e64 v150, |v25|, v150
	v_fma_f32 v149, v149, v150, |v25|
; %bb.278:                              ;   in Loop: Header=BB25_246 Depth=2
	s_or_b64 exec, exec, s[10:11]
	v_bfi_b32 v30, s89, v30, v18
	v_add_u32_e32 v18, 0x4400, v111
	v_bfi_b32 v41, s89, v41, v19
	ds_read2_b32 v[18:19], v18 offset1:1
	v_bfi_b32 v21, s89, v45, v21
	v_bfi_b32 v20, s89, v44, v20
	;; [unrolled: 1-line block ×4, first 2 shown]
	s_waitcnt lgkmcnt(0)
	v_fma_mix_f32 v20, s3, v20, v19 op_sel_hi:[0,0,1]
	v_fma_mix_f32 v19, s3, v21, v19 op_sel:[0,0,1] op_sel_hi:[0,0,1]
	ds_read_b32 v21, v157 offset:17408
	v_bfi_b32 v24, s89, v148, v24
	v_bfi_b32 v25, s89, v149, v25
	v_fma_mix_f32 v30, s3, v30, v18 op_sel_hi:[0,0,1]
	v_fma_mix_f32 v18, s3, v41, v18 op_sel:[0,0,1] op_sel_hi:[0,0,1]
	s_waitcnt lgkmcnt(0)
	v_fma_mix_f32 v44, s3, v22, v21 op_sel_hi:[0,0,1]
	ds_read_b32 v22, v158 offset:17408
	v_fma_mix_f32 v21, s3, v23, v21 op_sel:[0,0,1] op_sel_hi:[0,0,1]
	v_add_f32_e32 v23, 0x40051340, v18
	v_lshl_add_u64 v[150:151], v[136:137], 0, v[54:55]
	v_lshl_add_u64 v[216:217], v[138:139], 0, v[54:55]
	s_waitcnt lgkmcnt(0)
	v_fma_mix_f32 v103, s3, v24, v22 op_sel_hi:[0,0,1]
	v_fma_mix_f32 v25, s3, v25, v22 op_sel:[0,0,1] op_sel_hi:[0,0,1]
	v_add_f32_e32 v22, 0x40051340, v30
	v_max3_f32 v22, v27, v22, v23
	v_add_f32_e32 v23, 0x40051340, v20
	v_add_f32_e32 v24, 0x40051340, v19
	v_max3_f32 v22, v22, v23, v24
	v_add_f32_e32 v23, 0x40051340, v44
	;; [unrolled: 3-line block ×3, first 2 shown]
	v_add_f32_e32 v24, 0x40051340, v25
	v_max3_f32 v22, v22, v23, v24
	ds_bpermute_b32 v23, v50, v22
	s_add_i32 s2, s2, -1
	s_mov_b64 s[10:11], 0x80
	v_lshl_add_u64 v[130:131], v[130:131], 0, s[10:11]
	v_lshl_add_u64 v[136:137], v[136:137], 0, s[70:71]
	s_waitcnt lgkmcnt(0)
	v_max_f32_e32 v23, v23, v23
	v_max_f32_e32 v22, v22, v23
	ds_bpermute_b32 v23, v105, v22
	v_lshl_add_u64 v[138:139], v[138:139], 0, s[70:71]
	v_lshl_add_u64 v[140:141], v[140:141], 0, s[72:73]
	;; [unrolled: 1-line block ×4, first 2 shown]
	s_waitcnt lgkmcnt(0)
	v_max_f32_e32 v23, v23, v23
	v_max_f32_e32 v101, v22, v23
	v_sub_f32_e32 v22, v30, v101
	v_mul_f32_e32 v23, 0x3fb8aa3b, v22
	v_fma_f32 v24, v22, s33, -v23
	v_rndne_f32_e32 v30, v23
	v_fmac_f32_e32 v24, 0x32a5705f, v22
	v_sub_f32_e32 v23, v23, v30
	v_add_f32_e32 v23, v23, v24
	v_exp_f32_e32 v23, v23
	v_cvt_i32_f32_e32 v24, v30
	v_cmp_ngt_f32_e32 vcc, s8, v22
	v_sub_f32_e32 v18, v18, v101
	v_sub_f32_e32 v20, v20, v101
	v_ldexp_f32 v23, v23, v24
	v_cndmask_b32_e32 v23, 0, v23, vcc
	v_cmp_nlt_f32_e32 vcc, s9, v22
	v_sub_f32_e32 v19, v19, v101
	v_lshl_add_u64 v[146:147], v[146:147], 0, s[72:73]
	v_cndmask_b32_e32 v22, v215, v23, vcc
	v_mul_f32_e32 v23, 0x3fb8aa3b, v18
	v_fma_f32 v24, v18, s33, -v23
	v_rndne_f32_e32 v30, v23
	v_fmac_f32_e32 v24, 0x32a5705f, v18
	v_sub_f32_e32 v23, v23, v30
	v_add_f32_e32 v23, v23, v24
	v_exp_f32_e32 v23, v23
	v_cvt_i32_f32_e32 v24, v30
	v_cmp_ngt_f32_e32 vcc, s8, v18
	s_cmp_lg_u32 s2, 0
	v_ldexp_f32 v23, v23, v24
	v_mul_f32_e32 v24, 0x3fb8aa3b, v20
	v_fma_f32 v30, v20, s33, -v24
	v_rndne_f32_e32 v41, v24
	v_fmac_f32_e32 v30, 0x32a5705f, v20
	v_sub_f32_e32 v24, v24, v41
	v_add_f32_e32 v24, v24, v30
	v_exp_f32_e32 v24, v24
	v_cvt_i32_f32_e32 v30, v41
	v_cndmask_b32_e32 v23, 0, v23, vcc
	v_cmp_nlt_f32_e32 vcc, s9, v18
	v_ldexp_f32 v24, v24, v30
	s_nop 0
	v_cndmask_b32_e32 v23, v215, v23, vcc
	v_cmp_ngt_f32_e32 vcc, s8, v20
	v_add_f32_e32 v18, v22, v23
	s_nop 0
	v_cndmask_b32_e32 v24, 0, v24, vcc
	v_cmp_nlt_f32_e32 vcc, s9, v20
	v_mul_f32_e32 v20, 0x3fb8aa3b, v19
	v_fma_f32 v30, v19, s33, -v20
	v_rndne_f32_e32 v41, v20
	v_fmac_f32_e32 v30, 0x32a5705f, v19
	v_sub_f32_e32 v20, v20, v41
	v_add_f32_e32 v20, v20, v30
	v_exp_f32_e32 v20, v20
	v_cvt_i32_f32_e32 v30, v41
	v_cndmask_b32_e32 v24, v215, v24, vcc
	v_cmp_ngt_f32_e32 vcc, s8, v19
	v_add_f32_e32 v18, v24, v18
	v_ldexp_f32 v20, v20, v30
	v_cndmask_b32_e32 v20, 0, v20, vcc
	v_cmp_nlt_f32_e32 vcc, s9, v19
	v_sub_f32_e32 v19, v44, v101
	s_nop 0
	v_cndmask_b32_e32 v41, v215, v20, vcc
	v_mul_f32_e32 v20, 0x3fb8aa3b, v19
	v_fma_f32 v30, v19, s33, -v20
	v_rndne_f32_e32 v44, v20
	v_fmac_f32_e32 v30, 0x32a5705f, v19
	v_sub_f32_e32 v20, v20, v44
	v_add_f32_e32 v20, v20, v30
	v_exp_f32_e32 v20, v20
	v_cvt_i32_f32_e32 v30, v44
	v_cmp_ngt_f32_e32 vcc, s8, v19
	v_add_f32_e32 v18, v41, v18
	v_ldexp_f32 v20, v20, v30
	v_cndmask_b32_e32 v20, 0, v20, vcc
	v_cmp_nlt_f32_e32 vcc, s9, v19
	v_sub_f32_e32 v19, v21, v101
	s_nop 0
	v_cndmask_b32_e32 v44, v215, v20, vcc
	v_mul_f32_e32 v20, 0x3fb8aa3b, v19
	v_fma_f32 v21, v19, s33, -v20
	v_rndne_f32_e32 v30, v20
	v_fmac_f32_e32 v21, 0x32a5705f, v19
	v_sub_f32_e32 v20, v20, v30
	v_add_f32_e32 v20, v20, v21
	v_exp_f32_e32 v20, v20
	v_cvt_i32_f32_e32 v21, v30
	;; [unrolled: 16-line block ×4, first 2 shown]
	v_cmp_ngt_f32_e32 vcc, s8, v19
	v_add_f32_e32 v18, v148, v18
	v_ldexp_f32 v20, v20, v21
	v_cndmask_b32_e32 v20, 0, v20, vcc
	v_cmp_nlt_f32_e32 vcc, s9, v19
	s_nop 1
	v_cndmask_b32_e32 v149, v215, v20, vcc
	v_add_f32_e32 v103, v149, v18
	v_sub_f32_e32 v18, v27, v101
	v_mul_f32_e32 v19, 0x3fb8aa3b, v18
	v_fma_f32 v20, v18, s33, -v19
	v_rndne_f32_e32 v21, v19
	v_fmac_f32_e32 v20, 0x32a5705f, v18
	v_sub_f32_e32 v19, v19, v21
	v_add_f32_e32 v19, v19, v20
	v_exp_f32_e32 v19, v19
	v_cvt_i32_f32_e32 v20, v21
	v_cmp_ngt_f32_e32 vcc, s8, v18
	v_cvt_pk_f16_f32 v149, v148, v149
	v_cvt_pk_f16_f32 v148, v44, v45
	v_ldexp_f32 v19, v19, v20
	v_cndmask_b32_e32 v19, 0, v19, vcc
	v_cmp_nlt_f32_e32 vcc, s9, v18
	s_nop 1
	v_cndmask_b32_e32 v19, v215, v19, vcc
	v_cmp_le_f32_e32 vcc, s46, v18
	s_nop 1
	v_cndmask_b32_e32 v18, 0, v19, vcc
	v_fmac_f32_e32 v103, v26, v18
	v_cvt_f16_f32_e32 v18, v18
	v_mul_u32_u24_e32 v18, 0x10001, v18
	v_pk_mul_f16 v40, v40, v18
	v_pk_mul_f16 v37, v37, v18
	;; [unrolled: 1-line block ×16, first 2 shown]
	v_lshl_add_u64 v[18:19], v[132:133], 0, v[54:55]
	global_load_dwordx4 v[18:21], v[18:19], off
	v_lshl_add_u64 v[28:29], v[134:135], 0, v[54:55]
	v_cvt_f32_f16_e32 v218, v26
	v_cvt_f32_f16_sdwa v219, v26 dst_sel:DWORD dst_unused:UNUSED_PAD src0_sel:WORD_1
	v_lshl_add_u64 v[132:133], v[132:133], 0, s[70:71]
	v_lshl_add_u64 v[134:135], v[134:135], 0, s[70:71]
	s_waitcnt vmcnt(0)
	ds_write_b128 v154, v[18:21]
	global_load_dwordx4 v[18:21], v[28:29], off
	s_waitcnt vmcnt(0)
	ds_write_b128 v184, v[18:21]
	global_load_dwordx4 v[18:21], v[150:151], off
	v_cvt_pk_f16_f32 v151, v24, v41
	v_cvt_pk_f16_f32 v150, v22, v23
	s_waitcnt vmcnt(0)
	ds_write_b128 v185, v[18:21]
	global_load_dwordx4 v[18:21], v[216:217], off
	v_cvt_f32_f16_e32 v216, v27
	v_cvt_f32_f16_sdwa v217, v27 dst_sel:DWORD dst_unused:UNUSED_PAD src0_sel:WORD_1
	s_waitcnt vmcnt(0)
	ds_write_b128 v186, v[18:21]
	s_waitcnt lgkmcnt(0)
	s_barrier
	ds_read_u16 v28, v152 offset:272
	ds_read_u16 v29, v152 offset:544
	ds_read_u16 v31, v153
	ds_read_u16 v36, v153 offset:32
	v_cvt_f32_f16_e32 v20, v37
	v_cvt_f32_f16_sdwa v21, v37 dst_sel:DWORD dst_unused:UNUSED_PAD src0_sel:WORD_1
	v_cvt_f32_f16_e32 v18, v40
	s_waitcnt lgkmcnt(1)
	v_perm_b32 v29, v31, v29, s64
	ds_read_u16 v31, v152
	ds_read_u16 v37, v152 offset:32
	v_cvt_f32_f16_sdwa v19, v40 dst_sel:DWORD dst_unused:UNUSED_PAD src0_sel:WORD_1
	s_waitcnt lgkmcnt(1)
	v_perm_b32 v28, v28, v31, s64
	s_nop 1
	v_mfma_f32_16x16x16_f16 v[18:21], v[28:29], v[150:151], v[18:21]
	ds_read_u16 v22, v152 offset:8704
	ds_read_u16 v24, v152 offset:8976
	;; [unrolled: 1-line block ×4, first 2 shown]
	s_nop 3
	v_cvt_f16_f32_e32 v18, v18
	v_cvt_f16_f32_e32 v19, v19
	;; [unrolled: 1-line block ×4, first 2 shown]
	s_waitcnt lgkmcnt(0)
	v_perm_b32 v23, v28, v23, s64
	ds_read_u16 v28, v152 offset:304
	ds_read_u16 v29, v152 offset:576
	v_perm_b32 v22, v24, v22, s64
	v_cvt_f32_f16_e32 v18, v18
	v_cvt_f32_f16_e32 v19, v19
	;; [unrolled: 1-line block ×4, first 2 shown]
	s_waitcnt lgkmcnt(0)
	v_perm_b32 v29, v36, v29, s64
	v_perm_b32 v28, v28, v37, s64
	v_mfma_f32_16x16x16_f16 v[18:21], v[22:23], v[148:149], v[18:21]
	v_cvt_f32_f16_e32 v22, v33
	v_cvt_f32_f16_sdwa v23, v33 dst_sel:DWORD dst_unused:UNUSED_PAD src0_sel:WORD_1
	v_cvt_f32_f16_e32 v24, v25
	v_cvt_f32_f16_sdwa v25, v25 dst_sel:DWORD dst_unused:UNUSED_PAD src0_sel:WORD_1
	s_nop 1
	v_mfma_f32_16x16x16_f16 v[22:25], v[28:29], v[150:151], v[22:25]
	ds_read_u16 v28, v152 offset:8736
	ds_read_u16 v31, v152 offset:9008
	;; [unrolled: 1-line block ×4, first 2 shown]
	s_nop 3
	v_cvt_f16_f32_e32 v22, v22
	v_cvt_f16_f32_e32 v23, v23
	;; [unrolled: 1-line block ×4, first 2 shown]
	s_waitcnt lgkmcnt(0)
	v_perm_b32 v29, v33, v29, s64
	v_perm_b32 v28, v31, v28, s64
	v_cvt_f32_f16_e32 v22, v22
	v_cvt_f32_f16_e32 v23, v23
	;; [unrolled: 1-line block ×4, first 2 shown]
	s_nop 1
	v_mfma_f32_16x16x16_f16 v[22:25], v[28:29], v[148:149], v[22:25]
	ds_read_u16 v28, v152 offset:64
	ds_read_u16 v29, v152 offset:336
	;; [unrolled: 1-line block ×4, first 2 shown]
	s_waitcnt lgkmcnt(2)
	v_perm_b32 v26, v29, v28, s64
	s_waitcnt lgkmcnt(0)
	v_perm_b32 v27, v33, v31, s64
	ds_read_u16 v31, v152 offset:8768
	ds_read_u16 v33, v152 offset:9040
	;; [unrolled: 1-line block ×4, first 2 shown]
	v_mfma_f32_16x16x16_f16 v[26:29], v[26:27], v[150:151], v[216:219]
	s_waitcnt lgkmcnt(0)
	v_perm_b32 v37, v37, v36, s64
	v_perm_b32 v36, v33, v31, s64
	v_cvt_f32_f16_e32 v218, v30
	s_nop 3
	v_cvt_f16_f32_e32 v26, v26
	v_cvt_f16_f32_e32 v27, v27
	;; [unrolled: 1-line block ×4, first 2 shown]
	v_cvt_f32_f16_e32 v26, v26
	v_cvt_f32_f16_e32 v27, v27
	;; [unrolled: 1-line block ×4, first 2 shown]
	v_cvt_f32_f16_sdwa v219, v30 dst_sel:DWORD dst_unused:UNUSED_PAD src0_sel:WORD_1
	v_cvt_f32_f16_e32 v216, v32
	v_mfma_f32_16x16x16_f16 v[26:29], v[36:37], v[148:149], v[26:29]
	ds_read_u16 v33, v152 offset:96
	ds_read_u16 v36, v152 offset:368
	;; [unrolled: 1-line block ×4, first 2 shown]
	v_cvt_f32_f16_sdwa v217, v32 dst_sel:DWORD dst_unused:UNUSED_PAD src0_sel:WORD_1
	s_waitcnt lgkmcnt(2)
	v_perm_b32 v30, v36, v33, s64
	s_nop 0
	v_cvt_pk_f16_f32 v28, v28, v29
	s_waitcnt lgkmcnt(0)
	v_perm_b32 v31, v37, v31, s64
	ds_read_u16 v36, v152 offset:8800
	ds_read_u16 v40, v152 offset:9072
	;; [unrolled: 1-line block ×4, first 2 shown]
	v_mfma_f32_16x16x16_f16 v[30:33], v[30:31], v[150:151], v[216:219]
	s_waitcnt lgkmcnt(0)
	v_perm_b32 v37, v41, v37, s64
	v_perm_b32 v36, v40, v36, s64
	v_cvt_f32_f16_e32 v216, v35
	s_nop 3
	v_cvt_f16_f32_e32 v30, v30
	v_cvt_f16_f32_e32 v31, v31
	;; [unrolled: 1-line block ×4, first 2 shown]
	v_cvt_f32_f16_e32 v30, v30
	v_cvt_f32_f16_e32 v31, v31
	;; [unrolled: 1-line block ×4, first 2 shown]
	v_cvt_f32_f16_sdwa v217, v35 dst_sel:DWORD dst_unused:UNUSED_PAD src0_sel:WORD_1
	v_cvt_f32_f16_e32 v218, v34
	v_mfma_f32_16x16x16_f16 v[30:33], v[36:37], v[148:149], v[30:33]
	ds_read_u16 v36, v152 offset:128
	ds_read_u16 v37, v152 offset:400
	;; [unrolled: 1-line block ×4, first 2 shown]
	v_cvt_f32_f16_sdwa v219, v34 dst_sel:DWORD dst_unused:UNUSED_PAD src0_sel:WORD_1
	v_cvt_pk_f16_f32 v29, v24, v25
	s_waitcnt lgkmcnt(2)
	v_perm_b32 v34, v37, v36, s64
	s_waitcnt lgkmcnt(0)
	v_perm_b32 v35, v41, v40, s64
	ds_read_u16 v40, v152 offset:8832
	ds_read_u16 v44, v152 offset:9104
	;; [unrolled: 1-line block ×4, first 2 shown]
	v_mfma_f32_16x16x16_f16 v[34:37], v[34:35], v[150:151], v[216:219]
	s_waitcnt lgkmcnt(0)
	v_perm_b32 v41, v45, v41, s64
	v_perm_b32 v40, v44, v40, s64
	v_cvt_f32_f16_e32 v216, v39
	s_nop 3
	v_cvt_f16_f32_e32 v34, v34
	v_cvt_f16_f32_e32 v35, v35
	;; [unrolled: 1-line block ×4, first 2 shown]
	v_cvt_f32_f16_e32 v34, v34
	v_cvt_f32_f16_e32 v35, v35
	;; [unrolled: 1-line block ×4, first 2 shown]
	v_cvt_f32_f16_sdwa v217, v39 dst_sel:DWORD dst_unused:UNUSED_PAD src0_sel:WORD_1
	v_cvt_f32_f16_e32 v218, v38
	v_mfma_f32_16x16x16_f16 v[34:37], v[40:41], v[148:149], v[34:37]
	ds_read_u16 v40, v152 offset:160
	ds_read_u16 v41, v152 offset:432
	;; [unrolled: 1-line block ×4, first 2 shown]
	v_cvt_f32_f16_sdwa v219, v38 dst_sel:DWORD dst_unused:UNUSED_PAD src0_sel:WORD_1
	s_waitcnt lgkmcnt(2)
	v_perm_b32 v38, v41, v40, s64
	s_nop 0
	v_cvt_pk_f16_f32 v35, v34, v35
	s_waitcnt lgkmcnt(0)
	v_perm_b32 v39, v45, v44, s64
	v_cvt_pk_f16_f32 v34, v36, v37
	v_cvt_pk_f16_f32 v36, v30, v31
	v_mfma_f32_16x16x16_f16 v[38:41], v[38:39], v[150:151], v[216:219]
	ds_read_u16 v44, v152 offset:8864
	s_nop 1
	ds_read_u16 v216, v152 offset:9136
	ds_read_u16 v45, v152 offset:9408
	;; [unrolled: 1-line block ×3, first 2 shown]
	v_cvt_f32_f16_e32 v218, v42
	v_cvt_f32_f16_sdwa v219, v42 dst_sel:DWORD dst_unused:UNUSED_PAD src0_sel:WORD_1
	v_cvt_f16_f32_e32 v38, v38
	v_cvt_f16_f32_e32 v39, v39
	v_cvt_f16_f32_e32 v40, v40
	v_cvt_f16_f32_e32 v41, v41
	s_waitcnt lgkmcnt(0)
	v_perm_b32 v45, v217, v45, s64
	v_perm_b32 v44, v216, v44, s64
	v_cvt_f32_f16_e32 v38, v38
	v_cvt_f32_f16_e32 v39, v39
	;; [unrolled: 1-line block ×5, first 2 shown]
	v_cvt_f32_f16_sdwa v217, v43 dst_sel:DWORD dst_unused:UNUSED_PAD src0_sel:WORD_1
	v_mfma_f32_16x16x16_f16 v[38:41], v[44:45], v[148:149], v[38:41]
	ds_read_u16 v44, v152 offset:192
	ds_read_u16 v45, v152 offset:464
	;; [unrolled: 1-line block ×4, first 2 shown]
	v_cvt_pk_f16_f32 v31, v32, v33
	v_cvt_pk_f16_f32 v32, v26, v27
	s_waitcnt lgkmcnt(2)
	v_perm_b32 v42, v45, v44, s64
	v_cvt_pk_f16_f32 v39, v38, v39
	s_waitcnt lgkmcnt(0)
	v_perm_b32 v43, v221, v220, s64
	v_cvt_pk_f16_f32 v38, v40, v41
	v_cvt_pk_f16_f32 v33, v22, v23
	v_mfma_f32_16x16x16_f16 v[42:45], v[42:43], v[150:151], v[216:219]
	s_nop 2
	ds_read_u16 v216, v152 offset:8896
	ds_read_u16 v218, v152 offset:9168
	;; [unrolled: 1-line block ×8, first 2 shown]
	v_cvt_pk_f16_f32 v40, v18, v19
	v_cvt_f16_f32_e32 v42, v42
	v_cvt_f16_f32_e32 v43, v43
	;; [unrolled: 1-line block ×4, first 2 shown]
	s_waitcnt lgkmcnt(4)
	v_perm_b32 v217, v219, v217, s64
	v_perm_b32 v216, v218, v216, s64
	v_cvt_f32_f16_e32 v42, v42
	v_cvt_f32_f16_e32 v43, v43
	;; [unrolled: 1-line block ×4, first 2 shown]
	s_waitcnt lgkmcnt(0)
	v_perm_b32 v221, v223, v221, s64
	v_perm_b32 v220, v222, v220, s64
	v_mfma_f32_16x16x16_f16 v[42:45], v[216:217], v[148:149], v[42:45]
	v_cvt_f32_f16_e32 v216, v109
	v_cvt_f32_f16_sdwa v217, v109 dst_sel:DWORD dst_unused:UNUSED_PAD src0_sel:WORD_1
	v_cvt_f32_f16_e32 v218, v107
	v_cvt_f32_f16_sdwa v219, v107 dst_sel:DWORD dst_unused:UNUSED_PAD src0_sel:WORD_1
	s_nop 3
	v_cvt_pk_f16_f32 v43, v42, v43
	v_cvt_pk_f16_f32 v42, v44, v45
	v_mfma_f32_16x16x16_f16 v[216:219], v[220:221], v[150:151], v[216:219]
	v_cvt_pk_f16_f32 v37, v20, v21
	s_nop 6
	v_cvt_f16_f32_e32 v150, v216
	v_cvt_f16_f32_e32 v151, v217
	;; [unrolled: 1-line block ×4, first 2 shown]
	ds_read_u16 v107, v152 offset:8928
	ds_read_u16 v109, v152 offset:9200
	;; [unrolled: 1-line block ×4, first 2 shown]
	v_cvt_f32_f16_e32 v220, v150
	v_cvt_f32_f16_e32 v221, v151
	s_waitcnt lgkmcnt(2)
	v_perm_b32 v150, v109, v107, s64
	v_cvt_f32_f16_e32 v222, v216
	s_waitcnt lgkmcnt(0)
	v_perm_b32 v151, v219, v218, s64
	v_cvt_f32_f16_e32 v223, v217
	s_barrier
	s_nop 0
	v_mfma_f32_16x16x16_f16 v[148:151], v[150:151], v[148:149], v[220:223]
	s_nop 7
	v_cvt_pk_f16_f32 v109, v148, v149
	v_cvt_pk_f16_f32 v107, v150, v151
	s_cbranch_scc0 .LBB25_281
; %bb.279:                              ;   in Loop: Header=BB25_246 Depth=2
	v_mov_b32_e32 v26, v103
	v_mov_b32_e32 v27, v101
	s_and_saveexec_b64 s[10:11], s[4:5]
	s_cbranch_execnz .LBB25_245
	s_branch .LBB25_246
.LBB25_280:                             ;   in Loop: Header=BB25_12 Depth=1
	v_mov_b32_e32 v101, 0xfeffffff
	v_mov_b32_e32 v103, 0
	s_mov_b64 s[10:11], 0
	v_mov_b32_e32 v37, 0
	v_mov_b32_e32 v40, 0
	v_mov_b32_e32 v29, 0
	v_mov_b32_e32 v33, 0
	v_mov_b32_e32 v28, 0
	v_mov_b32_e32 v32, 0
	v_mov_b32_e32 v31, 0
	v_mov_b32_e32 v36, 0
	v_mov_b32_e32 v34, 0
	v_mov_b32_e32 v35, 0
	v_mov_b32_e32 v38, 0
	v_mov_b32_e32 v39, 0
	v_mov_b32_e32 v42, 0
	v_mov_b32_e32 v43, 0
	v_mov_b32_e32 v107, 0
	v_mov_b32_e32 v109, 0
	s_and_saveexec_b64 s[14:15], s[4:5]
	s_cbranch_execnz .LBB25_282
	s_branch .LBB25_283
.LBB25_281:                             ;   in Loop: Header=BB25_12 Depth=1
	s_lshl_b32 s62, s13, 6
	s_mov_b64 s[10:11], s[62:63]
	s_and_saveexec_b64 s[14:15], s[4:5]
	s_cbranch_execz .LBB25_283
.LBB25_282:                             ;   in Loop: Header=BB25_12 Depth=1
	v_or_b32_e32 v18, s84, v97
	v_mul_hi_u32 v19, s44, v18
	v_add_u32_e32 v19, v18, v19
	v_lshrrev_b32_e32 v19, s45, v19
	s_lshl_b64 s[12:13], s[10:11], 1
	v_mul_lo_u32 v19, v19, s36
	v_readlane_b32 s68, v224, 24
	s_add_u32 s12, s78, s12
	v_sub_u32_e32 v18, v18, v19
	v_readlane_b32 s69, v224, 25
	s_addc_u32 s13, s79, s13
	v_mad_i64_i32 v[18:19], s[68:69], v18, s68, 0
	v_lshl_add_u64 v[18:19], v[18:19], 1, s[12:13]
	v_lshlrev_b32_e32 v50, 1, v48
	v_lshl_add_u64 v[18:19], v[18:19], 0, v[50:51]
	global_load_dword v18, v[18:19], off
	s_waitcnt vmcnt(0)
	ds_write_b32 v99, v18 offset:17408
.LBB25_283:                             ;   in Loop: Header=BB25_12 Depth=1
	s_or_b64 exec, exec, s[14:15]
	s_mul_i32 s2, s10, s39
	s_mul_hi_u32 s11, s10, s38
	s_add_i32 s13, s11, s2
	s_mul_i32 s12, s10, s38
	s_lshl_b64 s[12:13], s[12:13], 2
	s_add_u32 s12, s98, s12
	s_addc_u32 s13, s99, s13
	v_lshlrev_b32_e32 v50, 2, v72
	v_lshl_add_u64 v[20:21], v[56:57], 2, s[12:13]
	v_lshl_add_u64 v[18:19], v[52:53], 2, s[12:13]
	v_lshl_add_u64 v[22:23], v[20:21], 0, v[50:51]
	v_lshl_add_u64 v[20:21], v[58:59], 2, s[12:13]
	v_lshl_add_u64 v[18:19], v[18:19], 0, v[50:51]
	v_lshl_add_u64 v[24:25], v[20:21], 0, v[50:51]
	v_lshl_add_u64 v[20:21], v[60:61], 2, s[12:13]
	v_lshl_add_u64 v[26:27], v[20:21], 0, v[50:51]
	global_load_dwordx4 v[18:21], v[18:19], off
	s_waitcnt vmcnt(0)
	ds_write_b128 v154, v[18:21]
	global_load_dwordx4 v[18:21], v[22:23], off
	s_waitcnt vmcnt(0)
	ds_write_b128 v184, v[18:21]
	;; [unrolled: 3-line block ×3, first 2 shown]
	global_load_dwordx4 v[18:21], v[26:27], off
	v_add_u32_e32 v26, v183, v156
	s_waitcnt vmcnt(0)
	ds_write_b128 v186, v[18:21]
	s_waitcnt lgkmcnt(0)
	s_barrier
	ds_read2_b64 v[18:21], v26 offset1:4
	s_waitcnt lgkmcnt(0)
	v_mfma_f32_16x16x16_f16 v[22:25], v[18:19], v[14:15], 0
	v_mfma_f32_16x16x16_f16 v[18:21], v[20:21], v[16:17], v[22:25]
	s_nop 6
	ds_read2_b64 v[22:25], v26 offset0:8 offset1:12
	s_waitcnt lgkmcnt(0)
	v_mfma_f32_16x16x16_f16 v[18:21], v[22:23], v[10:11], v[18:21]
	v_mfma_f32_16x16x16_f16 v[18:21], v[24:25], v[12:13], v[18:21]
	ds_read2_b64 v[22:25], v26 offset0:16 offset1:20
	s_waitcnt lgkmcnt(0)
	v_mfma_f32_16x16x16_f16 v[18:21], v[22:23], v[6:7], v[18:21]
	v_mfma_f32_16x16x16_f16 v[18:21], v[24:25], v[8:9], v[18:21]
	ds_read2_b64 v[22:25], v26 offset0:24 offset1:28
	v_add_u32_e32 v26, 0x2000, v26
	s_waitcnt lgkmcnt(0)
	v_mfma_f32_16x16x16_f16 v[18:21], v[22:23], v[2:3], v[18:21]
	v_mfma_f32_16x16x16_f16 v[18:21], v[24:25], v[4:5], v[18:21]
	ds_read2_b64 v[22:25], v26 offset0:64 offset1:68
	s_waitcnt lgkmcnt(0)
	v_mfma_f32_16x16x16_f16 v[130:133], v[22:23], v[14:15], 0
	s_nop 4
	v_cmp_nlt_f32_e64 s[12:13], |v18|, s47
	v_mfma_f32_16x16x16_f16 v[14:17], v[24:25], v[16:17], v[130:133]
	ds_read2_b64 v[22:25], v26 offset0:72 offset1:76
	s_waitcnt lgkmcnt(0)
	v_mfma_f32_16x16x16_f16 v[14:17], v[22:23], v[10:11], v[14:17]
	v_mfma_f32_16x16x16_f16 v[10:13], v[24:25], v[12:13], v[14:17]
	s_nop 6
	ds_read2_b64 v[14:17], v26 offset0:80 offset1:84
	s_waitcnt lgkmcnt(0)
	v_mfma_f32_16x16x16_f16 v[10:13], v[14:15], v[6:7], v[10:13]
	v_mfma_f32_16x16x16_f16 v[6:9], v[16:17], v[8:9], v[10:13]
	s_nop 6
	ds_read2_b64 v[10:13], v26 offset0:88 offset1:92
	s_waitcnt lgkmcnt(0)
	v_mfma_f32_16x16x16_f16 v[6:9], v[10:11], v[2:3], v[6:9]
	s_barrier
	v_mfma_f32_16x16x16_f16 v[2:5], v[12:13], v[4:5], v[6:9]
                                        ; implicit-def: $vgpr6
	s_and_saveexec_b64 s[14:15], s[12:13]
	s_xor_b64 s[14:15], exec, s[14:15]
	s_cbranch_execz .LBB25_285
; %bb.284:                              ;   in Loop: Header=BB25_12 Depth=1
	s_nop 2
	v_add_f32_e64 v6, |v18|, |v18|
	v_mul_f32_e32 v7, 0x3fb8aa3b, v6
	v_rndne_f32_e32 v8, v7
	v_sub_f32_e32 v9, v7, v8
	v_fma_f32 v7, v6, s33, -v7
	v_fmac_f32_e32 v7, 0x32a5705f, v6
	v_add_f32_e32 v7, v9, v7
	v_cvt_i32_f32_e32 v8, v8
	v_exp_f32_e32 v7, v7
	v_cmp_ngt_f32_e32 vcc, s8, v6
	v_ldexp_f32 v7, v7, v8
	s_nop 0
	v_cndmask_b32_e32 v7, 0, v7, vcc
	v_cmp_nlt_f32_e32 vcc, s9, v6
	s_nop 1
	v_cndmask_b32_e32 v6, v215, v7, vcc
	v_add_f32_e32 v6, 1.0, v6
	v_rcp_f32_e32 v6, v6
	s_nop 0
	v_fma_f32 v6, v6, -2.0, 1.0
.LBB25_285:                             ;   in Loop: Header=BB25_12 Depth=1
	s_andn2_saveexec_b64 s[14:15], s[14:15]
; %bb.286:                              ;   in Loop: Header=BB25_12 Depth=1
	s_nop 1
	v_mul_f32_e32 v6, v18, v18
	v_fmamk_f32 v7, v6, 0xbbbac73d, v213
	v_fmaak_f32 v7, v6, v7, 0xbd5c1c4e
	v_fmaak_f32 v7, v6, v7, 0x3e088382
	;; [unrolled: 1-line block ×3, first 2 shown]
	v_mul_f32_e64 v7, |v18|, v7
	v_fma_f32 v6, v6, v7, |v18|
; %bb.287:                              ;   in Loop: Header=BB25_12 Depth=1
	s_or_b64 exec, exec, s[14:15]
	v_cmp_nlt_f32_e64 s[12:13], |v19|, s47
                                        ; implicit-def: $vgpr7
	s_and_saveexec_b64 s[14:15], s[12:13]
	s_xor_b64 s[14:15], exec, s[14:15]
	s_cbranch_execz .LBB25_289
; %bb.288:                              ;   in Loop: Header=BB25_12 Depth=1
	v_add_f32_e64 v7, |v19|, |v19|
	v_mul_f32_e32 v8, 0x3fb8aa3b, v7
	v_rndne_f32_e32 v9, v8
	v_sub_f32_e32 v10, v8, v9
	v_fma_f32 v8, v7, s33, -v8
	v_fmac_f32_e32 v8, 0x32a5705f, v7
	v_add_f32_e32 v8, v10, v8
	v_cvt_i32_f32_e32 v9, v9
	v_exp_f32_e32 v8, v8
	v_cmp_ngt_f32_e32 vcc, s8, v7
	v_ldexp_f32 v8, v8, v9
	s_nop 0
	v_cndmask_b32_e32 v8, 0, v8, vcc
	v_cmp_nlt_f32_e32 vcc, s9, v7
	s_nop 1
	v_cndmask_b32_e32 v7, v215, v8, vcc
	v_add_f32_e32 v7, 1.0, v7
	v_rcp_f32_e32 v7, v7
	s_nop 0
	v_fma_f32 v7, v7, -2.0, 1.0
.LBB25_289:                             ;   in Loop: Header=BB25_12 Depth=1
	s_andn2_saveexec_b64 s[14:15], s[14:15]
; %bb.290:                              ;   in Loop: Header=BB25_12 Depth=1
	v_mul_f32_e32 v7, v19, v19
	v_fmamk_f32 v8, v7, 0xbbbac73d, v213
	v_fmaak_f32 v8, v7, v8, 0xbd5c1c4e
	v_fmaak_f32 v8, v7, v8, 0x3e088382
	;; [unrolled: 1-line block ×3, first 2 shown]
	v_mul_f32_e64 v8, |v19|, v8
	v_fma_f32 v7, v7, v8, |v19|
; %bb.291:                              ;   in Loop: Header=BB25_12 Depth=1
	s_or_b64 exec, exec, s[14:15]
	v_cmp_nlt_f32_e64 s[12:13], |v20|, s47
                                        ; implicit-def: $vgpr8
	s_and_saveexec_b64 s[14:15], s[12:13]
	s_xor_b64 s[14:15], exec, s[14:15]
	s_cbranch_execz .LBB25_293
; %bb.292:                              ;   in Loop: Header=BB25_12 Depth=1
	v_add_f32_e64 v8, |v20|, |v20|
	v_mul_f32_e32 v9, 0x3fb8aa3b, v8
	v_rndne_f32_e32 v10, v9
	v_sub_f32_e32 v11, v9, v10
	v_fma_f32 v9, v8, s33, -v9
	v_fmac_f32_e32 v9, 0x32a5705f, v8
	v_add_f32_e32 v9, v11, v9
	v_cvt_i32_f32_e32 v10, v10
	v_exp_f32_e32 v9, v9
	v_cmp_ngt_f32_e32 vcc, s8, v8
	v_ldexp_f32 v9, v9, v10
	s_nop 0
	v_cndmask_b32_e32 v9, 0, v9, vcc
	v_cmp_nlt_f32_e32 vcc, s9, v8
	s_nop 1
	v_cndmask_b32_e32 v8, v215, v9, vcc
	v_add_f32_e32 v8, 1.0, v8
	v_rcp_f32_e32 v8, v8
	s_nop 0
	v_fma_f32 v8, v8, -2.0, 1.0
.LBB25_293:                             ;   in Loop: Header=BB25_12 Depth=1
	s_andn2_saveexec_b64 s[14:15], s[14:15]
; %bb.294:                              ;   in Loop: Header=BB25_12 Depth=1
	v_mul_f32_e32 v8, v20, v20
	v_fmamk_f32 v9, v8, 0xbbbac73d, v213
	v_fmaak_f32 v9, v8, v9, 0xbd5c1c4e
	v_fmaak_f32 v9, v8, v9, 0x3e088382
	;; [unrolled: 1-line block ×3, first 2 shown]
	v_mul_f32_e64 v9, |v20|, v9
	v_fma_f32 v8, v8, v9, |v20|
; %bb.295:                              ;   in Loop: Header=BB25_12 Depth=1
	s_or_b64 exec, exec, s[14:15]
	v_cmp_nlt_f32_e64 s[12:13], |v21|, s47
                                        ; implicit-def: $vgpr9
	s_and_saveexec_b64 s[14:15], s[12:13]
	s_xor_b64 s[14:15], exec, s[14:15]
	s_cbranch_execz .LBB25_297
; %bb.296:                              ;   in Loop: Header=BB25_12 Depth=1
	v_add_f32_e64 v9, |v21|, |v21|
	v_mul_f32_e32 v10, 0x3fb8aa3b, v9
	v_rndne_f32_e32 v11, v10
	v_sub_f32_e32 v12, v10, v11
	v_fma_f32 v10, v9, s33, -v10
	v_fmac_f32_e32 v10, 0x32a5705f, v9
	v_add_f32_e32 v10, v12, v10
	v_cvt_i32_f32_e32 v11, v11
	v_exp_f32_e32 v10, v10
	v_cmp_ngt_f32_e32 vcc, s8, v9
	v_ldexp_f32 v10, v10, v11
	s_nop 0
	v_cndmask_b32_e32 v10, 0, v10, vcc
	v_cmp_nlt_f32_e32 vcc, s9, v9
	s_nop 1
	v_cndmask_b32_e32 v9, v215, v10, vcc
	v_add_f32_e32 v9, 1.0, v9
	v_rcp_f32_e32 v9, v9
	s_nop 0
	v_fma_f32 v9, v9, -2.0, 1.0
.LBB25_297:                             ;   in Loop: Header=BB25_12 Depth=1
	s_andn2_saveexec_b64 s[14:15], s[14:15]
; %bb.298:                              ;   in Loop: Header=BB25_12 Depth=1
	v_mul_f32_e32 v9, v21, v21
	v_fmamk_f32 v10, v9, 0xbbbac73d, v213
	v_fmaak_f32 v10, v9, v10, 0xbd5c1c4e
	v_fmaak_f32 v10, v9, v10, 0x3e088382
	;; [unrolled: 1-line block ×3, first 2 shown]
	v_mul_f32_e64 v10, |v21|, v10
	v_fma_f32 v9, v9, v10, |v21|
; %bb.299:                              ;   in Loop: Header=BB25_12 Depth=1
	s_or_b64 exec, exec, s[14:15]
	v_cmp_nlt_f32_e64 s[12:13], |v2|, s47
                                        ; implicit-def: $vgpr10
	s_and_saveexec_b64 s[14:15], s[12:13]
	s_xor_b64 s[14:15], exec, s[14:15]
	s_cbranch_execz .LBB25_301
; %bb.300:                              ;   in Loop: Header=BB25_12 Depth=1
	v_add_f32_e64 v10, |v2|, |v2|
	v_mul_f32_e32 v11, 0x3fb8aa3b, v10
	v_rndne_f32_e32 v12, v11
	v_sub_f32_e32 v13, v11, v12
	v_fma_f32 v11, v10, s33, -v11
	v_fmac_f32_e32 v11, 0x32a5705f, v10
	v_add_f32_e32 v11, v13, v11
	v_cvt_i32_f32_e32 v12, v12
	v_exp_f32_e32 v11, v11
	v_cmp_ngt_f32_e32 vcc, s8, v10
	v_ldexp_f32 v11, v11, v12
	s_nop 0
	v_cndmask_b32_e32 v11, 0, v11, vcc
	v_cmp_nlt_f32_e32 vcc, s9, v10
	s_nop 1
	v_cndmask_b32_e32 v10, v215, v11, vcc
	v_add_f32_e32 v10, 1.0, v10
	v_rcp_f32_e32 v10, v10
	s_nop 0
	v_fma_f32 v10, v10, -2.0, 1.0
.LBB25_301:                             ;   in Loop: Header=BB25_12 Depth=1
	s_andn2_saveexec_b64 s[14:15], s[14:15]
; %bb.302:                              ;   in Loop: Header=BB25_12 Depth=1
	v_mul_f32_e32 v10, v2, v2
	v_fmamk_f32 v11, v10, 0xbbbac73d, v213
	v_fmaak_f32 v11, v10, v11, 0xbd5c1c4e
	v_fmaak_f32 v11, v10, v11, 0x3e088382
	;; [unrolled: 1-line block ×3, first 2 shown]
	v_mul_f32_e64 v11, |v2|, v11
	v_fma_f32 v10, v10, v11, |v2|
; %bb.303:                              ;   in Loop: Header=BB25_12 Depth=1
	s_or_b64 exec, exec, s[14:15]
	v_cmp_nlt_f32_e64 s[12:13], |v3|, s47
                                        ; implicit-def: $vgpr11
	s_and_saveexec_b64 s[14:15], s[12:13]
	s_xor_b64 s[14:15], exec, s[14:15]
	s_cbranch_execz .LBB25_305
; %bb.304:                              ;   in Loop: Header=BB25_12 Depth=1
	v_add_f32_e64 v11, |v3|, |v3|
	v_mul_f32_e32 v12, 0x3fb8aa3b, v11
	v_rndne_f32_e32 v13, v12
	v_sub_f32_e32 v14, v12, v13
	v_fma_f32 v12, v11, s33, -v12
	v_fmac_f32_e32 v12, 0x32a5705f, v11
	v_add_f32_e32 v12, v14, v12
	v_cvt_i32_f32_e32 v13, v13
	v_exp_f32_e32 v12, v12
	v_cmp_ngt_f32_e32 vcc, s8, v11
	v_ldexp_f32 v12, v12, v13
	s_nop 0
	v_cndmask_b32_e32 v12, 0, v12, vcc
	v_cmp_nlt_f32_e32 vcc, s9, v11
	s_nop 1
	v_cndmask_b32_e32 v11, v215, v12, vcc
	v_add_f32_e32 v11, 1.0, v11
	v_rcp_f32_e32 v11, v11
	s_nop 0
	v_fma_f32 v11, v11, -2.0, 1.0
.LBB25_305:                             ;   in Loop: Header=BB25_12 Depth=1
	s_andn2_saveexec_b64 s[14:15], s[14:15]
; %bb.306:                              ;   in Loop: Header=BB25_12 Depth=1
	v_mul_f32_e32 v11, v3, v3
	v_fmamk_f32 v12, v11, 0xbbbac73d, v213
	v_fmaak_f32 v12, v11, v12, 0xbd5c1c4e
	v_fmaak_f32 v12, v11, v12, 0x3e088382
	;; [unrolled: 1-line block ×3, first 2 shown]
	v_mul_f32_e64 v12, |v3|, v12
	v_fma_f32 v11, v11, v12, |v3|
; %bb.307:                              ;   in Loop: Header=BB25_12 Depth=1
	s_or_b64 exec, exec, s[14:15]
	v_cmp_nlt_f32_e64 s[12:13], |v4|, s47
                                        ; implicit-def: $vgpr12
	s_and_saveexec_b64 s[14:15], s[12:13]
	s_xor_b64 s[14:15], exec, s[14:15]
	s_cbranch_execz .LBB25_309
; %bb.308:                              ;   in Loop: Header=BB25_12 Depth=1
	v_add_f32_e64 v12, |v4|, |v4|
	v_mul_f32_e32 v13, 0x3fb8aa3b, v12
	v_rndne_f32_e32 v14, v13
	v_sub_f32_e32 v15, v13, v14
	v_fma_f32 v13, v12, s33, -v13
	v_fmac_f32_e32 v13, 0x32a5705f, v12
	v_add_f32_e32 v13, v15, v13
	v_cvt_i32_f32_e32 v14, v14
	v_exp_f32_e32 v13, v13
	v_cmp_ngt_f32_e32 vcc, s8, v12
	v_ldexp_f32 v13, v13, v14
	s_nop 0
	v_cndmask_b32_e32 v13, 0, v13, vcc
	v_cmp_nlt_f32_e32 vcc, s9, v12
	s_nop 1
	v_cndmask_b32_e32 v12, v215, v13, vcc
	v_add_f32_e32 v12, 1.0, v12
	v_rcp_f32_e32 v12, v12
	s_nop 0
	v_fma_f32 v12, v12, -2.0, 1.0
.LBB25_309:                             ;   in Loop: Header=BB25_12 Depth=1
	s_andn2_saveexec_b64 s[14:15], s[14:15]
; %bb.310:                              ;   in Loop: Header=BB25_12 Depth=1
	v_mul_f32_e32 v12, v4, v4
	v_fmamk_f32 v13, v12, 0xbbbac73d, v213
	v_fmaak_f32 v13, v12, v13, 0xbd5c1c4e
	v_fmaak_f32 v13, v12, v13, 0x3e088382
	;; [unrolled: 1-line block ×3, first 2 shown]
	v_mul_f32_e64 v13, |v4|, v13
	v_fma_f32 v12, v12, v13, |v4|
; %bb.311:                              ;   in Loop: Header=BB25_12 Depth=1
	s_or_b64 exec, exec, s[14:15]
	v_cmp_nlt_f32_e64 s[12:13], |v5|, s47
                                        ; implicit-def: $vgpr13
	s_and_saveexec_b64 s[14:15], s[12:13]
	s_xor_b64 s[14:15], exec, s[14:15]
	s_cbranch_execz .LBB25_313
; %bb.312:                              ;   in Loop: Header=BB25_12 Depth=1
	v_add_f32_e64 v13, |v5|, |v5|
	v_mul_f32_e32 v14, 0x3fb8aa3b, v13
	v_rndne_f32_e32 v15, v14
	v_sub_f32_e32 v16, v14, v15
	v_fma_f32 v14, v13, s33, -v14
	v_fmac_f32_e32 v14, 0x32a5705f, v13
	v_add_f32_e32 v14, v16, v14
	v_cvt_i32_f32_e32 v15, v15
	v_exp_f32_e32 v14, v14
	v_cmp_ngt_f32_e32 vcc, s8, v13
	v_ldexp_f32 v14, v14, v15
	s_nop 0
	v_cndmask_b32_e32 v14, 0, v14, vcc
	v_cmp_nlt_f32_e32 vcc, s9, v13
	s_nop 1
	v_cndmask_b32_e32 v13, v215, v14, vcc
	v_add_f32_e32 v13, 1.0, v13
	v_rcp_f32_e32 v13, v13
	s_nop 0
	v_fma_f32 v13, v13, -2.0, 1.0
.LBB25_313:                             ;   in Loop: Header=BB25_12 Depth=1
	s_andn2_saveexec_b64 s[14:15], s[14:15]
; %bb.314:                              ;   in Loop: Header=BB25_12 Depth=1
	v_mul_f32_e32 v13, v5, v5
	v_fmamk_f32 v14, v13, 0xbbbac73d, v213
	v_fmaak_f32 v14, v13, v14, 0xbd5c1c4e
	v_fmaak_f32 v14, v13, v14, 0x3e088382
	;; [unrolled: 1-line block ×3, first 2 shown]
	v_mul_f32_e64 v14, |v5|, v14
	v_fma_f32 v13, v13, v14, |v5|
; %bb.315:                              ;   in Loop: Header=BB25_12 Depth=1
	s_or_b64 exec, exec, s[14:15]
	v_bfi_b32 v10, s89, v10, v2
	v_add_u32_e32 v2, 0x4400, v111
	v_bfi_b32 v11, s89, v11, v3
	ds_read2_b32 v[2:3], v2 offset1:1
	v_bfi_b32 v6, s89, v6, v18
	v_bfi_b32 v7, s89, v7, v19
	;; [unrolled: 1-line block ×3, first 2 shown]
	ds_read_b32 v12, v157 offset:17408
	s_waitcnt lgkmcnt(1)
	v_fma_mix_f32 v6, s3, v6, v2 op_sel_hi:[0,0,1]
	v_fma_mix_f32 v2, s3, v7, v2 op_sel:[0,0,1] op_sel_hi:[0,0,1]
	ds_read_b32 v7, v158 offset:17408
	v_bfi_b32 v9, s89, v9, v21
	v_bfi_b32 v8, s89, v8, v20
	;; [unrolled: 1-line block ×3, first 2 shown]
	v_fma_mix_f32 v8, s3, v8, v3 op_sel_hi:[0,0,1]
	v_fma_mix_f32 v3, s3, v9, v3 op_sel:[0,0,1] op_sel_hi:[0,0,1]
	s_waitcnt lgkmcnt(0)
	v_fma_mix_f32 v17, s3, v4, v7 op_sel_hi:[0,0,1]
	v_fma_mix_f32 v18, s3, v5, v7 op_sel:[0,0,1] op_sel_hi:[0,0,1]
	v_add_f32_e32 v4, 0x40051340, v6
	v_add_f32_e32 v5, 0x40051340, v2
	v_fma_mix_f32 v9, s3, v10, v12 op_sel_hi:[0,0,1]
	v_fma_mix_f32 v16, s3, v11, v12 op_sel:[0,0,1] op_sel_hi:[0,0,1]
	v_max3_f32 v4, v101, v4, v5
	v_add_f32_e32 v5, 0x40051340, v8
	v_add_f32_e32 v7, 0x40051340, v3
	v_max3_f32 v4, v4, v5, v7
	v_add_f32_e32 v5, 0x40051340, v9
	v_add_f32_e32 v7, 0x40051340, v16
	;; [unrolled: 3-line block ×3, first 2 shown]
	v_max3_f32 v4, v4, v5, v7
	v_and_b32_e32 v5, 64, v214
	v_add_u32_e32 v5, 64, v5
	v_xor_b32_e32 v7, 32, v214
	v_cmp_lt_i32_e32 vcc, v7, v5
	s_mul_i32 s2, s10, s35
	s_mul_hi_u32 s11, s10, s34
	v_cndmask_b32_e32 v7, v214, v7, vcc
	v_lshlrev_b32_e32 v27, 2, v7
	ds_bpermute_b32 v7, v27, v4
	s_add_i32 s11, s11, s2
	s_mul_i32 s10, s10, s34
	s_lshl_b64 s[10:11], s[10:11], 2
	s_add_u32 s10, s66, s10
	s_waitcnt lgkmcnt(0)
	v_max_f32_e32 v7, v7, v7
	v_max_f32_e32 v4, v4, v7
	v_xor_b32_e32 v7, 16, v214
	v_cmp_lt_i32_e32 vcc, v7, v5
	s_addc_u32 s11, s67, s11
	s_cmp_lg_u64 s[76:77], 0
	v_cndmask_b32_e32 v5, v214, v7, vcc
	v_lshlrev_b32_e32 v30, 2, v5
	ds_bpermute_b32 v5, v30, v4
	s_waitcnt lgkmcnt(0)
	v_max_f32_e32 v5, v5, v5
	v_max_f32_e32 v26, v4, v5
	v_sub_f32_e32 v4, v6, v26
	v_mul_f32_e32 v5, 0x3fb8aa3b, v4
	v_fma_f32 v6, v4, s33, -v5
	v_rndne_f32_e32 v7, v5
	v_fmac_f32_e32 v6, 0x32a5705f, v4
	v_sub_f32_e32 v5, v5, v7
	v_add_f32_e32 v5, v5, v6
	v_exp_f32_e32 v5, v5
	v_cvt_i32_f32_e32 v6, v7
	v_sub_f32_e32 v2, v2, v26
	v_cmp_ngt_f32_e32 vcc, s8, v4
	v_sub_f32_e32 v3, v3, v26
	v_ldexp_f32 v5, v5, v6
	v_mul_f32_e32 v6, 0x3fb8aa3b, v2
	v_fma_f32 v7, v2, s33, -v6
	v_rndne_f32_e32 v10, v6
	v_fmac_f32_e32 v7, 0x32a5705f, v2
	v_sub_f32_e32 v6, v6, v10
	v_add_f32_e32 v6, v6, v7
	v_exp_f32_e32 v6, v6
	v_cvt_i32_f32_e32 v7, v10
	v_cndmask_b32_e32 v5, 0, v5, vcc
	v_cmp_nlt_f32_e32 vcc, s9, v4
	v_sub_f32_e32 v41, v9, v26
	v_ldexp_f32 v4, v6, v7
	v_cndmask_b32_e32 v19, v215, v5, vcc
	v_sub_f32_e32 v5, v8, v26
	v_mul_f32_e32 v6, 0x3fb8aa3b, v5
	v_fma_f32 v7, v5, s33, -v6
	v_rndne_f32_e32 v8, v6
	v_fmac_f32_e32 v7, 0x32a5705f, v5
	v_sub_f32_e32 v6, v6, v8
	v_add_f32_e32 v6, v6, v7
	v_exp_f32_e32 v6, v6
	v_cvt_i32_f32_e32 v7, v8
	v_cmp_ngt_f32_e32 vcc, s8, v2
	s_nop 1
	v_cndmask_b32_e32 v4, 0, v4, vcc
	v_cmp_nlt_f32_e32 vcc, s9, v2
	s_nop 1
	v_cndmask_b32_e32 v24, v215, v4, vcc
	v_ldexp_f32 v4, v6, v7
	v_mul_f32_e32 v6, 0x3fb8aa3b, v3
	v_fma_f32 v7, v3, s33, -v6
	v_rndne_f32_e32 v8, v6
	v_fmac_f32_e32 v7, 0x32a5705f, v3
	v_sub_f32_e32 v6, v6, v8
	v_add_f32_e32 v6, v6, v7
	v_exp_f32_e32 v6, v6
	v_cvt_i32_f32_e32 v7, v8
	v_cmp_ngt_f32_e32 vcc, s8, v5
	v_add_f32_e32 v2, v19, v24
	s_nop 0
	v_cndmask_b32_e32 v4, 0, v4, vcc
	v_cmp_nlt_f32_e32 vcc, s9, v5
	v_mul_f32_e32 v5, 0x3fb8aa3b, v41
	s_nop 0
	v_cndmask_b32_e32 v25, v215, v4, vcc
	v_ldexp_f32 v4, v6, v7
	v_fma_f32 v6, v41, s33, -v5
	v_rndne_f32_e32 v7, v5
	v_fmac_f32_e32 v6, 0x32a5705f, v41
	v_sub_f32_e32 v5, v5, v7
	v_add_f32_e32 v5, v5, v6
	v_exp_f32_e32 v5, v5
	v_cvt_i32_f32_e32 v6, v7
	v_cmp_ngt_f32_e32 vcc, s8, v3
	v_add_f32_e32 v2, v25, v2
	s_nop 0
	v_cndmask_b32_e32 v4, 0, v4, vcc
	v_cmp_nlt_f32_e32 vcc, s9, v3
	s_nop 1
	v_cndmask_b32_e32 v44, v215, v4, vcc
	v_add_f32_e32 v45, v44, v2
	v_ldexp_f32 v2, v5, v6
	v_cmp_ngt_f32_e32 vcc, s8, v41
	v_lshl_add_u64 v[4:5], v[64:65], 2, s[10:11]
	v_lshl_add_u64 v[6:7], v[4:5], 0, v[50:51]
	v_cndmask_b32_e32 v105, 0, v2, vcc
	v_lshl_add_u64 v[2:3], v[62:63], 2, s[10:11]
	v_lshl_add_u64 v[4:5], v[66:67], 2, s[10:11]
	;; [unrolled: 1-line block ×6, first 2 shown]
	global_load_dwordx4 v[2:5], v[2:3], off
	s_nop 0
	global_load_dwordx4 v[6:9], v[6:7], off
	s_nop 0
	global_load_dwordx4 v[10:13], v[10:11], off
	s_nop 0
	global_load_dwordx4 v[20:23], v[14:15], off
	v_sub_f32_e32 v14, v16, v26
	v_mul_f32_e32 v15, 0x3fb8aa3b, v14
	v_fma_f32 v16, v14, s33, -v15
	v_rndne_f32_e32 v50, v15
	v_fmac_f32_e32 v16, 0x32a5705f, v14
	v_sub_f32_e32 v15, v15, v50
	v_add_f32_e32 v15, v15, v16
	v_exp_f32_e32 v15, v15
	v_cvt_i32_f32_e32 v16, v50
	v_cmp_nlt_f32_e32 vcc, s9, v41
	s_waitcnt vmcnt(3)
	ds_write_b128 v154, v[2:5]
	s_waitcnt vmcnt(2)
	ds_write_b128 v184, v[6:9]
	;; [unrolled: 2-line block ×4, first 2 shown]
	v_ldexp_f32 v15, v15, v16
	v_sub_f32_e32 v16, v17, v26
	v_cndmask_b32_e32 v50, v215, v105, vcc
	v_mul_f32_e32 v17, 0x3fb8aa3b, v16
	v_add_f32_e32 v41, v50, v45
	v_fma_f32 v45, v16, s33, -v17
	v_rndne_f32_e32 v105, v17
	v_fmac_f32_e32 v45, 0x32a5705f, v16
	v_sub_f32_e32 v17, v17, v105
	v_add_f32_e32 v17, v17, v45
	v_exp_f32_e32 v17, v17
	v_cvt_i32_f32_e32 v45, v105
	v_cmp_ngt_f32_e32 vcc, s8, v14
	s_waitcnt lgkmcnt(0)
	s_barrier
	v_cndmask_b32_e32 v15, 0, v15, vcc
	v_cmp_nlt_f32_e32 vcc, s9, v14
	ds_read_u16 v5, v152 offset:272
	ds_read_u16 v6, v152 offset:544
	ds_read_u16 v7, v153
	ds_read_u16 v8, v152
	v_cndmask_b32_e32 v105, v215, v15, vcc
	v_ldexp_f32 v15, v17, v45
	v_sub_f32_e32 v17, v18, v26
	v_mul_f32_e32 v18, 0x3fb8aa3b, v17
	v_add_f32_e32 v14, v105, v41
	v_fma_f32 v41, v17, s33, -v18
	v_rndne_f32_e32 v45, v18
	v_fmac_f32_e32 v41, 0x32a5705f, v17
	v_sub_f32_e32 v18, v18, v45
	v_add_f32_e32 v18, v18, v41
	v_exp_f32_e32 v18, v18
	v_cvt_i32_f32_e32 v41, v45
	v_cmp_ngt_f32_e32 vcc, s8, v16
	s_waitcnt lgkmcnt(1)
	v_perm_b32 v7, v7, v6, s64
	s_waitcnt lgkmcnt(0)
	v_perm_b32 v6, v5, v8, s64
	v_cndmask_b32_e32 v15, 0, v15, vcc
	v_cmp_nlt_f32_e32 vcc, s9, v16
	ds_read_u16 v9, v153 offset:32
	s_nop 0
	v_cndmask_b32_e32 v16, v215, v15, vcc
	v_ldexp_f32 v15, v18, v41
	v_sub_f32_e32 v18, v101, v26
	v_mul_f32_e32 v41, 0x3fb8aa3b, v18
	v_fma_f32 v45, v18, s33, -v41
	v_rndne_f32_e32 v101, v41
	v_fmac_f32_e32 v45, 0x32a5705f, v18
	v_sub_f32_e32 v41, v41, v101
	v_add_f32_e32 v41, v41, v45
	v_exp_f32_e32 v41, v41
	v_cvt_i32_f32_e32 v45, v101
	v_cmp_ngt_f32_e32 vcc, s8, v17
	v_cmp_ngt_f32_e64 s[10:11], s8, v18
	v_add_f32_e32 v14, v16, v14
	v_cndmask_b32_e32 v15, 0, v15, vcc
	v_cmp_nlt_f32_e32 vcc, s9, v17
	v_ldexp_f32 v17, v41, v45
	v_cndmask_b32_e64 v17, 0, v17, s[10:11]
	v_cmp_nlt_f32_e64 s[10:11], s9, v18
	v_cndmask_b32_e32 v45, v215, v15, vcc
	v_add_f32_e32 v41, v45, v14
	v_cndmask_b32_e64 v17, v215, v17, s[10:11]
	v_cmp_le_f32_e64 s[10:11], s46, v18
	s_nop 1
	v_cndmask_b32_e64 v17, 0, v17, s[10:11]
	v_cvt_f16_f32_e32 v18, v17
	v_fmac_f32_e32 v41, v103, v17
	ds_bpermute_b32 v27, v27, v41
	s_cselect_b64 s[10:11], -1, 0
	v_mul_u32_u24_e32 v101, 0x10001, v18
	v_pk_mul_f16 v17, v40, v101
	v_pk_mul_f16 v37, v37, v101
	v_cvt_f32_f16_e32 v2, v17
	v_cvt_f32_f16_sdwa v3, v17 dst_sel:DWORD dst_unused:UNUSED_PAD src0_sel:WORD_1
	v_cvt_f32_f16_e32 v4, v37
	v_cvt_f32_f16_sdwa v5, v37 dst_sel:DWORD dst_unused:UNUSED_PAD src0_sel:WORD_1
	v_pk_mul_f16 v40, v29, v101
	v_pk_mul_f16 v103, v28, v101
	v_cvt_pk_f16_f32 v29, v25, v44
	v_cvt_pk_f16_f32 v28, v19, v24
	v_pk_mul_f16 v33, v33, v101
	v_cvt_pk_f16_f32 v25, v16, v45
	v_mfma_f32_16x16x16_f16 v[2:5], v[6:7], v[28:29], v[2:5]
	ds_read_u16 v6, v152 offset:8704
	ds_read_u16 v7, v152 offset:9248
	;; [unrolled: 1-line block ×4, first 2 shown]
	v_cvt_pk_f16_f32 v24, v50, v105
	v_pk_mul_f16 v32, v32, v101
	s_nop 1
	v_cvt_f16_f32_e32 v2, v2
	v_cvt_f16_f32_e32 v3, v3
	;; [unrolled: 1-line block ×4, first 2 shown]
	s_waitcnt lgkmcnt(0)
	v_perm_b32 v6, v10, v6, s64
	ds_read_u16 v10, v152 offset:32
	ds_read_u16 v11, v152 offset:576
	;; [unrolled: 1-line block ×3, first 2 shown]
	v_perm_b32 v7, v8, v7, s64
	v_cvt_f32_f16_e32 v2, v2
	v_cvt_f32_f16_e32 v3, v3
	;; [unrolled: 1-line block ×4, first 2 shown]
	s_waitcnt lgkmcnt(1)
	v_perm_b32 v11, v9, v11, s64
	s_waitcnt lgkmcnt(0)
	v_perm_b32 v10, v12, v10, s64
	v_mfma_f32_16x16x16_f16 v[2:5], v[6:7], v[24:25], v[2:5]
	v_cvt_f32_f16_e32 v6, v33
	v_cvt_f32_f16_sdwa v7, v33 dst_sel:DWORD dst_unused:UNUSED_PAD src0_sel:WORD_1
	v_cvt_f32_f16_e32 v8, v40
	v_cvt_f32_f16_sdwa v9, v40 dst_sel:DWORD dst_unused:UNUSED_PAD src0_sel:WORD_1
	v_pk_mul_f16 v14, v31, v101
	s_nop 2
	v_cvt_f16_f32_e32 v4, v4
	v_mfma_f32_16x16x16_f16 v[6:9], v[10:11], v[28:29], v[6:9]
	ds_read_u16 v10, v152 offset:8736
	ds_read_u16 v11, v152 offset:9280
	;; [unrolled: 1-line block ×4, first 2 shown]
	v_cvt_f16_f32_e32 v5, v5
	v_pk_mul_f16 v15, v36, v101
	s_nop 1
	v_cvt_f16_f32_e32 v6, v6
	v_cvt_f16_f32_e32 v7, v7
	v_cvt_f16_f32_e32 v8, v8
	v_cvt_f16_f32_e32 v9, v9
	s_waitcnt lgkmcnt(0)
	v_perm_b32 v10, v13, v10, s64
	ds_read_u16 v13, v152 offset:64
	ds_read_u16 v16, v152 offset:608
	;; [unrolled: 1-line block ×4, first 2 shown]
	v_perm_b32 v11, v12, v11, s64
	v_cvt_f32_f16_e32 v6, v6
	v_cvt_f32_f16_e32 v7, v7
	;; [unrolled: 1-line block ×4, first 2 shown]
	s_waitcnt lgkmcnt(1)
	v_perm_b32 v17, v17, v16, s64
	s_waitcnt lgkmcnt(0)
	v_perm_b32 v16, v19, v13, s64
	v_mfma_f32_16x16x16_f16 v[6:9], v[10:11], v[24:25], v[6:9]
	v_cvt_f32_f16_e32 v10, v32
	v_cvt_f32_f16_sdwa v11, v32 dst_sel:DWORD dst_unused:UNUSED_PAD src0_sel:WORD_1
	v_cvt_f32_f16_e32 v12, v103
	v_cvt_f32_f16_sdwa v13, v103 dst_sel:DWORD dst_unused:UNUSED_PAD src0_sel:WORD_1
	v_perm_b32 v4, v5, v4, s64
	v_pk_mul_f16 v18, v35, v101
	v_mfma_f32_16x16x16_f16 v[10:13], v[16:17], v[28:29], v[10:13]
	ds_read_u16 v16, v152 offset:8768
	ds_read_u16 v17, v152 offset:9312
	;; [unrolled: 1-line block ×4, first 2 shown]
	v_pk_mul_f16 v40, v34, v101
	v_cvt_f32_f16_e32 v34, v15
	s_nop 1
	v_cvt_f16_f32_e32 v10, v10
	v_cvt_f16_f32_e32 v11, v11
	;; [unrolled: 1-line block ×4, first 2 shown]
	s_waitcnt lgkmcnt(1)
	v_perm_b32 v17, v19, v17, s64
	s_waitcnt lgkmcnt(0)
	v_perm_b32 v16, v31, v16, s64
	v_cvt_f32_f16_e32 v10, v10
	v_cvt_f32_f16_e32 v11, v11
	;; [unrolled: 1-line block ×4, first 2 shown]
	v_cvt_f32_f16_sdwa v35, v15 dst_sel:DWORD dst_unused:UNUSED_PAD src0_sel:WORD_1
	v_cvt_f32_f16_e32 v36, v14
	v_mfma_f32_16x16x16_f16 v[10:13], v[16:17], v[24:25], v[10:13]
	ds_read_u16 v5, v152 offset:96
	ds_read_u16 v16, v152 offset:640
	;; [unrolled: 1-line block ×4, first 2 shown]
	v_cvt_f32_f16_sdwa v37, v14 dst_sel:DWORD dst_unused:UNUSED_PAD src0_sel:WORD_1
	v_cvt_f32_f16_e32 v130, v18
	v_cvt_f32_f16_sdwa v131, v18 dst_sel:DWORD dst_unused:UNUSED_PAD src0_sel:WORD_1
	s_waitcnt lgkmcnt(1)
	v_perm_b32 v17, v17, v16, s64
	s_waitcnt lgkmcnt(0)
	v_perm_b32 v16, v19, v5, s64
	v_cvt_f16_f32_e32 v5, v8
	v_cvt_f16_f32_e32 v8, v9
	v_mfma_f32_16x16x16_f16 v[14:17], v[16:17], v[28:29], v[34:37]
	ds_read_u16 v19, v152 offset:8800
	s_nop 1
	ds_read_u16 v34, v152 offset:9344
	ds_read_u16 v35, v153 offset:8800
	;; [unrolled: 1-line block ×3, first 2 shown]
	v_perm_b32 v5, v8, v5, s64
	v_cvt_f32_f16_e32 v132, v40
	v_cvt_f16_f32_e32 v9, v14
	v_cvt_f16_f32_e32 v15, v15
	;; [unrolled: 1-line block ×4, first 2 shown]
	s_waitcnt lgkmcnt(1)
	v_perm_b32 v37, v35, v34, s64
	s_waitcnt lgkmcnt(0)
	v_perm_b32 v36, v36, v19, s64
	v_cvt_f32_f16_e32 v14, v9
	v_cvt_f32_f16_e32 v15, v15
	;; [unrolled: 1-line block ×4, first 2 shown]
	v_cvt_f32_f16_sdwa v133, v40 dst_sel:DWORD dst_unused:UNUSED_PAD src0_sel:WORD_1
	v_pk_mul_f16 v20, v38, v101
	v_mfma_f32_16x16x16_f16 v[14:17], v[36:37], v[24:25], v[14:17]
	ds_read_u16 v8, v152 offset:128
	ds_read_u16 v19, v152 offset:672
	;; [unrolled: 1-line block ×4, first 2 shown]
	v_pk_mul_f16 v22, v42, v101
	ds_read_u16 v37, v152 offset:8832
	ds_read_u16 v38, v152 offset:9376
	;; [unrolled: 1-line block ×4, first 2 shown]
	v_pk_mul_f16 v21, v39, v101
	s_waitcnt lgkmcnt(5)
	v_perm_b32 v19, v35, v19, s64
	s_waitcnt lgkmcnt(4)
	v_perm_b32 v18, v36, v8, s64
	v_cvt_f16_f32_e32 v8, v12
	v_cvt_f16_f32_e32 v36, v13
	v_mfma_f32_16x16x16_f16 v[130:133], v[18:19], v[28:29], v[130:133]
	v_perm_b32 v8, v36, v8, s64
	v_pk_mul_f16 v23, v43, v101
	v_pk_mul_f16 v39, v109, v101
	s_nop 4
	v_cvt_f16_f32_e32 v12, v130
	v_cvt_f16_f32_e32 v13, v131
	;; [unrolled: 1-line block ×4, first 2 shown]
	v_cvt_f32_f16_e32 v130, v12
	v_cvt_f32_f16_e32 v131, v13
	s_waitcnt lgkmcnt(1)
	v_perm_b32 v13, v40, v38, s64
	s_waitcnt lgkmcnt(0)
	v_perm_b32 v12, v42, v37, s64
	v_cvt_f32_f16_e32 v132, v18
	v_cvt_f32_f16_e32 v133, v19
	v_cvt_f16_f32_e32 v38, v16
	v_cvt_f16_f32_e32 v40, v17
	v_mfma_f32_16x16x16_f16 v[16:19], v[12:13], v[24:25], v[130:133]
	ds_read_u16 v12, v152 offset:160
	ds_read_u16 v13, v152 offset:704
	;; [unrolled: 1-line block ×4, first 2 shown]
	v_cvt_f32_f16_e32 v130, v21
	v_cvt_f32_f16_sdwa v131, v21 dst_sel:DWORD dst_unused:UNUSED_PAD src0_sel:WORD_1
	v_cvt_f32_f16_e32 v132, v20
	s_waitcnt lgkmcnt(1)
	v_perm_b32 v43, v36, v13, s64
	s_waitcnt lgkmcnt(0)
	v_perm_b32 v42, v37, v12, s64
	v_cvt_f32_f16_sdwa v133, v20 dst_sel:DWORD dst_unused:UNUSED_PAD src0_sel:WORD_1
	v_perm_b32 v12, v40, v38, s64
	v_pk_mul_f16 v44, v107, v101
	v_mfma_f32_16x16x16_f16 v[130:133], v[42:43], v[28:29], v[130:133]
	ds_read_u16 v40, v152 offset:8864
	ds_read_u16 v42, v152 offset:9408
	;; [unrolled: 1-line block ×4, first 2 shown]
	v_add_f32_e32 v27, v41, v27
	ds_bpermute_b32 v41, v30, v27
	s_nop 1
	v_cvt_f16_f32_e32 v20, v131
	v_cvt_f16_f32_e32 v21, v132
	;; [unrolled: 1-line block ×4, first 2 shown]
	v_cvt_f32_f16_e32 v131, v20
	v_cvt_f32_f16_e32 v132, v21
	s_waitcnt lgkmcnt(2)
	v_perm_b32 v21, v43, v42, s64
	s_waitcnt lgkmcnt(1)
	v_perm_b32 v20, v45, v40, s64
	ds_read_u16 v40, v152 offset:192
	ds_read_u16 v43, v152 offset:736
	;; [unrolled: 1-line block ×4, first 2 shown]
	v_cvt_f32_f16_e32 v130, v13
	v_cvt_f32_f16_e32 v133, v38
	v_cvt_f16_f32_e32 v13, v18
	s_waitcnt lgkmcnt(1)
	v_perm_b32 v135, v45, v43, s64
	s_waitcnt lgkmcnt(0)
	v_perm_b32 v134, v50, v40, s64
	v_cvt_f16_f32_e32 v42, v19
	v_mfma_f32_16x16x16_f16 v[18:21], v[20:21], v[24:25], v[130:133]
	ds_read_u16 v50, v152 offset:8896
	ds_read_u16 v101, v152 offset:9440
	;; [unrolled: 1-line block ×4, first 2 shown]
	v_cvt_f32_f16_e32 v130, v23
	v_cvt_f32_f16_sdwa v131, v23 dst_sel:DWORD dst_unused:UNUSED_PAD src0_sel:WORD_1
	v_cvt_f32_f16_e32 v132, v22
	v_cvt_f32_f16_sdwa v133, v22 dst_sel:DWORD dst_unused:UNUSED_PAD src0_sel:WORD_1
	v_cvt_f16_f32_e32 v31, v2
	v_cvt_f16_f32_e32 v32, v3
	v_mfma_f32_16x16x16_f16 v[130:133], v[134:135], v[28:29], v[130:133]
	v_cvt_f16_f32_e32 v33, v6
	v_cvt_f16_f32_e32 v9, v7
	v_cvt_f16_f32_e32 v34, v10
	v_cvt_f16_f32_e32 v35, v11
	s_nop 3
	v_cvt_f16_f32_e32 v22, v130
	v_cvt_f16_f32_e32 v23, v131
	;; [unrolled: 1-line block ×4, first 2 shown]
	v_cvt_f32_f16_e32 v130, v22
	v_cvt_f32_f16_e32 v131, v23
	s_waitcnt lgkmcnt(1)
	v_perm_b32 v23, v103, v101, s64
	s_waitcnt lgkmcnt(0)
	v_perm_b32 v22, v105, v50, s64
	ds_read_u16 v101, v152 offset:224
	ds_read_u16 v103, v152 offset:768
	;; [unrolled: 1-line block ×4, first 2 shown]
	v_cvt_f32_f16_e32 v132, v43
	v_cvt_f32_f16_e32 v133, v45
	v_cvt_f16_f32_e32 v45, v20
	s_waitcnt lgkmcnt(1)
	v_perm_b32 v135, v105, v103, s64
	s_waitcnt lgkmcnt(0)
	v_perm_b32 v134, v107, v101, s64
	v_cvt_f16_f32_e32 v50, v21
	v_mfma_f32_16x16x16_f16 v[20:23], v[22:23], v[24:25], v[130:133]
	v_cvt_f16_f32_e32 v36, v14
	v_cvt_f16_f32_e32 v37, v15
	;; [unrolled: 1-line block ×3, first 2 shown]
	v_cvt_f32_f16_e32 v130, v39
	v_cvt_f32_f16_sdwa v131, v39 dst_sel:DWORD dst_unused:UNUSED_PAD src0_sel:WORD_1
	v_cvt_f32_f16_e32 v132, v44
	v_cvt_f32_f16_sdwa v133, v44 dst_sel:DWORD dst_unused:UNUSED_PAD src0_sel:WORD_1
	v_perm_b32 v39, v50, v45, s64
	v_cvt_f16_f32_e32 v22, v22
	v_mfma_f32_16x16x16_f16 v[130:133], v[134:135], v[28:29], v[130:133]
	ds_read_u16 v29, v152 offset:8928
	ds_read_u16 v101, v152 offset:9472
	;; [unrolled: 1-line block ×4, first 2 shown]
	v_cvt_f16_f32_e32 v23, v23
	v_cvt_f16_f32_e32 v40, v17
	s_nop 1
	v_cvt_f16_f32_e32 v44, v130
	v_cvt_f16_f32_e32 v45, v131
	;; [unrolled: 1-line block ×4, first 2 shown]
	v_cvt_f32_f16_e32 v130, v44
	v_cvt_f32_f16_e32 v131, v45
	s_waitcnt lgkmcnt(1)
	v_perm_b32 v45, v103, v101, s64
	s_waitcnt lgkmcnt(0)
	v_perm_b32 v44, v105, v29, s64
	v_cvt_f32_f16_e32 v132, v50
	v_cvt_f32_f16_e32 v133, v28
	v_perm_b32 v28, v23, v22, s64
	v_perm_b32 v13, v42, v13, s64
	v_mfma_f32_16x16x16_f16 v[22:25], v[44:45], v[24:25], v[130:133]
	v_cvt_f16_f32_e32 v42, v18
	v_cvt_f16_f32_e32 v43, v19
	;; [unrolled: 1-line block ×4, first 2 shown]
	s_nop 3
	v_cvt_f16_f32_e32 v44, v22
	v_cvt_f16_f32_e32 v24, v24
	;; [unrolled: 1-line block ×4, first 2 shown]
	v_add_f32_e32 v27, v27, v41
	s_and_b64 s[12:13], s[0:1], s[10:11]
	v_perm_b32 v24, v25, v24, s64
	v_perm_b32 v25, v45, v44, s64
	v_perm_b32 v29, v50, v29, s64
	v_perm_b32 v41, v43, v42, s64
	v_perm_b32 v38, v40, v38, s64
	v_perm_b32 v36, v37, v36, s64
	v_perm_b32 v34, v35, v34, s64
	v_perm_b32 v9, v9, v33, s64
	v_perm_b32 v31, v32, v31, s64
	s_barrier
	s_and_saveexec_b64 s[10:11], s[12:13]
	s_cbranch_execz .LBB25_317
; %bb.316:                              ;   in Loop: Header=BB25_12 Depth=1
	v_lshlrev_b32_e32 v9, 2, v98
	global_load_dword v9, v9, s[76:77]
	v_cvt_pk_f16_f32 v25, v2, v3
	v_max_f32_e32 v2, v26, v26
	v_cvt_pk_f16_f32 v6, v6, v7
	v_cvt_pk_f16_f32 v7, v10, v11
	;; [unrolled: 1-line block ×5, first 2 shown]
	s_waitcnt vmcnt(0)
	v_max_f32_e32 v3, v9, v9
	v_max_f32_e32 v2, v2, v3
	v_sub_f32_e32 v3, v26, v2
	v_sub_f32_e32 v9, v9, v2
	v_mul_f32_e32 v15, 0x3fb8aa3b, v3
	v_mul_f32_e32 v16, 0x3fb8aa3b, v9
	v_fma_f32 v17, v3, s33, -v15
	v_rndne_f32_e32 v18, v15
	v_fma_f32 v19, v9, s33, -v16
	v_rndne_f32_e32 v26, v16
	v_fmac_f32_e32 v17, 0x32a5705f, v3
	v_sub_f32_e32 v15, v15, v18
	v_fmac_f32_e32 v19, 0x32a5705f, v9
	v_sub_f32_e32 v16, v16, v26
	v_add_f32_e32 v15, v15, v17
	v_cvt_i32_f32_e32 v18, v18
	v_add_f32_e32 v16, v16, v19
	v_exp_f32_e32 v15, v15
	v_cvt_i32_f32_e32 v26, v26
	v_exp_f32_e32 v16, v16
	v_cmp_ngt_f32_e32 vcc, s8, v3
	v_ldexp_f32 v15, v15, v18
	v_cvt_pk_f16_f32 v17, v20, v21
	v_ldexp_f32 v16, v16, v26
	v_cndmask_b32_e32 v15, 0, v15, vcc
	v_cmp_ngt_f32_e32 vcc, s8, v9
	v_cvt_pk_f16_f32 v19, v22, v23
	s_nop 0
	v_cndmask_b32_e32 v16, 0, v16, vcc
	v_cmp_nlt_f32_e32 vcc, s9, v3
	s_nop 1
	v_cndmask_b32_e32 v15, v215, v15, vcc
	v_cmp_le_f32_e32 vcc, s46, v3
	s_nop 1
	v_cndmask_b32_e32 v15, 0, v15, vcc
	v_cvt_f16_f32_e32 v18, v15
	v_cmp_nlt_f32_e32 vcc, s9, v9
	s_nop 1
	v_cndmask_b32_e32 v3, v215, v16, vcc
	v_fmac_f32_e32 v3, v27, v15
	v_mul_u32_u24_e32 v15, 0x10001, v18
	v_pk_mul_f16 v31, v25, v15
	v_pk_mul_f16 v4, v4, v15
	;; [unrolled: 1-line block ×16, first 2 shown]
	v_mov_b64_e32 v[26:27], v[2:3]
.LBB25_317:                             ;   in Loop: Header=BB25_12 Depth=1
	s_or_b64 exec, exec, s[10:11]
	s_and_saveexec_b64 s[10:11], s[6:7]
; %bb.318:                              ;   in Loop: Header=BB25_12 Depth=1
	v_add_u32_e32 v2, 0, v159
	ds_write2_b32 v2, v26, v27 offset0:64 offset1:65
; %bb.319:                              ;   in Loop: Header=BB25_12 Depth=1
	s_or_b64 exec, exec, s[10:11]
	s_waitcnt lgkmcnt(0)
	s_barrier
	s_mov_b64 s[10:11], exec
	v_readlane_b32 s12, v224, 10
	v_readlane_b32 s13, v224, 11
	s_and_b64 s[12:13], s[10:11], s[12:13]
	s_xor_b64 s[10:11], s[12:13], s[10:11]
	s_mov_b64 exec, s[12:13]
	s_cbranch_execz .LBB25_321
; %bb.320:                              ;   in Loop: Header=BB25_12 Depth=1
	s_barrier
                                        ; implicit-def: $vgpr30
.LBB25_321:                             ;   in Loop: Header=BB25_12 Depth=1
	s_andn2_saveexec_b64 s[10:11], s[10:11]
	s_cbranch_execz .LBB25_325
; %bb.322:                              ;   in Loop: Header=BB25_12 Depth=1
	v_add_u32_e32 v6, 0, v160
	ds_read_b64 v[2:3], v6 offset:256
	s_waitcnt lgkmcnt(0)
	s_barrier
	ds_bpermute_b32 v7, v30, v2
	v_max_f32_e32 v10, v2, v2
	s_waitcnt lgkmcnt(0)
	v_max_f32_e32 v7, v7, v7
	v_max_f32_e32 v7, v10, v7
	v_sub_f32_e32 v2, v2, v7
	v_mul_f32_e32 v7, 0x3fb8aa3b, v2
	v_fma_f32 v10, v2, s33, -v7
	v_rndne_f32_e32 v11, v7
	v_fmac_f32_e32 v10, 0x32a5705f, v2
	v_sub_f32_e32 v7, v7, v11
	v_add_f32_e32 v7, v7, v10
	v_cvt_i32_f32_e32 v11, v11
	v_exp_f32_e32 v7, v7
	v_cmp_ngt_f32_e32 vcc, s8, v2
	v_ldexp_f32 v7, v7, v11
	s_nop 0
	v_cndmask_b32_e32 v7, 0, v7, vcc
	v_cmp_nlt_f32_e32 vcc, s9, v2
	s_nop 1
	v_cndmask_b32_e32 v2, v215, v7, vcc
	v_mul_f32_e32 v3, v3, v2
	ds_bpermute_b32 v7, v30, v3
	s_mov_b64 s[14:15], exec
	v_readlane_b32 s12, v224, 15
	v_readlane_b32 s13, v224, 16
	s_and_b64 s[12:13], s[14:15], s[12:13]
	s_mov_b64 exec, s[12:13]
	s_cbranch_execz .LBB25_324
; %bb.323:                              ;   in Loop: Header=BB25_12 Depth=1
	s_waitcnt lgkmcnt(0)
	v_add_f32_e32 v3, v3, v7
	ds_write_b64 v6, v[2:3] offset:256
.LBB25_324:                             ;   in Loop: Header=BB25_12 Depth=1
	s_or_b64 exec, exec, s[14:15]
.LBB25_325:                             ;   in Loop: Header=BB25_12 Depth=1
	s_or_b64 exec, exec, s[10:11]
	v_add_u32_e32 v2, v155, v161
	ds_write2_b32 v2, v31, v4 offset1:1
	ds_write2_b32 v2, v9, v5 offset0:8 offset1:9
	ds_write2_b32 v2, v34, v8 offset0:16 offset1:17
	;; [unrolled: 1-line block ×7, first 2 shown]
	s_waitcnt lgkmcnt(0)
	s_barrier
	s_and_saveexec_b64 s[76:77], s[0:1]
	s_cbranch_execz .LBB25_10
; %bb.326:                              ;   in Loop: Header=BB25_12 Depth=1
	v_add_u32_e32 v3, s84, v200
	v_or_b32_e32 v2, s65, v110
	v_cmp_gt_i32_e32 vcc, s36, v3
	v_cmp_gt_i32_e64 s[10:11], s88, v2
	s_and_b64 s[12:13], vcc, s[10:11]
	v_mov_b32_e32 v2, 0x47
	s_and_saveexec_b64 s[14:15], s[12:13]
	s_cbranch_execz .LBB25_328
; %bb.327:                              ;   in Loop: Header=BB25_12 Depth=1
	v_mad_u64_u32 v[2:3], s[12:13], v3, s37, v[110:111]
	v_add_u32_e32 v8, 0, v162
	v_add_u32_e32 v3, v182, v162
	ds_read2_b32 v[4:5], v8 offset0:64 offset1:65
	ds_read2st64_b32 v[6:7], v3 offset1:17
	ds_read_b32 v8, v8 offset:4608
	v_lshl_add_u32 v2, v2, 6, v46
	v_ashrrev_i32_e32 v3, 31, v2
	v_lshl_add_u64 v[2:3], v[2:3], 3, s[74:75]
	s_waitcnt lgkmcnt(1)
	v_cvt_f32_f16_e32 v10, v6
	v_cvt_f32_f16_sdwa v11, v6 dst_sel:DWORD dst_unused:UNUSED_PAD src0_sel:WORD_1
	v_cvt_f32_f16_e32 v6, v7
	v_cvt_f32_f16_sdwa v7, v7 dst_sel:DWORD dst_unused:UNUSED_PAD src0_sel:WORD_1
	v_pk_fma_f32 v[10:11], v[4:5], v[10:11], 0 op_sel_hi:[0,1,0]
	s_waitcnt lgkmcnt(0)
	v_pk_fma_f32 v[6:7], v[8:9], v[6:7], v[10:11] op_sel_hi:[0,1,1]
	v_div_scale_f32 v4, s[12:13], v5, v5, v7
	v_rcp_f32_e32 v8, v4
	s_nop 0
	v_fma_f32 v9, -v4, v8, 1.0
	v_fmac_f32_e32 v8, v9, v8
	v_div_scale_f32 v9, vcc, v7, v5, v7
	v_mul_f32_e32 v10, v9, v8
	v_fma_f32 v11, -v4, v10, v9
	v_fmac_f32_e32 v10, v11, v8
	v_fma_f32 v4, -v4, v10, v9
	v_div_fmas_f32 v4, v4, v8, v10
	v_div_fixup_f32 v7, v4, v5, v7
	v_div_scale_f32 v4, s[12:13], v5, v5, v6
	v_rcp_f32_e32 v8, v4
	s_nop 0
	v_fma_f32 v9, -v4, v8, 1.0
	v_fmac_f32_e32 v8, v9, v8
	v_div_scale_f32 v9, vcc, v6, v5, v6
	v_mul_f32_e32 v10, v9, v8
	v_fma_f32 v11, -v4, v10, v9
	v_fmac_f32_e32 v10, v11, v8
	v_fma_f32 v4, -v4, v10, v9
	v_div_fmas_f32 v4, v4, v8, v10
	v_div_fixup_f32 v6, v4, v5, v6
	global_store_dwordx2 v[2:3], v[6:7], off
	v_mov_b32_e32 v2, 0
.LBB25_328:                             ;   in Loop: Header=BB25_12 Depth=1
	s_or_b64 exec, exec, s[14:15]
	s_movk_i32 s2, 0x47
	v_cmp_gt_i32_e32 vcc, s2, v2
	s_mov_b64 s[14:15], -1
	s_and_saveexec_b64 s[78:79], vcc
; %bb.329:                              ;   in Loop: Header=BB25_12 Depth=1
	v_cmp_eq_u32_e32 vcc, 0, v2
	s_orn2_b64 s[14:15], vcc, exec
; %bb.330:                              ;   in Loop: Header=BB25_12 Depth=1
	s_or_b64 exec, exec, s[78:79]
	s_and_b64 exec, exec, s[14:15]
	s_cbranch_execz .LBB25_10
; %bb.331:                              ;   in Loop: Header=BB25_12 Depth=1
	v_add_u32_e32 v3, s84, v201
	v_or_b32_e32 v2, s65, v74
	v_cmp_gt_i32_e32 vcc, s36, v3
	v_cmp_gt_i32_e64 s[14:15], s88, v2
	s_and_b64 s[12:13], vcc, s[14:15]
	v_mov_b32_e32 v2, 0x47
	s_and_saveexec_b64 s[14:15], s[12:13]
	s_cbranch_execz .LBB25_333
; %bb.332:                              ;   in Loop: Header=BB25_12 Depth=1
	v_mad_u64_u32 v[2:3], s[12:13], v3, s37, v[74:75]
	v_add_u32_e32 v8, 0, v163
	v_add_u32_e32 v3, v182, v163
	ds_read2_b32 v[4:5], v8 offset0:64 offset1:65
	ds_read2st64_b32 v[6:7], v3 offset1:17
	ds_read_b32 v8, v8 offset:4608
	v_lshl_add_u32 v2, v2, 6, v46
	v_ashrrev_i32_e32 v3, 31, v2
	v_lshl_add_u64 v[2:3], v[2:3], 3, s[74:75]
	s_waitcnt lgkmcnt(1)
	v_cvt_f32_f16_e32 v10, v6
	v_cvt_f32_f16_sdwa v11, v6 dst_sel:DWORD dst_unused:UNUSED_PAD src0_sel:WORD_1
	v_cvt_f32_f16_e32 v6, v7
	v_cvt_f32_f16_sdwa v7, v7 dst_sel:DWORD dst_unused:UNUSED_PAD src0_sel:WORD_1
	v_pk_fma_f32 v[10:11], v[4:5], v[10:11], 0 op_sel_hi:[0,1,0]
	s_waitcnt lgkmcnt(0)
	v_pk_fma_f32 v[6:7], v[8:9], v[6:7], v[10:11] op_sel_hi:[0,1,1]
	v_div_scale_f32 v4, s[12:13], v5, v5, v7
	v_rcp_f32_e32 v8, v4
	s_nop 0
	v_fma_f32 v9, -v4, v8, 1.0
	v_fmac_f32_e32 v8, v9, v8
	v_div_scale_f32 v9, vcc, v7, v5, v7
	v_mul_f32_e32 v10, v9, v8
	v_fma_f32 v11, -v4, v10, v9
	v_fmac_f32_e32 v10, v11, v8
	v_fma_f32 v4, -v4, v10, v9
	v_div_fmas_f32 v4, v4, v8, v10
	v_div_fixup_f32 v7, v4, v5, v7
	v_div_scale_f32 v4, s[12:13], v5, v5, v6
	v_rcp_f32_e32 v8, v4
	s_nop 0
	v_fma_f32 v9, -v4, v8, 1.0
	v_fmac_f32_e32 v8, v9, v8
	v_div_scale_f32 v9, vcc, v6, v5, v6
	v_mul_f32_e32 v10, v9, v8
	v_fma_f32 v11, -v4, v10, v9
	v_fmac_f32_e32 v10, v11, v8
	v_fma_f32 v4, -v4, v10, v9
	v_div_fmas_f32 v4, v4, v8, v10
	v_div_fixup_f32 v6, v4, v5, v6
	global_store_dwordx2 v[2:3], v[6:7], off
	v_mov_b32_e32 v2, 0
.LBB25_333:                             ;   in Loop: Header=BB25_12 Depth=1
	s_or_b64 exec, exec, s[14:15]
	v_cmp_gt_i32_e32 vcc, s2, v2
	s_mov_b64 s[14:15], -1
	s_and_saveexec_b64 s[78:79], vcc
; %bb.334:                              ;   in Loop: Header=BB25_12 Depth=1
	v_cmp_eq_u32_e32 vcc, 0, v2
	s_orn2_b64 s[14:15], vcc, exec
; %bb.335:                              ;   in Loop: Header=BB25_12 Depth=1
	s_or_b64 exec, exec, s[78:79]
	s_and_b64 exec, exec, s[14:15]
	s_cbranch_execz .LBB25_10
; %bb.336:                              ;   in Loop: Header=BB25_12 Depth=1
	v_add_u32_e32 v3, s84, v202
	v_or_b32_e32 v2, s65, v76
	v_cmp_gt_i32_e32 vcc, s36, v3
	v_cmp_gt_i32_e64 s[14:15], s88, v2
	s_and_b64 s[12:13], vcc, s[14:15]
	v_mov_b32_e32 v2, 0x47
	s_and_saveexec_b64 s[14:15], s[12:13]
	s_cbranch_execz .LBB25_338
; %bb.337:                              ;   in Loop: Header=BB25_12 Depth=1
	v_mad_u64_u32 v[2:3], s[12:13], v3, s37, v[76:77]
	v_add_u32_e32 v8, 0, v164
	v_add_u32_e32 v3, v182, v164
	ds_read2_b32 v[4:5], v8 offset0:64 offset1:65
	ds_read2st64_b32 v[6:7], v3 offset1:17
	ds_read_b32 v8, v8 offset:4608
	v_lshl_add_u32 v2, v2, 6, v46
	v_ashrrev_i32_e32 v3, 31, v2
	v_lshl_add_u64 v[2:3], v[2:3], 3, s[74:75]
	s_waitcnt lgkmcnt(1)
	v_cvt_f32_f16_e32 v10, v6
	v_cvt_f32_f16_sdwa v11, v6 dst_sel:DWORD dst_unused:UNUSED_PAD src0_sel:WORD_1
	v_cvt_f32_f16_e32 v6, v7
	v_cvt_f32_f16_sdwa v7, v7 dst_sel:DWORD dst_unused:UNUSED_PAD src0_sel:WORD_1
	v_pk_fma_f32 v[10:11], v[4:5], v[10:11], 0 op_sel_hi:[0,1,0]
	s_waitcnt lgkmcnt(0)
	v_pk_fma_f32 v[6:7], v[8:9], v[6:7], v[10:11] op_sel_hi:[0,1,1]
	v_div_scale_f32 v4, s[12:13], v5, v5, v7
	v_rcp_f32_e32 v8, v4
	s_nop 0
	v_fma_f32 v9, -v4, v8, 1.0
	v_fmac_f32_e32 v8, v9, v8
	v_div_scale_f32 v9, vcc, v7, v5, v7
	v_mul_f32_e32 v10, v9, v8
	v_fma_f32 v11, -v4, v10, v9
	v_fmac_f32_e32 v10, v11, v8
	v_fma_f32 v4, -v4, v10, v9
	v_div_fmas_f32 v4, v4, v8, v10
	v_div_fixup_f32 v7, v4, v5, v7
	v_div_scale_f32 v4, s[12:13], v5, v5, v6
	v_rcp_f32_e32 v8, v4
	s_nop 0
	v_fma_f32 v9, -v4, v8, 1.0
	v_fmac_f32_e32 v8, v9, v8
	v_div_scale_f32 v9, vcc, v6, v5, v6
	v_mul_f32_e32 v10, v9, v8
	v_fma_f32 v11, -v4, v10, v9
	v_fmac_f32_e32 v10, v11, v8
	v_fma_f32 v4, -v4, v10, v9
	v_div_fmas_f32 v4, v4, v8, v10
	v_div_fixup_f32 v6, v4, v5, v6
	global_store_dwordx2 v[2:3], v[6:7], off
	v_mov_b32_e32 v2, 0
.LBB25_338:                             ;   in Loop: Header=BB25_12 Depth=1
	s_or_b64 exec, exec, s[14:15]
	v_cmp_gt_i32_e32 vcc, s2, v2
	s_mov_b64 s[14:15], -1
	s_and_saveexec_b64 s[78:79], vcc
; %bb.339:                              ;   in Loop: Header=BB25_12 Depth=1
	v_cmp_eq_u32_e32 vcc, 0, v2
	s_orn2_b64 s[14:15], vcc, exec
; %bb.340:                              ;   in Loop: Header=BB25_12 Depth=1
	s_or_b64 exec, exec, s[78:79]
	s_and_b64 exec, exec, s[14:15]
	s_cbranch_execz .LBB25_10
; %bb.341:                              ;   in Loop: Header=BB25_12 Depth=1
	v_add_u32_e32 v3, s84, v203
	v_or_b32_e32 v2, s65, v78
	v_cmp_gt_i32_e32 vcc, s36, v3
	v_cmp_gt_i32_e64 s[14:15], s88, v2
	s_and_b64 s[12:13], vcc, s[14:15]
	v_mov_b32_e32 v2, 0x47
	s_and_saveexec_b64 s[14:15], s[12:13]
	s_cbranch_execz .LBB25_343
; %bb.342:                              ;   in Loop: Header=BB25_12 Depth=1
	v_mad_u64_u32 v[2:3], s[12:13], v3, s37, v[78:79]
	v_add_u32_e32 v8, 0, v165
	v_add_u32_e32 v3, v182, v165
	ds_read2_b32 v[4:5], v8 offset0:64 offset1:65
	ds_read2st64_b32 v[6:7], v3 offset1:17
	ds_read_b32 v8, v8 offset:4608
	v_lshl_add_u32 v2, v2, 6, v46
	v_ashrrev_i32_e32 v3, 31, v2
	v_lshl_add_u64 v[2:3], v[2:3], 3, s[74:75]
	s_waitcnt lgkmcnt(1)
	v_cvt_f32_f16_e32 v10, v6
	v_cvt_f32_f16_sdwa v11, v6 dst_sel:DWORD dst_unused:UNUSED_PAD src0_sel:WORD_1
	v_cvt_f32_f16_e32 v6, v7
	v_cvt_f32_f16_sdwa v7, v7 dst_sel:DWORD dst_unused:UNUSED_PAD src0_sel:WORD_1
	v_pk_fma_f32 v[10:11], v[4:5], v[10:11], 0 op_sel_hi:[0,1,0]
	s_waitcnt lgkmcnt(0)
	v_pk_fma_f32 v[6:7], v[8:9], v[6:7], v[10:11] op_sel_hi:[0,1,1]
	v_div_scale_f32 v4, s[12:13], v5, v5, v7
	v_rcp_f32_e32 v8, v4
	s_nop 0
	v_fma_f32 v9, -v4, v8, 1.0
	v_fmac_f32_e32 v8, v9, v8
	v_div_scale_f32 v9, vcc, v7, v5, v7
	v_mul_f32_e32 v10, v9, v8
	v_fma_f32 v11, -v4, v10, v9
	v_fmac_f32_e32 v10, v11, v8
	v_fma_f32 v4, -v4, v10, v9
	v_div_fmas_f32 v4, v4, v8, v10
	v_div_fixup_f32 v7, v4, v5, v7
	v_div_scale_f32 v4, s[12:13], v5, v5, v6
	v_rcp_f32_e32 v8, v4
	s_nop 0
	v_fma_f32 v9, -v4, v8, 1.0
	v_fmac_f32_e32 v8, v9, v8
	v_div_scale_f32 v9, vcc, v6, v5, v6
	v_mul_f32_e32 v10, v9, v8
	v_fma_f32 v11, -v4, v10, v9
	v_fmac_f32_e32 v10, v11, v8
	v_fma_f32 v4, -v4, v10, v9
	v_div_fmas_f32 v4, v4, v8, v10
	v_div_fixup_f32 v6, v4, v5, v6
	global_store_dwordx2 v[2:3], v[6:7], off
	v_mov_b32_e32 v2, 0
.LBB25_343:                             ;   in Loop: Header=BB25_12 Depth=1
	s_or_b64 exec, exec, s[14:15]
	v_cmp_gt_i32_e32 vcc, s2, v2
	s_mov_b64 s[14:15], -1
	s_and_saveexec_b64 s[78:79], vcc
; %bb.344:                              ;   in Loop: Header=BB25_12 Depth=1
	v_cmp_eq_u32_e32 vcc, 0, v2
	s_orn2_b64 s[14:15], vcc, exec
; %bb.345:                              ;   in Loop: Header=BB25_12 Depth=1
	s_or_b64 exec, exec, s[78:79]
	s_and_b64 exec, exec, s[14:15]
	s_cbranch_execz .LBB25_10
; %bb.346:                              ;   in Loop: Header=BB25_12 Depth=1
	v_add_u32_e32 v3, s84, v166
	v_cmp_gt_i32_e32 vcc, s36, v3
	s_and_b64 s[12:13], vcc, s[10:11]
	v_mov_b32_e32 v2, 0x47
	s_and_saveexec_b64 s[14:15], s[12:13]
	s_cbranch_execz .LBB25_348
; %bb.347:                              ;   in Loop: Header=BB25_12 Depth=1
	v_mad_u64_u32 v[2:3], s[12:13], v3, s37, v[110:111]
	v_add_u32_e32 v8, 0, v167
	v_add_u32_e32 v3, v182, v167
	ds_read2_b32 v[4:5], v8 offset0:64 offset1:65
	ds_read2st64_b32 v[6:7], v3 offset1:17
	ds_read_b32 v8, v8 offset:4608
	v_lshl_add_u32 v2, v2, 6, v46
	v_ashrrev_i32_e32 v3, 31, v2
	v_lshl_add_u64 v[2:3], v[2:3], 3, s[74:75]
	s_waitcnt lgkmcnt(1)
	v_cvt_f32_f16_e32 v10, v6
	v_cvt_f32_f16_sdwa v11, v6 dst_sel:DWORD dst_unused:UNUSED_PAD src0_sel:WORD_1
	v_cvt_f32_f16_e32 v6, v7
	v_cvt_f32_f16_sdwa v7, v7 dst_sel:DWORD dst_unused:UNUSED_PAD src0_sel:WORD_1
	v_pk_fma_f32 v[10:11], v[4:5], v[10:11], 0 op_sel_hi:[0,1,0]
	s_waitcnt lgkmcnt(0)
	v_pk_fma_f32 v[6:7], v[8:9], v[6:7], v[10:11] op_sel_hi:[0,1,1]
	v_div_scale_f32 v4, s[12:13], v5, v5, v7
	v_rcp_f32_e32 v8, v4
	s_nop 0
	v_fma_f32 v9, -v4, v8, 1.0
	v_fmac_f32_e32 v8, v9, v8
	v_div_scale_f32 v9, vcc, v7, v5, v7
	v_mul_f32_e32 v10, v9, v8
	v_fma_f32 v11, -v4, v10, v9
	v_fmac_f32_e32 v10, v11, v8
	v_fma_f32 v4, -v4, v10, v9
	v_div_fmas_f32 v4, v4, v8, v10
	v_div_fixup_f32 v7, v4, v5, v7
	v_div_scale_f32 v4, s[12:13], v5, v5, v6
	v_rcp_f32_e32 v8, v4
	s_nop 0
	v_fma_f32 v9, -v4, v8, 1.0
	v_fmac_f32_e32 v8, v9, v8
	v_div_scale_f32 v9, vcc, v6, v5, v6
	v_mul_f32_e32 v10, v9, v8
	v_fma_f32 v11, -v4, v10, v9
	v_fmac_f32_e32 v10, v11, v8
	v_fma_f32 v4, -v4, v10, v9
	v_div_fmas_f32 v4, v4, v8, v10
	v_div_fixup_f32 v6, v4, v5, v6
	global_store_dwordx2 v[2:3], v[6:7], off
	v_mov_b32_e32 v2, 0
.LBB25_348:                             ;   in Loop: Header=BB25_12 Depth=1
	s_or_b64 exec, exec, s[14:15]
	v_cmp_gt_i32_e32 vcc, s2, v2
	s_mov_b64 s[14:15], -1
	s_and_saveexec_b64 s[78:79], vcc
; %bb.349:                              ;   in Loop: Header=BB25_12 Depth=1
	v_cmp_eq_u32_e32 vcc, 0, v2
	s_orn2_b64 s[14:15], vcc, exec
; %bb.350:                              ;   in Loop: Header=BB25_12 Depth=1
	s_or_b64 exec, exec, s[78:79]
	s_and_b64 exec, exec, s[14:15]
	s_cbranch_execz .LBB25_10
; %bb.351:                              ;   in Loop: Header=BB25_12 Depth=1
	v_add_u32_e32 v3, s84, v204
	v_or_b32_e32 v2, s65, v80
	v_cmp_gt_i32_e32 vcc, s36, v3
	v_cmp_gt_i32_e64 s[14:15], s88, v2
	s_and_b64 s[12:13], vcc, s[14:15]
	v_mov_b32_e32 v2, 0x47
	s_and_saveexec_b64 s[14:15], s[12:13]
	s_cbranch_execz .LBB25_353
; %bb.352:                              ;   in Loop: Header=BB25_12 Depth=1
	v_mad_u64_u32 v[2:3], s[12:13], v3, s37, v[80:81]
	v_add_u32_e32 v8, 0, v168
	v_add_u32_e32 v3, v182, v168
	ds_read2_b32 v[4:5], v8 offset0:64 offset1:65
	ds_read2st64_b32 v[6:7], v3 offset1:17
	ds_read_b32 v8, v8 offset:4608
	v_lshl_add_u32 v2, v2, 6, v46
	v_ashrrev_i32_e32 v3, 31, v2
	v_lshl_add_u64 v[2:3], v[2:3], 3, s[74:75]
	s_waitcnt lgkmcnt(1)
	v_cvt_f32_f16_e32 v10, v6
	v_cvt_f32_f16_sdwa v11, v6 dst_sel:DWORD dst_unused:UNUSED_PAD src0_sel:WORD_1
	v_cvt_f32_f16_e32 v6, v7
	v_cvt_f32_f16_sdwa v7, v7 dst_sel:DWORD dst_unused:UNUSED_PAD src0_sel:WORD_1
	v_pk_fma_f32 v[10:11], v[4:5], v[10:11], 0 op_sel_hi:[0,1,0]
	s_waitcnt lgkmcnt(0)
	v_pk_fma_f32 v[6:7], v[8:9], v[6:7], v[10:11] op_sel_hi:[0,1,1]
	v_div_scale_f32 v4, s[12:13], v5, v5, v7
	v_rcp_f32_e32 v8, v4
	s_nop 0
	v_fma_f32 v9, -v4, v8, 1.0
	v_fmac_f32_e32 v8, v9, v8
	v_div_scale_f32 v9, vcc, v7, v5, v7
	v_mul_f32_e32 v10, v9, v8
	v_fma_f32 v11, -v4, v10, v9
	v_fmac_f32_e32 v10, v11, v8
	v_fma_f32 v4, -v4, v10, v9
	v_div_fmas_f32 v4, v4, v8, v10
	v_div_fixup_f32 v7, v4, v5, v7
	v_div_scale_f32 v4, s[12:13], v5, v5, v6
	v_rcp_f32_e32 v8, v4
	s_nop 0
	v_fma_f32 v9, -v4, v8, 1.0
	v_fmac_f32_e32 v8, v9, v8
	v_div_scale_f32 v9, vcc, v6, v5, v6
	v_mul_f32_e32 v10, v9, v8
	v_fma_f32 v11, -v4, v10, v9
	v_fmac_f32_e32 v10, v11, v8
	v_fma_f32 v4, -v4, v10, v9
	v_div_fmas_f32 v4, v4, v8, v10
	v_div_fixup_f32 v6, v4, v5, v6
	global_store_dwordx2 v[2:3], v[6:7], off
	v_mov_b32_e32 v2, 0
.LBB25_353:                             ;   in Loop: Header=BB25_12 Depth=1
	s_or_b64 exec, exec, s[14:15]
	v_cmp_gt_i32_e32 vcc, s2, v2
	s_mov_b64 s[14:15], -1
	s_and_saveexec_b64 s[78:79], vcc
; %bb.354:                              ;   in Loop: Header=BB25_12 Depth=1
	v_cmp_eq_u32_e32 vcc, 0, v2
	s_orn2_b64 s[14:15], vcc, exec
; %bb.355:                              ;   in Loop: Header=BB25_12 Depth=1
	s_or_b64 exec, exec, s[78:79]
	s_and_b64 exec, exec, s[14:15]
	s_cbranch_execz .LBB25_10
; %bb.356:                              ;   in Loop: Header=BB25_12 Depth=1
	v_add_u32_e32 v3, s84, v205
	v_or_b32_e32 v2, s65, v82
	v_cmp_gt_i32_e32 vcc, s36, v3
	v_cmp_gt_i32_e64 s[14:15], s88, v2
	s_and_b64 s[12:13], vcc, s[14:15]
	v_mov_b32_e32 v2, 0x47
	s_and_saveexec_b64 s[14:15], s[12:13]
	s_cbranch_execz .LBB25_358
; %bb.357:                              ;   in Loop: Header=BB25_12 Depth=1
	v_mad_u64_u32 v[2:3], s[12:13], v3, s37, v[82:83]
	v_add_u32_e32 v8, 0, v169
	v_add_u32_e32 v3, v182, v169
	ds_read2_b32 v[4:5], v8 offset0:64 offset1:65
	ds_read2st64_b32 v[6:7], v3 offset1:17
	ds_read_b32 v8, v8 offset:4608
	v_lshl_add_u32 v2, v2, 6, v46
	v_ashrrev_i32_e32 v3, 31, v2
	v_lshl_add_u64 v[2:3], v[2:3], 3, s[74:75]
	s_waitcnt lgkmcnt(1)
	v_cvt_f32_f16_e32 v10, v6
	v_cvt_f32_f16_sdwa v11, v6 dst_sel:DWORD dst_unused:UNUSED_PAD src0_sel:WORD_1
	v_cvt_f32_f16_e32 v6, v7
	v_cvt_f32_f16_sdwa v7, v7 dst_sel:DWORD dst_unused:UNUSED_PAD src0_sel:WORD_1
	v_pk_fma_f32 v[10:11], v[4:5], v[10:11], 0 op_sel_hi:[0,1,0]
	s_waitcnt lgkmcnt(0)
	v_pk_fma_f32 v[6:7], v[8:9], v[6:7], v[10:11] op_sel_hi:[0,1,1]
	v_div_scale_f32 v4, s[12:13], v5, v5, v7
	v_rcp_f32_e32 v8, v4
	s_nop 0
	v_fma_f32 v9, -v4, v8, 1.0
	v_fmac_f32_e32 v8, v9, v8
	v_div_scale_f32 v9, vcc, v7, v5, v7
	v_mul_f32_e32 v10, v9, v8
	v_fma_f32 v11, -v4, v10, v9
	v_fmac_f32_e32 v10, v11, v8
	v_fma_f32 v4, -v4, v10, v9
	v_div_fmas_f32 v4, v4, v8, v10
	v_div_fixup_f32 v7, v4, v5, v7
	v_div_scale_f32 v4, s[12:13], v5, v5, v6
	v_rcp_f32_e32 v8, v4
	s_nop 0
	v_fma_f32 v9, -v4, v8, 1.0
	v_fmac_f32_e32 v8, v9, v8
	v_div_scale_f32 v9, vcc, v6, v5, v6
	v_mul_f32_e32 v10, v9, v8
	v_fma_f32 v11, -v4, v10, v9
	v_fmac_f32_e32 v10, v11, v8
	v_fma_f32 v4, -v4, v10, v9
	v_div_fmas_f32 v4, v4, v8, v10
	v_div_fixup_f32 v6, v4, v5, v6
	global_store_dwordx2 v[2:3], v[6:7], off
	v_mov_b32_e32 v2, 0
.LBB25_358:                             ;   in Loop: Header=BB25_12 Depth=1
	s_or_b64 exec, exec, s[14:15]
	v_cmp_gt_i32_e32 vcc, s2, v2
	s_mov_b64 s[14:15], -1
	s_and_saveexec_b64 s[78:79], vcc
; %bb.359:                              ;   in Loop: Header=BB25_12 Depth=1
	v_cmp_eq_u32_e32 vcc, 0, v2
	s_orn2_b64 s[14:15], vcc, exec
; %bb.360:                              ;   in Loop: Header=BB25_12 Depth=1
	s_or_b64 exec, exec, s[78:79]
	s_and_b64 exec, exec, s[14:15]
	s_cbranch_execz .LBB25_10
; %bb.361:                              ;   in Loop: Header=BB25_12 Depth=1
	v_add_u32_e32 v3, s84, v206
	v_or_b32_e32 v2, s65, v84
	v_cmp_gt_i32_e32 vcc, s36, v3
	v_cmp_gt_i32_e64 s[14:15], s88, v2
	s_and_b64 s[12:13], vcc, s[14:15]
	v_mov_b32_e32 v2, 0x47
	s_and_saveexec_b64 s[14:15], s[12:13]
	s_cbranch_execz .LBB25_363
; %bb.362:                              ;   in Loop: Header=BB25_12 Depth=1
	v_mad_u64_u32 v[2:3], s[12:13], v3, s37, v[84:85]
	v_add_u32_e32 v8, 0, v170
	v_add_u32_e32 v3, v182, v170
	ds_read2_b32 v[4:5], v8 offset0:64 offset1:65
	ds_read2st64_b32 v[6:7], v3 offset1:17
	ds_read_b32 v8, v8 offset:4608
	v_lshl_add_u32 v2, v2, 6, v46
	v_ashrrev_i32_e32 v3, 31, v2
	v_lshl_add_u64 v[2:3], v[2:3], 3, s[74:75]
	s_waitcnt lgkmcnt(1)
	v_cvt_f32_f16_e32 v10, v6
	v_cvt_f32_f16_sdwa v11, v6 dst_sel:DWORD dst_unused:UNUSED_PAD src0_sel:WORD_1
	v_cvt_f32_f16_e32 v6, v7
	v_cvt_f32_f16_sdwa v7, v7 dst_sel:DWORD dst_unused:UNUSED_PAD src0_sel:WORD_1
	v_pk_fma_f32 v[10:11], v[4:5], v[10:11], 0 op_sel_hi:[0,1,0]
	s_waitcnt lgkmcnt(0)
	v_pk_fma_f32 v[6:7], v[8:9], v[6:7], v[10:11] op_sel_hi:[0,1,1]
	v_div_scale_f32 v4, s[12:13], v5, v5, v7
	v_rcp_f32_e32 v8, v4
	s_nop 0
	v_fma_f32 v9, -v4, v8, 1.0
	v_fmac_f32_e32 v8, v9, v8
	v_div_scale_f32 v9, vcc, v7, v5, v7
	v_mul_f32_e32 v10, v9, v8
	v_fma_f32 v11, -v4, v10, v9
	v_fmac_f32_e32 v10, v11, v8
	v_fma_f32 v4, -v4, v10, v9
	v_div_fmas_f32 v4, v4, v8, v10
	v_div_fixup_f32 v7, v4, v5, v7
	v_div_scale_f32 v4, s[12:13], v5, v5, v6
	v_rcp_f32_e32 v8, v4
	s_nop 0
	v_fma_f32 v9, -v4, v8, 1.0
	v_fmac_f32_e32 v8, v9, v8
	v_div_scale_f32 v9, vcc, v6, v5, v6
	v_mul_f32_e32 v10, v9, v8
	v_fma_f32 v11, -v4, v10, v9
	v_fmac_f32_e32 v10, v11, v8
	v_fma_f32 v4, -v4, v10, v9
	v_div_fmas_f32 v4, v4, v8, v10
	v_div_fixup_f32 v6, v4, v5, v6
	global_store_dwordx2 v[2:3], v[6:7], off
	v_mov_b32_e32 v2, 0
.LBB25_363:                             ;   in Loop: Header=BB25_12 Depth=1
	s_or_b64 exec, exec, s[14:15]
	v_cmp_gt_i32_e32 vcc, s2, v2
	s_mov_b64 s[14:15], -1
	s_and_saveexec_b64 s[78:79], vcc
; %bb.364:                              ;   in Loop: Header=BB25_12 Depth=1
	v_cmp_eq_u32_e32 vcc, 0, v2
	s_orn2_b64 s[14:15], vcc, exec
; %bb.365:                              ;   in Loop: Header=BB25_12 Depth=1
	s_or_b64 exec, exec, s[78:79]
	s_and_b64 exec, exec, s[14:15]
	s_cbranch_execz .LBB25_10
; %bb.366:                              ;   in Loop: Header=BB25_12 Depth=1
	v_add_u32_e32 v3, s84, v171
	v_cmp_gt_i32_e32 vcc, s36, v3
	s_and_b64 s[12:13], vcc, s[10:11]
	v_mov_b32_e32 v2, 0x47
	s_and_saveexec_b64 s[14:15], s[12:13]
	s_cbranch_execz .LBB25_368
; %bb.367:                              ;   in Loop: Header=BB25_12 Depth=1
	v_mad_u64_u32 v[2:3], s[12:13], v3, s37, v[110:111]
	v_add_u32_e32 v8, 0, v172
	v_add_u32_e32 v3, v182, v172
	ds_read2_b32 v[4:5], v8 offset0:64 offset1:65
	ds_read2st64_b32 v[6:7], v3 offset1:17
	ds_read_b32 v8, v8 offset:4608
	v_lshl_add_u32 v2, v2, 6, v46
	v_ashrrev_i32_e32 v3, 31, v2
	v_lshl_add_u64 v[2:3], v[2:3], 3, s[74:75]
	s_waitcnt lgkmcnt(1)
	v_cvt_f32_f16_e32 v10, v6
	v_cvt_f32_f16_sdwa v11, v6 dst_sel:DWORD dst_unused:UNUSED_PAD src0_sel:WORD_1
	v_cvt_f32_f16_e32 v6, v7
	v_cvt_f32_f16_sdwa v7, v7 dst_sel:DWORD dst_unused:UNUSED_PAD src0_sel:WORD_1
	v_pk_fma_f32 v[10:11], v[4:5], v[10:11], 0 op_sel_hi:[0,1,0]
	s_waitcnt lgkmcnt(0)
	v_pk_fma_f32 v[6:7], v[8:9], v[6:7], v[10:11] op_sel_hi:[0,1,1]
	v_div_scale_f32 v4, s[12:13], v5, v5, v7
	v_rcp_f32_e32 v8, v4
	s_nop 0
	v_fma_f32 v9, -v4, v8, 1.0
	v_fmac_f32_e32 v8, v9, v8
	v_div_scale_f32 v9, vcc, v7, v5, v7
	v_mul_f32_e32 v10, v9, v8
	v_fma_f32 v11, -v4, v10, v9
	v_fmac_f32_e32 v10, v11, v8
	v_fma_f32 v4, -v4, v10, v9
	v_div_fmas_f32 v4, v4, v8, v10
	v_div_fixup_f32 v7, v4, v5, v7
	v_div_scale_f32 v4, s[12:13], v5, v5, v6
	v_rcp_f32_e32 v8, v4
	s_nop 0
	v_fma_f32 v9, -v4, v8, 1.0
	v_fmac_f32_e32 v8, v9, v8
	v_div_scale_f32 v9, vcc, v6, v5, v6
	v_mul_f32_e32 v10, v9, v8
	v_fma_f32 v11, -v4, v10, v9
	v_fmac_f32_e32 v10, v11, v8
	v_fma_f32 v4, -v4, v10, v9
	v_div_fmas_f32 v4, v4, v8, v10
	v_div_fixup_f32 v6, v4, v5, v6
	global_store_dwordx2 v[2:3], v[6:7], off
	v_mov_b32_e32 v2, 0
.LBB25_368:                             ;   in Loop: Header=BB25_12 Depth=1
	s_or_b64 exec, exec, s[14:15]
	v_cmp_gt_i32_e32 vcc, s2, v2
	s_mov_b64 s[14:15], -1
	s_and_saveexec_b64 s[78:79], vcc
; %bb.369:                              ;   in Loop: Header=BB25_12 Depth=1
	v_cmp_eq_u32_e32 vcc, 0, v2
	s_orn2_b64 s[14:15], vcc, exec
; %bb.370:                              ;   in Loop: Header=BB25_12 Depth=1
	s_or_b64 exec, exec, s[78:79]
	s_and_b64 exec, exec, s[14:15]
	s_cbranch_execz .LBB25_10
; %bb.371:                              ;   in Loop: Header=BB25_12 Depth=1
	v_add_u32_e32 v3, s84, v207
	v_or_b32_e32 v2, s65, v86
	v_cmp_gt_i32_e32 vcc, s36, v3
	v_cmp_gt_i32_e64 s[14:15], s88, v2
	s_and_b64 s[12:13], vcc, s[14:15]
	v_mov_b32_e32 v2, 0x47
	s_and_saveexec_b64 s[14:15], s[12:13]
	s_cbranch_execz .LBB25_373
; %bb.372:                              ;   in Loop: Header=BB25_12 Depth=1
	v_mad_u64_u32 v[2:3], s[12:13], v3, s37, v[86:87]
	v_add_u32_e32 v8, 0, v173
	v_add_u32_e32 v3, v182, v173
	ds_read2_b32 v[4:5], v8 offset0:64 offset1:65
	ds_read2st64_b32 v[6:7], v3 offset1:17
	ds_read_b32 v8, v8 offset:4608
	v_lshl_add_u32 v2, v2, 6, v46
	v_ashrrev_i32_e32 v3, 31, v2
	v_lshl_add_u64 v[2:3], v[2:3], 3, s[74:75]
	s_waitcnt lgkmcnt(1)
	v_cvt_f32_f16_e32 v10, v6
	v_cvt_f32_f16_sdwa v11, v6 dst_sel:DWORD dst_unused:UNUSED_PAD src0_sel:WORD_1
	v_cvt_f32_f16_e32 v6, v7
	v_cvt_f32_f16_sdwa v7, v7 dst_sel:DWORD dst_unused:UNUSED_PAD src0_sel:WORD_1
	v_pk_fma_f32 v[10:11], v[4:5], v[10:11], 0 op_sel_hi:[0,1,0]
	s_waitcnt lgkmcnt(0)
	v_pk_fma_f32 v[6:7], v[8:9], v[6:7], v[10:11] op_sel_hi:[0,1,1]
	v_div_scale_f32 v4, s[12:13], v5, v5, v7
	v_rcp_f32_e32 v8, v4
	s_nop 0
	v_fma_f32 v9, -v4, v8, 1.0
	v_fmac_f32_e32 v8, v9, v8
	v_div_scale_f32 v9, vcc, v7, v5, v7
	v_mul_f32_e32 v10, v9, v8
	v_fma_f32 v11, -v4, v10, v9
	v_fmac_f32_e32 v10, v11, v8
	v_fma_f32 v4, -v4, v10, v9
	v_div_fmas_f32 v4, v4, v8, v10
	v_div_fixup_f32 v7, v4, v5, v7
	v_div_scale_f32 v4, s[12:13], v5, v5, v6
	v_rcp_f32_e32 v8, v4
	s_nop 0
	v_fma_f32 v9, -v4, v8, 1.0
	v_fmac_f32_e32 v8, v9, v8
	v_div_scale_f32 v9, vcc, v6, v5, v6
	v_mul_f32_e32 v10, v9, v8
	v_fma_f32 v11, -v4, v10, v9
	v_fmac_f32_e32 v10, v11, v8
	v_fma_f32 v4, -v4, v10, v9
	v_div_fmas_f32 v4, v4, v8, v10
	v_div_fixup_f32 v6, v4, v5, v6
	global_store_dwordx2 v[2:3], v[6:7], off
	v_mov_b32_e32 v2, 0
.LBB25_373:                             ;   in Loop: Header=BB25_12 Depth=1
	s_or_b64 exec, exec, s[14:15]
	v_cmp_gt_i32_e32 vcc, s2, v2
	s_mov_b64 s[14:15], -1
	s_and_saveexec_b64 s[78:79], vcc
; %bb.374:                              ;   in Loop: Header=BB25_12 Depth=1
	v_cmp_eq_u32_e32 vcc, 0, v2
	s_orn2_b64 s[14:15], vcc, exec
; %bb.375:                              ;   in Loop: Header=BB25_12 Depth=1
	s_or_b64 exec, exec, s[78:79]
	s_and_b64 exec, exec, s[14:15]
	s_cbranch_execz .LBB25_10
; %bb.376:                              ;   in Loop: Header=BB25_12 Depth=1
	v_add_u32_e32 v3, s84, v208
	v_or_b32_e32 v2, s65, v88
	v_cmp_gt_i32_e32 vcc, s36, v3
	v_cmp_gt_i32_e64 s[14:15], s88, v2
	s_and_b64 s[12:13], vcc, s[14:15]
	v_mov_b32_e32 v2, 0x47
	s_and_saveexec_b64 s[14:15], s[12:13]
	s_cbranch_execz .LBB25_378
; %bb.377:                              ;   in Loop: Header=BB25_12 Depth=1
	v_mad_u64_u32 v[2:3], s[12:13], v3, s37, v[88:89]
	v_add_u32_e32 v8, 0, v174
	v_add_u32_e32 v3, v182, v174
	ds_read2_b32 v[4:5], v8 offset0:64 offset1:65
	ds_read2st64_b32 v[6:7], v3 offset1:17
	ds_read_b32 v8, v8 offset:4608
	v_lshl_add_u32 v2, v2, 6, v46
	v_ashrrev_i32_e32 v3, 31, v2
	v_lshl_add_u64 v[2:3], v[2:3], 3, s[74:75]
	s_waitcnt lgkmcnt(1)
	v_cvt_f32_f16_e32 v10, v6
	v_cvt_f32_f16_sdwa v11, v6 dst_sel:DWORD dst_unused:UNUSED_PAD src0_sel:WORD_1
	v_cvt_f32_f16_e32 v6, v7
	v_cvt_f32_f16_sdwa v7, v7 dst_sel:DWORD dst_unused:UNUSED_PAD src0_sel:WORD_1
	v_pk_fma_f32 v[10:11], v[4:5], v[10:11], 0 op_sel_hi:[0,1,0]
	s_waitcnt lgkmcnt(0)
	v_pk_fma_f32 v[6:7], v[8:9], v[6:7], v[10:11] op_sel_hi:[0,1,1]
	v_div_scale_f32 v4, s[12:13], v5, v5, v7
	v_rcp_f32_e32 v8, v4
	s_nop 0
	v_fma_f32 v9, -v4, v8, 1.0
	v_fmac_f32_e32 v8, v9, v8
	v_div_scale_f32 v9, vcc, v7, v5, v7
	v_mul_f32_e32 v10, v9, v8
	v_fma_f32 v11, -v4, v10, v9
	v_fmac_f32_e32 v10, v11, v8
	v_fma_f32 v4, -v4, v10, v9
	v_div_fmas_f32 v4, v4, v8, v10
	v_div_fixup_f32 v7, v4, v5, v7
	v_div_scale_f32 v4, s[12:13], v5, v5, v6
	v_rcp_f32_e32 v8, v4
	s_nop 0
	v_fma_f32 v9, -v4, v8, 1.0
	v_fmac_f32_e32 v8, v9, v8
	v_div_scale_f32 v9, vcc, v6, v5, v6
	v_mul_f32_e32 v10, v9, v8
	v_fma_f32 v11, -v4, v10, v9
	v_fmac_f32_e32 v10, v11, v8
	v_fma_f32 v4, -v4, v10, v9
	v_div_fmas_f32 v4, v4, v8, v10
	v_div_fixup_f32 v6, v4, v5, v6
	global_store_dwordx2 v[2:3], v[6:7], off
	v_mov_b32_e32 v2, 0
.LBB25_378:                             ;   in Loop: Header=BB25_12 Depth=1
	s_or_b64 exec, exec, s[14:15]
	v_cmp_gt_i32_e32 vcc, s2, v2
	s_mov_b64 s[14:15], -1
	s_and_saveexec_b64 s[78:79], vcc
; %bb.379:                              ;   in Loop: Header=BB25_12 Depth=1
	v_cmp_eq_u32_e32 vcc, 0, v2
	s_orn2_b64 s[14:15], vcc, exec
; %bb.380:                              ;   in Loop: Header=BB25_12 Depth=1
	s_or_b64 exec, exec, s[78:79]
	s_and_b64 exec, exec, s[14:15]
	s_cbranch_execz .LBB25_10
; %bb.381:                              ;   in Loop: Header=BB25_12 Depth=1
	v_add_u32_e32 v3, s84, v209
	v_or_b32_e32 v2, s65, v90
	v_cmp_gt_i32_e32 vcc, s36, v3
	v_cmp_gt_i32_e64 s[14:15], s88, v2
	s_and_b64 s[12:13], vcc, s[14:15]
	v_mov_b32_e32 v2, 0x47
	s_and_saveexec_b64 s[14:15], s[12:13]
	s_cbranch_execz .LBB25_383
; %bb.382:                              ;   in Loop: Header=BB25_12 Depth=1
	v_mad_u64_u32 v[2:3], s[12:13], v3, s37, v[90:91]
	v_add_u32_e32 v8, 0, v175
	v_add_u32_e32 v3, v182, v175
	ds_read2_b32 v[4:5], v8 offset0:64 offset1:65
	ds_read2st64_b32 v[6:7], v3 offset1:17
	ds_read_b32 v8, v8 offset:4608
	v_lshl_add_u32 v2, v2, 6, v46
	v_ashrrev_i32_e32 v3, 31, v2
	v_lshl_add_u64 v[2:3], v[2:3], 3, s[74:75]
	s_waitcnt lgkmcnt(1)
	v_cvt_f32_f16_e32 v10, v6
	v_cvt_f32_f16_sdwa v11, v6 dst_sel:DWORD dst_unused:UNUSED_PAD src0_sel:WORD_1
	v_cvt_f32_f16_e32 v6, v7
	v_cvt_f32_f16_sdwa v7, v7 dst_sel:DWORD dst_unused:UNUSED_PAD src0_sel:WORD_1
	v_pk_fma_f32 v[10:11], v[4:5], v[10:11], 0 op_sel_hi:[0,1,0]
	s_waitcnt lgkmcnt(0)
	v_pk_fma_f32 v[6:7], v[8:9], v[6:7], v[10:11] op_sel_hi:[0,1,1]
	v_div_scale_f32 v4, s[12:13], v5, v5, v7
	v_rcp_f32_e32 v8, v4
	s_nop 0
	v_fma_f32 v9, -v4, v8, 1.0
	v_fmac_f32_e32 v8, v9, v8
	v_div_scale_f32 v9, vcc, v7, v5, v7
	v_mul_f32_e32 v10, v9, v8
	v_fma_f32 v11, -v4, v10, v9
	v_fmac_f32_e32 v10, v11, v8
	v_fma_f32 v4, -v4, v10, v9
	v_div_fmas_f32 v4, v4, v8, v10
	v_div_fixup_f32 v7, v4, v5, v7
	v_div_scale_f32 v4, s[12:13], v5, v5, v6
	v_rcp_f32_e32 v8, v4
	s_nop 0
	v_fma_f32 v9, -v4, v8, 1.0
	v_fmac_f32_e32 v8, v9, v8
	v_div_scale_f32 v9, vcc, v6, v5, v6
	v_mul_f32_e32 v10, v9, v8
	v_fma_f32 v11, -v4, v10, v9
	v_fmac_f32_e32 v10, v11, v8
	v_fma_f32 v4, -v4, v10, v9
	v_div_fmas_f32 v4, v4, v8, v10
	v_div_fixup_f32 v6, v4, v5, v6
	global_store_dwordx2 v[2:3], v[6:7], off
	v_mov_b32_e32 v2, 0
.LBB25_383:                             ;   in Loop: Header=BB25_12 Depth=1
	s_or_b64 exec, exec, s[14:15]
	v_cmp_gt_i32_e32 vcc, s2, v2
	s_mov_b64 s[14:15], -1
	s_and_saveexec_b64 s[78:79], vcc
; %bb.384:                              ;   in Loop: Header=BB25_12 Depth=1
	v_cmp_eq_u32_e32 vcc, 0, v2
	s_orn2_b64 s[14:15], vcc, exec
; %bb.385:                              ;   in Loop: Header=BB25_12 Depth=1
	s_or_b64 exec, exec, s[78:79]
	s_and_b64 exec, exec, s[14:15]
	s_cbranch_execz .LBB25_10
; %bb.386:                              ;   in Loop: Header=BB25_12 Depth=1
	v_add_u32_e32 v3, s84, v176
	v_cmp_gt_i32_e32 vcc, s36, v3
	s_and_b64 s[12:13], vcc, s[10:11]
	v_mov_b32_e32 v2, 0x47
	s_and_saveexec_b64 s[10:11], s[12:13]
	s_cbranch_execz .LBB25_388
; %bb.387:                              ;   in Loop: Header=BB25_12 Depth=1
	v_mad_u64_u32 v[2:3], s[12:13], v3, s37, v[110:111]
	v_add_u32_e32 v8, 0, v177
	v_add_u32_e32 v3, v182, v177
	ds_read2_b32 v[4:5], v8 offset0:64 offset1:65
	ds_read2st64_b32 v[6:7], v3 offset1:17
	ds_read_b32 v8, v8 offset:4608
	v_lshl_add_u32 v2, v2, 6, v46
	v_ashrrev_i32_e32 v3, 31, v2
	v_lshl_add_u64 v[2:3], v[2:3], 3, s[74:75]
	s_waitcnt lgkmcnt(1)
	v_cvt_f32_f16_e32 v10, v6
	v_cvt_f32_f16_sdwa v11, v6 dst_sel:DWORD dst_unused:UNUSED_PAD src0_sel:WORD_1
	v_cvt_f32_f16_e32 v6, v7
	v_cvt_f32_f16_sdwa v7, v7 dst_sel:DWORD dst_unused:UNUSED_PAD src0_sel:WORD_1
	v_pk_fma_f32 v[10:11], v[4:5], v[10:11], 0 op_sel_hi:[0,1,0]
	s_waitcnt lgkmcnt(0)
	v_pk_fma_f32 v[6:7], v[8:9], v[6:7], v[10:11] op_sel_hi:[0,1,1]
	v_div_scale_f32 v4, s[12:13], v5, v5, v7
	v_rcp_f32_e32 v8, v4
	s_nop 0
	v_fma_f32 v9, -v4, v8, 1.0
	v_fmac_f32_e32 v8, v9, v8
	v_div_scale_f32 v9, vcc, v7, v5, v7
	v_mul_f32_e32 v10, v9, v8
	v_fma_f32 v11, -v4, v10, v9
	v_fmac_f32_e32 v10, v11, v8
	v_fma_f32 v4, -v4, v10, v9
	v_div_fmas_f32 v4, v4, v8, v10
	v_div_fixup_f32 v7, v4, v5, v7
	v_div_scale_f32 v4, s[12:13], v5, v5, v6
	v_rcp_f32_e32 v8, v4
	s_nop 0
	v_fma_f32 v9, -v4, v8, 1.0
	v_fmac_f32_e32 v8, v9, v8
	v_div_scale_f32 v9, vcc, v6, v5, v6
	v_mul_f32_e32 v10, v9, v8
	v_fma_f32 v11, -v4, v10, v9
	v_fmac_f32_e32 v10, v11, v8
	v_fma_f32 v4, -v4, v10, v9
	v_div_fmas_f32 v4, v4, v8, v10
	v_div_fixup_f32 v6, v4, v5, v6
	global_store_dwordx2 v[2:3], v[6:7], off
	v_mov_b32_e32 v2, 0
.LBB25_388:                             ;   in Loop: Header=BB25_12 Depth=1
	s_or_b64 exec, exec, s[10:11]
	v_cmp_gt_i32_e32 vcc, s2, v2
	s_mov_b64 s[10:11], -1
	s_and_saveexec_b64 s[14:15], vcc
; %bb.389:                              ;   in Loop: Header=BB25_12 Depth=1
	v_cmp_eq_u32_e32 vcc, 0, v2
	s_orn2_b64 s[10:11], vcc, exec
; %bb.390:                              ;   in Loop: Header=BB25_12 Depth=1
	s_or_b64 exec, exec, s[14:15]
	s_and_b64 exec, exec, s[10:11]
	s_cbranch_execz .LBB25_10
; %bb.391:                              ;   in Loop: Header=BB25_12 Depth=1
	v_add_u32_e32 v3, s84, v210
	v_or_b32_e32 v2, s65, v92
	v_cmp_gt_i32_e32 vcc, s36, v3
	v_cmp_gt_i32_e64 s[10:11], s88, v2
	s_and_b64 s[12:13], vcc, s[10:11]
	v_mov_b32_e32 v2, 0x47
	s_and_saveexec_b64 s[10:11], s[12:13]
	s_cbranch_execz .LBB25_393
; %bb.392:                              ;   in Loop: Header=BB25_12 Depth=1
	v_mad_u64_u32 v[2:3], s[12:13], v3, s37, v[92:93]
	v_add_u32_e32 v8, 0, v178
	v_add_u32_e32 v3, v182, v178
	ds_read2_b32 v[4:5], v8 offset0:64 offset1:65
	ds_read2st64_b32 v[6:7], v3 offset1:17
	ds_read_b32 v8, v8 offset:4608
	v_lshl_add_u32 v2, v2, 6, v46
	v_ashrrev_i32_e32 v3, 31, v2
	v_lshl_add_u64 v[2:3], v[2:3], 3, s[74:75]
	s_waitcnt lgkmcnt(1)
	v_cvt_f32_f16_e32 v10, v6
	v_cvt_f32_f16_sdwa v11, v6 dst_sel:DWORD dst_unused:UNUSED_PAD src0_sel:WORD_1
	v_cvt_f32_f16_e32 v6, v7
	v_cvt_f32_f16_sdwa v7, v7 dst_sel:DWORD dst_unused:UNUSED_PAD src0_sel:WORD_1
	v_pk_fma_f32 v[10:11], v[4:5], v[10:11], 0 op_sel_hi:[0,1,0]
	s_waitcnt lgkmcnt(0)
	v_pk_fma_f32 v[6:7], v[8:9], v[6:7], v[10:11] op_sel_hi:[0,1,1]
	v_div_scale_f32 v4, s[12:13], v5, v5, v7
	v_rcp_f32_e32 v8, v4
	s_nop 0
	v_fma_f32 v9, -v4, v8, 1.0
	v_fmac_f32_e32 v8, v9, v8
	v_div_scale_f32 v9, vcc, v7, v5, v7
	v_mul_f32_e32 v10, v9, v8
	v_fma_f32 v11, -v4, v10, v9
	v_fmac_f32_e32 v10, v11, v8
	v_fma_f32 v4, -v4, v10, v9
	v_div_fmas_f32 v4, v4, v8, v10
	v_div_fixup_f32 v7, v4, v5, v7
	v_div_scale_f32 v4, s[12:13], v5, v5, v6
	v_rcp_f32_e32 v8, v4
	s_nop 0
	v_fma_f32 v9, -v4, v8, 1.0
	v_fmac_f32_e32 v8, v9, v8
	v_div_scale_f32 v9, vcc, v6, v5, v6
	v_mul_f32_e32 v10, v9, v8
	v_fma_f32 v11, -v4, v10, v9
	v_fmac_f32_e32 v10, v11, v8
	v_fma_f32 v4, -v4, v10, v9
	v_div_fmas_f32 v4, v4, v8, v10
	v_div_fixup_f32 v6, v4, v5, v6
	global_store_dwordx2 v[2:3], v[6:7], off
	v_mov_b32_e32 v2, 0
.LBB25_393:                             ;   in Loop: Header=BB25_12 Depth=1
	s_or_b64 exec, exec, s[10:11]
	v_cmp_gt_i32_e32 vcc, s2, v2
	s_mov_b64 s[10:11], -1
	s_and_saveexec_b64 s[14:15], vcc
; %bb.394:                              ;   in Loop: Header=BB25_12 Depth=1
	v_cmp_eq_u32_e32 vcc, 0, v2
	s_orn2_b64 s[10:11], vcc, exec
; %bb.395:                              ;   in Loop: Header=BB25_12 Depth=1
	s_or_b64 exec, exec, s[14:15]
	s_and_b64 exec, exec, s[10:11]
	s_cbranch_execz .LBB25_10
; %bb.396:                              ;   in Loop: Header=BB25_12 Depth=1
	v_add_u32_e32 v3, s84, v211
	v_or_b32_e32 v2, s65, v94
	v_cmp_gt_i32_e32 vcc, s36, v3
	v_cmp_gt_i32_e64 s[10:11], s88, v2
	s_and_b64 s[12:13], vcc, s[10:11]
	v_mov_b32_e32 v2, 0x47
	s_and_saveexec_b64 s[10:11], s[12:13]
	s_cbranch_execz .LBB25_398
; %bb.397:                              ;   in Loop: Header=BB25_12 Depth=1
	v_mad_u64_u32 v[2:3], s[12:13], v3, s37, v[94:95]
	v_add_u32_e32 v8, 0, v179
	v_add_u32_e32 v3, v182, v179
	ds_read2_b32 v[4:5], v8 offset0:64 offset1:65
	ds_read2st64_b32 v[6:7], v3 offset1:17
	ds_read_b32 v8, v8 offset:4608
	v_lshl_add_u32 v2, v2, 6, v46
	v_ashrrev_i32_e32 v3, 31, v2
	v_lshl_add_u64 v[2:3], v[2:3], 3, s[74:75]
	s_waitcnt lgkmcnt(1)
	v_cvt_f32_f16_e32 v10, v6
	v_cvt_f32_f16_sdwa v11, v6 dst_sel:DWORD dst_unused:UNUSED_PAD src0_sel:WORD_1
	v_cvt_f32_f16_e32 v6, v7
	v_cvt_f32_f16_sdwa v7, v7 dst_sel:DWORD dst_unused:UNUSED_PAD src0_sel:WORD_1
	v_pk_fma_f32 v[10:11], v[4:5], v[10:11], 0 op_sel_hi:[0,1,0]
	s_waitcnt lgkmcnt(0)
	v_pk_fma_f32 v[6:7], v[8:9], v[6:7], v[10:11] op_sel_hi:[0,1,1]
	v_div_scale_f32 v4, s[12:13], v5, v5, v7
	v_rcp_f32_e32 v8, v4
	s_nop 0
	v_fma_f32 v9, -v4, v8, 1.0
	v_fmac_f32_e32 v8, v9, v8
	v_div_scale_f32 v9, vcc, v7, v5, v7
	v_mul_f32_e32 v10, v9, v8
	v_fma_f32 v11, -v4, v10, v9
	v_fmac_f32_e32 v10, v11, v8
	v_fma_f32 v4, -v4, v10, v9
	v_div_fmas_f32 v4, v4, v8, v10
	v_div_fixup_f32 v7, v4, v5, v7
	v_div_scale_f32 v4, s[12:13], v5, v5, v6
	v_rcp_f32_e32 v8, v4
	s_nop 0
	v_fma_f32 v9, -v4, v8, 1.0
	v_fmac_f32_e32 v8, v9, v8
	v_div_scale_f32 v9, vcc, v6, v5, v6
	v_mul_f32_e32 v10, v9, v8
	v_fma_f32 v11, -v4, v10, v9
	v_fmac_f32_e32 v10, v11, v8
	v_fma_f32 v4, -v4, v10, v9
	v_div_fmas_f32 v4, v4, v8, v10
	v_div_fixup_f32 v6, v4, v5, v6
	global_store_dwordx2 v[2:3], v[6:7], off
	v_mov_b32_e32 v2, 0
.LBB25_398:                             ;   in Loop: Header=BB25_12 Depth=1
	s_or_b64 exec, exec, s[10:11]
	v_cmp_gt_i32_e32 vcc, s2, v2
	s_mov_b64 s[10:11], -1
	s_and_saveexec_b64 s[14:15], vcc
; %bb.399:                              ;   in Loop: Header=BB25_12 Depth=1
	v_cmp_eq_u32_e32 vcc, 0, v2
	s_orn2_b64 s[10:11], vcc, exec
; %bb.400:                              ;   in Loop: Header=BB25_12 Depth=1
	s_or_b64 exec, exec, s[14:15]
	s_and_b64 exec, exec, s[10:11]
	s_cbranch_execz .LBB25_10
; %bb.401:                              ;   in Loop: Header=BB25_12 Depth=1
	v_add_u32_e32 v2, s84, v212
	v_or_b32_e32 v3, s65, v96
	v_cmp_gt_i32_e32 vcc, s36, v2
	v_cmp_gt_i32_e64 s[10:11], s88, v3
	s_and_b64 s[10:11], vcc, s[10:11]
	s_and_b64 exec, exec, s[10:11]
	s_cbranch_execz .LBB25_10
; %bb.402:                              ;   in Loop: Header=BB25_12 Depth=1
	v_add_u32_e32 v3, v182, v180
	ds_read2st64_b32 v[4:5], v3 offset1:17
	v_add_u32_e32 v3, 0, v180
	ds_read2_b32 v[6:7], v3 offset0:64 offset1:65
	ds_read_b32 v8, v3 offset:4608
	v_mad_u64_u32 v[2:3], s[10:11], v2, s37, v[96:97]
	s_waitcnt lgkmcnt(2)
	v_cvt_f32_f16_e32 v10, v4
	v_cvt_f32_f16_sdwa v11, v4 dst_sel:DWORD dst_unused:UNUSED_PAD src0_sel:WORD_1
	v_cvt_f32_f16_e32 v4, v5
	v_cvt_f32_f16_sdwa v5, v5 dst_sel:DWORD dst_unused:UNUSED_PAD src0_sel:WORD_1
	v_lshl_add_u32 v2, v2, 6, v46
	s_waitcnt lgkmcnt(1)
	v_pk_fma_f32 v[10:11], v[6:7], v[10:11], 0 op_sel_hi:[0,1,0]
	v_ashrrev_i32_e32 v3, 31, v2
	s_waitcnt lgkmcnt(0)
	v_pk_fma_f32 v[4:5], v[8:9], v[4:5], v[10:11] op_sel_hi:[0,1,1]
	v_div_scale_f32 v6, s[10:11], v7, v7, v5
	v_rcp_f32_e32 v8, v6
	v_lshl_add_u64 v[2:3], v[2:3], 3, s[74:75]
	v_fma_f32 v9, -v6, v8, 1.0
	v_fmac_f32_e32 v8, v9, v8
	v_div_scale_f32 v9, vcc, v5, v7, v5
	v_mul_f32_e32 v10, v9, v8
	v_fma_f32 v11, -v6, v10, v9
	v_fmac_f32_e32 v10, v11, v8
	v_fma_f32 v6, -v6, v10, v9
	v_div_scale_f32 v9, s[10:11], v7, v7, v4
	v_rcp_f32_e32 v11, v9
	v_div_fmas_f32 v6, v6, v8, v10
	v_div_fixup_f32 v5, v6, v7, v5
	v_fma_f32 v6, -v9, v11, 1.0
	v_fmac_f32_e32 v11, v6, v11
	v_div_scale_f32 v6, vcc, v4, v7, v4
	v_mul_f32_e32 v8, v6, v11
	v_fma_f32 v10, -v9, v8, v6
	v_fmac_f32_e32 v8, v10, v11
	v_fma_f32 v6, -v9, v8, v6
	v_div_fmas_f32 v6, v6, v11, v8
	v_div_fixup_f32 v4, v6, v7, v4
	global_store_dwordx2 v[2:3], v[4:5], off
	s_branch .LBB25_10
.LBB25_403:
	v_readlane_b32 s33, v224, 12
	v_readlane_b32 s35, v224, 5
	;; [unrolled: 1-line block ×7, first 2 shown]
	s_andn2_b64 vcc, exec, s[10:11]
	s_cbranch_vccnz .LBB25_8
.LBB25_404:
	s_abs_i32 s0, s92
	v_cvt_f32_u32_e32 v2, s0
	s_sub_i32 s4, 0, s0
	s_abs_i32 s2, s56
	s_xor_b32 s1, s56, s92
	v_rcp_iflag_f32_e32 v2, v2
	s_ashr_i32 s1, s1, 31
	v_readlane_b32 s10, v224, 1
	v_mov_b32_e32 v16, s58
	v_mul_f32_e32 v2, 0x4f7ffffe, v2
	v_cvt_u32_f32_e32 v2, v2
	s_nop 0
	v_readfirstlane_b32 s5, v2
	s_mul_i32 s4, s4, s5
	s_mul_hi_u32 s4, s5, s4
	s_add_i32 s5, s5, s4
	s_mul_hi_u32 s4, s2, s5
	s_mul_i32 s5, s4, s0
	s_sub_i32 s2, s2, s5
	s_add_i32 s6, s4, 1
	s_sub_i32 s5, s2, s0
	s_cmp_ge_u32 s2, s0
	s_cselect_b32 s4, s6, s4
	s_cselect_b32 s2, s5, s2
	s_add_i32 s5, s4, 1
	s_cmp_ge_u32 s2, s0
	s_cselect_b32 s0, s5, s4
	s_abs_i32 s4, s91
	v_cvt_f32_u32_e32 v2, s4
	s_xor_b32 s0, s0, s1
	s_sub_i32 s5, 0, s4
	s_sub_i32 s2, s0, s1
	v_rcp_iflag_f32_e32 v2, v2
	s_mul_i32 s0, s2, s92
	s_sub_i32 s0, s56, s0
	s_abs_i32 s6, s0
	v_mul_f32_e32 v2, 0x4f7ffffe, v2
	v_cvt_u32_f32_e32 v2, v2
	s_xor_b32 s1, s0, s91
	s_ashr_i32 s1, s1, 31
	v_readfirstlane_b32 s7, v2
	s_mul_i32 s5, s5, s7
	s_mul_hi_u32 s5, s7, s5
	s_add_i32 s7, s7, s5
	s_mul_hi_u32 s5, s6, s7
	s_mul_i32 s7, s5, s4
	s_sub_i32 s6, s6, s7
	s_add_i32 s8, s5, 1
	s_sub_i32 s7, s6, s4
	s_cmp_ge_u32 s6, s4
	s_cselect_b32 s5, s8, s5
	s_cselect_b32 s6, s7, s6
	s_add_i32 s7, s5, 1
	s_cmp_ge_u32 s6, s4
	s_cselect_b32 s4, s7, s5
	s_abs_i32 s5, s10
	v_cvt_f32_u32_e32 v2, s5
	s_xor_b32 s4, s4, s1
	s_sub_i32 s6, 0, s5
	s_sub_i32 s8, s4, s1
	v_rcp_iflag_f32_e32 v2, v2
	s_mul_i32 s1, s8, s91
	s_sub_i32 s1, s0, s1
	s_abs_i32 s4, s1
	v_mul_f32_e32 v2, 0x4f7ffffe, v2
	v_cvt_u32_f32_e32 v2, v2
	s_xor_b32 s0, s1, s10
	s_ashr_i32 s0, s0, 31
	v_readfirstlane_b32 s7, v2
	s_mul_i32 s6, s6, s7
	s_mul_hi_u32 s6, s7, s6
	s_add_i32 s7, s7, s6
	s_mul_hi_u32 s6, s4, s7
	s_mul_i32 s7, s6, s5
	s_sub_i32 s4, s4, s7
	s_add_i32 s9, s6, 1
	s_sub_i32 s7, s4, s5
	s_cmp_ge_u32 s4, s5
	s_cselect_b32 s6, s9, s6
	s_cselect_b32 s4, s7, s4
	s_add_i32 s7, s6, 1
	s_cmp_ge_u32 s4, s5
	s_cselect_b32 s4, s7, s6
	s_xor_b32 s4, s4, s0
	s_sub_i32 s0, s4, s0
	s_mul_i32 s4, s0, s10
	s_sub_i32 s1, s1, s4
	s_ashr_i32 s4, s1, 31
	v_readlane_b32 s5, v224, 4
	s_abs_i32 s1, s1
	s_xor_b32 s4, s4, s5
	s_mul_hi_u32 s5, s1, s52
	s_mul_i32 s6, s5, s94
	s_sub_i32 s1, s1, s6
	s_add_i32 s6, s5, 1
	s_sub_i32 s7, s1, s94
	s_cmp_ge_u32 s1, s94
	s_cselect_b32 s5, s6, s5
	s_cselect_b32 s1, s7, s1
	s_add_i32 s6, s5, 1
	s_cmp_ge_u32 s1, s94
	s_cselect_b32 s1, s6, s5
	s_abs_i32 s9, s12
	v_cvt_f32_u32_e32 v2, s9
	s_xor_b32 s1, s1, s4
	s_sub_i32 s1, s1, s4
	s_cmp_eq_u64 s[26:27], 0
	v_rcp_iflag_f32_e32 v2, v2
	s_nop 0
	v_mul_f32_e32 v2, 0x4f7ffffe, v2
	v_cvt_u32_f32_e32 v2, v2
	s_nop 0
	v_readfirstlane_b32 s12, v2
	s_cbranch_scc1 .LBB25_406
; %bb.405:
	v_readlane_b32 s4, v224, 0
	s_mul_i32 s4, s2, s4
	s_add_i32 s4, s1, s4
	s_ashr_i32 s5, s4, 31
	s_lshl_b64 s[4:5], s[4:5], 2
	s_add_u32 s4, s26, s4
	s_addc_u32 s5, s27, s5
	v_mov_b32_e32 v2, 0
	global_load_dword v2, v2, s[4:5]
	s_waitcnt vmcnt(0)
	v_ashrrev_i32_e32 v3, 31, v2
	v_lshrrev_b32_e32 v3, 26, v3
	v_add_u32_e32 v2, v2, v3
	v_ashrrev_i32_e32 v2, 6, v2
	v_min_i32_e32 v16, s58, v2
.LBB25_406:
	s_mul_i32 s4, s8, s88
	s_lshl_b32 s10, s0, 3
	s_add_i32 s0, s10, s4
	s_mul_i32 s4, s2, s55
	s_ashr_i32 s5, s4, 31
	s_add_u32 s4, s16, s4
	s_mul_i32 s0, s0, s54
	s_addc_u32 s5, s17, s5
	s_ashr_i32 s7, s0, 31
	s_add_u32 s6, s4, s0
	s_addc_u32 s7, s5, s7
	v_and_b32_e32 v48, 0x3ff, v0
	s_lshl_b32 s11, s1, 2
	v_bfe_u32 v0, v93, 3, 7
	v_add_u32_e32 v2, s11, v0
	v_or_b32_e32 v0, s10, v79
	v_cmp_le_i32_e64 s[0:1], s36, v2
	v_cmp_le_i32_e64 s[4:5], s88, v0
	s_mov_b32 s13, 0x10001
	v_lshl_add_u32 v50, v48, 2, 0
	v_cmp_gt_i32_e32 vcc, s88, v0
	s_or_b64 s[0:1], s[0:1], s[4:5]
	s_and_saveexec_b64 s[4:5], s[0:1]
	s_xor_b64 s[0:1], exec, s[4:5]
; %bb.407:
	s_movk_i32 s4, 0x110
	v_mad_u32_u24 v0, v49, s4, v50
	v_mov_b32_e32 v2, 0
	ds_write_b32 v0, v2
                                        ; implicit-def: $vgpr2
; %bb.408:
	s_or_saveexec_b64 s[0:1], s[0:1]
	v_mul_lo_u32 v0, v91, s13
	s_xor_b64 exec, exec, s[0:1]
	s_cbranch_execz .LBB25_410
; %bb.409:
	v_mul_lo_u32 v2, v2, s57
	v_mul_lo_u32 v3, v79, s39
	v_add3_u32 v2, v3, v48, v2
	v_ashrrev_i32_e32 v3, 31, v2
	v_lshl_add_u64 v[2:3], v[2:3], 3, s[6:7]
	global_load_dwordx2 v[2:3], v[2:3], off
	s_movk_i32 s4, 0x110
	s_waitcnt vmcnt(0)
	v_cvt_pk_f16_f32 v2, v2, v3
	v_pk_mul_f16 v2, v2, v0
	v_mad_u32_u24 v3, v49, s4, v50
	ds_write_b32 v3, v2
.LBB25_410:
	s_or_b64 exec, exec, s[0:1]
	v_lshrrev_b32_e32 v3, 3, v89
	v_and_b32_e32 v2, 7, v89
	v_add_u32_e32 v3, s11, v3
	v_or_b32_e32 v4, s10, v2
	v_cmp_le_i32_e64 s[0:1], s36, v3
	v_cmp_le_i32_e64 s[4:5], s88, v4
	s_or_b64 s[0:1], s[0:1], s[4:5]
	s_and_saveexec_b64 s[4:5], s[0:1]
	s_xor_b64 s[0:1], exec, s[4:5]
; %bb.411:
	s_movk_i32 s4, 0x110
	v_mad_u32_u24 v2, v89, s4, v50
	v_mov_b32_e32 v3, 0
	ds_write_b32 v2, v3
                                        ; implicit-def: $vgpr3
                                        ; implicit-def: $vgpr2
                                        ; implicit-def: $vgpr89
; %bb.412:
	s_andn2_saveexec_b64 s[0:1], s[0:1]
	s_cbranch_execz .LBB25_414
; %bb.413:
	v_mul_lo_u32 v3, v3, s57
	v_mul_lo_u32 v2, v2, s39
	v_add3_u32 v2, v2, v48, v3
	v_ashrrev_i32_e32 v3, 31, v2
	v_lshl_add_u64 v[2:3], v[2:3], 3, s[6:7]
	global_load_dwordx2 v[2:3], v[2:3], off
	s_movk_i32 s4, 0x110
	s_waitcnt vmcnt(0)
	v_cvt_pk_f16_f32 v2, v2, v3
	v_pk_mul_f16 v2, v2, v0
	v_mad_u32_u24 v3, v89, s4, v50
	ds_write_b32 v3, v2
.LBB25_414:
	s_or_b64 exec, exec, s[0:1]
	v_lshrrev_b32_e32 v2, 3, v87
	v_add_u32_e32 v2, s11, v2
	v_cmp_le_i32_e64 s[0:1], s36, v2
	s_xor_b64 s[4:5], vcc, -1
	s_or_b64 s[0:1], s[0:1], s[4:5]
	s_and_saveexec_b64 s[14:15], s[0:1]
	s_xor_b64 s[0:1], exec, s[14:15]
; %bb.415:
	s_movk_i32 s13, 0x110
	v_mad_u32_u24 v2, v87, s13, v50
	v_mov_b32_e32 v3, 0
	ds_write_b32 v2, v3
                                        ; implicit-def: $vgpr2
                                        ; implicit-def: $vgpr87
; %bb.416:
	s_andn2_saveexec_b64 s[0:1], s[0:1]
	s_cbranch_execz .LBB25_418
; %bb.417:
	v_mul_lo_u32 v2, v2, s57
	v_mul_lo_u32 v3, v79, s39
	v_add3_u32 v2, v3, v48, v2
	v_ashrrev_i32_e32 v3, 31, v2
	v_lshl_add_u64 v[2:3], v[2:3], 3, s[6:7]
	global_load_dwordx2 v[2:3], v[2:3], off
	s_movk_i32 s13, 0x110
	s_waitcnt vmcnt(0)
	v_cvt_pk_f16_f32 v2, v2, v3
	v_pk_mul_f16 v2, v2, v0
	v_mad_u32_u24 v3, v87, s13, v50
	ds_write_b32 v3, v2
.LBB25_418:
	s_or_b64 exec, exec, s[0:1]
	v_lshrrev_b32_e32 v3, 3, v85
	v_and_b32_e32 v2, 7, v85
	v_add_u32_e32 v3, s11, v3
	v_or_b32_e32 v4, s10, v2
	v_cmp_le_i32_e32 vcc, s36, v3
	v_cmp_le_i32_e64 s[0:1], s88, v4
	s_or_b64 s[0:1], vcc, s[0:1]
	s_and_saveexec_b64 s[14:15], s[0:1]
	s_xor_b64 s[0:1], exec, s[14:15]
; %bb.419:
	s_movk_i32 s13, 0x110
	v_mad_u32_u24 v2, v85, s13, v50
	v_mov_b32_e32 v3, 0
	ds_write_b32 v2, v3
                                        ; implicit-def: $vgpr3
                                        ; implicit-def: $vgpr2
                                        ; implicit-def: $vgpr85
; %bb.420:
	s_andn2_saveexec_b64 s[0:1], s[0:1]
	s_cbranch_execz .LBB25_422
; %bb.421:
	v_mul_lo_u32 v3, v3, s57
	v_mul_lo_u32 v2, v2, s39
	v_add3_u32 v2, v2, v48, v3
	v_ashrrev_i32_e32 v3, 31, v2
	v_lshl_add_u64 v[2:3], v[2:3], 3, s[6:7]
	global_load_dwordx2 v[2:3], v[2:3], off
	s_movk_i32 s13, 0x110
	s_waitcnt vmcnt(0)
	v_cvt_pk_f16_f32 v2, v2, v3
	v_pk_mul_f16 v2, v2, v0
	v_mad_u32_u24 v3, v85, s13, v50
	ds_write_b32 v3, v2
.LBB25_422:
	s_or_b64 exec, exec, s[0:1]
	v_lshrrev_b32_e32 v2, 3, v83
	v_add_u32_e32 v2, s11, v2
	v_cmp_le_i32_e32 vcc, s36, v2
	s_or_b64 s[0:1], vcc, s[4:5]
	s_and_saveexec_b64 s[14:15], s[0:1]
	s_xor_b64 s[0:1], exec, s[14:15]
; %bb.423:
	s_movk_i32 s13, 0x110
	v_mad_u32_u24 v2, v83, s13, v50
	v_mov_b32_e32 v3, 0
	ds_write_b32 v2, v3
                                        ; implicit-def: $vgpr2
                                        ; implicit-def: $vgpr83
; %bb.424:
	s_andn2_saveexec_b64 s[0:1], s[0:1]
	s_cbranch_execz .LBB25_426
; %bb.425:
	v_mul_lo_u32 v2, v2, s57
	v_mul_lo_u32 v3, v79, s39
	v_add3_u32 v2, v3, v48, v2
	v_ashrrev_i32_e32 v3, 31, v2
	v_lshl_add_u64 v[2:3], v[2:3], 3, s[6:7]
	global_load_dwordx2 v[2:3], v[2:3], off
	s_movk_i32 s13, 0x110
	s_waitcnt vmcnt(0)
	v_cvt_pk_f16_f32 v2, v2, v3
	v_pk_mul_f16 v2, v2, v0
	v_mad_u32_u24 v3, v83, s13, v50
	ds_write_b32 v3, v2
.LBB25_426:
	s_or_b64 exec, exec, s[0:1]
	v_lshrrev_b32_e32 v3, 3, v81
	v_and_b32_e32 v2, 7, v81
	v_add_u32_e32 v3, s11, v3
	v_or_b32_e32 v4, s10, v2
	v_cmp_le_i32_e32 vcc, s36, v3
	v_cmp_le_i32_e64 s[0:1], s88, v4
	s_sub_i32 s13, 0, s9
	s_or_b64 s[0:1], vcc, s[0:1]
	s_and_saveexec_b64 s[14:15], s[0:1]
	s_xor_b64 s[0:1], exec, s[14:15]
; %bb.427:
	s_movk_i32 s14, 0x110
	v_mad_u32_u24 v2, v81, s14, v50
	v_mov_b32_e32 v3, 0
	ds_write_b32 v2, v3
                                        ; implicit-def: $vgpr3
                                        ; implicit-def: $vgpr2
                                        ; implicit-def: $vgpr81
; %bb.428:
	s_or_saveexec_b64 s[0:1], s[0:1]
	s_mul_i32 s13, s13, s12
	s_xor_b64 exec, exec, s[0:1]
	s_cbranch_execz .LBB25_430
; %bb.429:
	v_mul_lo_u32 v3, v3, s57
	v_mul_lo_u32 v2, v2, s39
	v_add3_u32 v2, v2, v48, v3
	v_ashrrev_i32_e32 v3, 31, v2
	v_lshl_add_u64 v[2:3], v[2:3], 3, s[6:7]
	global_load_dwordx2 v[2:3], v[2:3], off
	s_movk_i32 s14, 0x110
	s_waitcnt vmcnt(0)
	v_cvt_pk_f16_f32 v2, v2, v3
	v_pk_mul_f16 v2, v2, v0
	v_mad_u32_u24 v3, v81, s14, v50
	ds_write_b32 v3, v2
.LBB25_430:
	s_or_b64 exec, exec, s[0:1]
	v_lshrrev_b32_e32 v2, 3, v47
	v_add_u32_e32 v2, s11, v2
	v_cmp_le_i32_e32 vcc, s36, v2
	s_mul_hi_u32 s13, s12, s13
	s_or_b64 s[0:1], vcc, s[4:5]
	s_and_saveexec_b64 s[4:5], s[0:1]
	s_xor_b64 s[0:1], exec, s[4:5]
; %bb.431:
	s_movk_i32 s4, 0x110
	v_mad_u32_u24 v2, v47, s4, v50
	v_mov_b32_e32 v3, 0
	ds_write_b32 v2, v3
                                        ; implicit-def: $vgpr2
                                        ; implicit-def: $vgpr79
                                        ; implicit-def: $vgpr47
; %bb.432:
	s_or_saveexec_b64 s[0:1], s[0:1]
	s_abs_i32 s4, s2
	s_add_i32 s12, s12, s13
	s_xor_b64 exec, exec, s[0:1]
	s_cbranch_execz .LBB25_434
; %bb.433:
	v_mul_lo_u32 v2, v2, s57
	v_mul_lo_u32 v3, v79, s39
	v_add3_u32 v2, v3, v48, v2
	v_ashrrev_i32_e32 v3, 31, v2
	v_lshl_add_u64 v[2:3], v[2:3], 3, s[6:7]
	global_load_dwordx2 v[2:3], v[2:3], off
	s_movk_i32 s5, 0x110
	s_waitcnt vmcnt(0)
	v_cvt_pk_f16_f32 v2, v2, v3
	v_pk_mul_f16 v2, v2, v0
	v_mad_u32_u24 v3, v47, s5, v50
	ds_write_b32 v3, v2
.LBB25_434:
	s_or_b64 exec, exec, s[0:1]
	v_lshrrev_b32_e32 v3, 3, v1
	v_and_b32_e32 v2, 7, v1
	v_add_u32_e32 v3, s11, v3
	v_or_b32_e32 v4, s10, v2
	v_cmp_le_i32_e32 vcc, s36, v3
	v_cmp_le_i32_e64 s[0:1], s88, v4
	s_mul_hi_u32 s5, s4, s12
	s_or_b64 s[0:1], vcc, s[0:1]
	s_and_saveexec_b64 s[12:13], s[0:1]
	s_xor_b64 s[0:1], exec, s[12:13]
; %bb.435:
	s_movk_i32 s10, 0x110
	v_mad_u32_u24 v0, v1, s10, v50
	v_mov_b32_e32 v1, 0
	ds_write_b32 v0, v1
                                        ; implicit-def: $vgpr3
                                        ; implicit-def: $vgpr2
                                        ; implicit-def: $vgpr0
                                        ; implicit-def: $vgpr1
; %bb.436:
	s_or_saveexec_b64 s[0:1], s[0:1]
	s_ashr_i32 s10, s2, 31
	s_xor_b64 exec, exec, s[0:1]
	s_cbranch_execz .LBB25_438
; %bb.437:
	v_mul_lo_u32 v3, v3, s57
	v_mul_lo_u32 v2, v2, s39
	v_add3_u32 v2, v2, v48, v3
	v_ashrrev_i32_e32 v3, 31, v2
	v_lshl_add_u64 v[2:3], v[2:3], 3, s[6:7]
	global_load_dwordx2 v[2:3], v[2:3], off
	s_movk_i32 s6, 0x110
	v_mad_u32_u24 v1, v1, s6, v50
	s_waitcnt vmcnt(0)
	v_cvt_pk_f16_f32 v2, v2, v3
	v_pk_mul_f16 v0, v2, v0
	ds_write_b32 v1, v0
.LBB25_438:
	s_or_b64 exec, exec, s[0:1]
	s_mul_hi_u32 s0, s40, s2
	s_mul_i32 s1, s40, s10
	s_add_i32 s0, s0, s1
	s_mul_i32 s1, s41, s2
	v_readlane_b32 s6, v224, 2
	s_add_i32 s0, s0, s1
	s_mul_i32 s1, s40, s2
	v_readlane_b32 s7, v224, 3
	s_add_u32 s1, s18, s1
	s_mul_i32 s6, s8, s7
	s_addc_u32 s0, s19, s0
	s_ashr_i32 s7, s6, 31
	s_add_u32 s12, s1, s6
	s_mul_i32 s5, s5, s9
	s_addc_u32 s13, s0, s7
	s_sub_i32 s0, s4, s5
	s_sub_i32 s1, s0, s9
	s_cmp_ge_u32 s0, s9
	s_cselect_b32 s0, s1, s0
	s_sub_i32 s1, s0, s9
	s_cmp_ge_u32 s0, s9
	s_cselect_b32 s0, s1, s0
	s_xor_b32 s0, s0, s10
	s_sub_i32 s0, s0, s10
	s_ashr_i32 s1, s0, 31
	s_mul_i32 s1, s50, s1
	s_mul_hi_u32 s4, s50, s0
	s_add_i32 s1, s4, s1
	s_mul_i32 s4, s51, s0
	s_add_i32 s1, s1, s4
	s_mul_i32 s0, s50, s0
	s_add_u32 s4, s22, s0
	s_addc_u32 s5, s23, s1
	s_mul_hi_u32 s0, s48, s2
	s_mul_i32 s1, s48, s10
	s_add_i32 s0, s0, s1
	s_mul_i32 s1, s49, s2
	s_add_i32 s0, s0, s1
	s_mul_i32 s1, s48, s2
	s_add_u32 s1, s20, s1
	s_mul_i32 s8, s8, s43
	s_addc_u32 s0, s21, s0
	s_ashr_i32 s6, s8, 31
	s_add_u32 s2, s1, s8
	v_lshrrev_b32_e32 v1, 3, v48
	s_addc_u32 s10, s0, s6
	v_and_b32_e32 v17, 0x1ff0, v75
	s_movk_i32 s0, 0x110
	v_and_b32_e32 v51, 15, v48
	v_and_b32_e32 v1, 0x7e, v1
	v_mad_u32_u24 v0, v17, s0, 0
	v_mul_u32_u24_e32 v72, 0x110, v51
	v_lshlrev_b32_e32 v52, 2, v1
	v_add3_u32 v0, v0, v72, v52
	s_waitcnt lgkmcnt(0)
	s_barrier
	ds_read2_b64 v[12:15], v0 offset1:4
	ds_read2_b64 v[8:11], v0 offset0:8 offset1:12
	ds_read2_b64 v[4:7], v0 offset0:16 offset1:20
	;; [unrolled: 1-line block ×3, first 2 shown]
	v_add_u32_e32 v78, -1, v16
	v_lshrrev_b32_e32 v16, 5, v48
	v_cmp_ge_i32_e32 vcc, s84, v78
	v_lshl_add_u32 v74, v49, 1, v16
	s_and_b64 vcc, exec, vcc
	v_cmp_gt_u32_e64 s[0:1], 4, v74
	v_lshrrev_b32_e32 v27, 4, v48
	v_lshlrev_b32_e32 v24, 2, v51
	v_lshlrev_b32_e32 v26, 4, v51
	v_lshrrev_b32_e32 v67, 2, v48
	v_and_or_b32 v69, v48, 8, v17
	v_and_b32_e32 v66, 8, v75
	v_lshlrev_b32_e32 v65, 1, v51
	s_waitcnt lgkmcnt(0)
	s_barrier
	s_cbranch_vccnz .LBB25_477
; %bb.439:
	v_add_u32_e32 v16, s11, v74
	v_mul_hi_u32 v17, s44, v16
	v_add_u32_e32 v17, v16, v17
	v_lshrrev_b32_e32 v17, s45, v17
	v_mul_lo_u32 v17, v17, s36
	v_lshlrev_b32_e32 v18, 2, v48
	v_sub_u32_e32 v16, v16, v17
	v_mul_u32_u24_e32 v17, 0x90, v74
	v_and_b32_e32 v28, 0x7c, v18
	v_add3_u32 v79, 0, v17, v28
	v_mad_i64_i32 v[16:17], s[6:7], v16, s46, 0
	v_lshl_add_u64 v[16:17], v[16:17], 1, s[4:5]
	v_mov_b32_e32 v29, 0
	v_lshl_add_u64 v[30:31], v[16:17], 0, v[28:29]
	v_lshl_add_u32 v16, v49, 2, v27
	v_mul_u32_u24_e32 v17, 0x110, v16
	s_movk_i32 s8, 0x90
	v_add3_u32 v80, 0, v17, v26
	v_and_b32_e32 v17, 16, v73
	v_and_b32_e32 v20, 0xfc, v67
	v_lshrrev_b32_e32 v22, 3, v69
	v_add_u32_e32 v21, v20, v17
	v_mad_u32_u24 v22, v22, s8, 0
	v_mul_u32_u24_e32 v19, 0x110, v17
	v_add_u16_e32 v17, v20, v17
	v_lshl_add_u32 v21, v21, 1, v22
	v_lshrrev_b16_e32 v17, 1, v17
	v_add_u32_e32 v84, 64, v21
	v_add_u32_e32 v85, 0x44, v21
	v_mbcnt_hi_u32_b32 v21, -1, v77
	v_mul_lo_u32 v32, s38, v16
	s_lshl_b32 s6, s38, 4
	v_lshl_add_u32 v17, v17, 2, v22
	v_and_b32_e32 v22, 64, v21
	v_add_u32_e32 v34, s6, v32
	v_add_u32_e32 v22, 64, v22
	v_xor_b32_e32 v23, 32, v21
	v_add_u32_e32 v36, s6, v34
	v_cmp_lt_i32_e32 vcc, v23, v22
	v_add_u32_e32 v38, s6, v36
	v_mul_lo_u32 v40, s34, v16
	v_cndmask_b32_e32 v23, v21, v23, vcc
	s_lshl_b32 s6, s34, 4
	v_lshlrev_b32_e32 v86, 2, v23
	v_xor_b32_e32 v23, 16, v21
	v_add_u32_e32 v42, s6, v40
	v_cmp_lt_i32_e32 vcc, v23, v22
	v_add_u32_e32 v44, s6, v42
	v_add_u32_e32 v46, s6, v44
	v_cndmask_b32_e32 v21, v21, v23, vcc
	v_mul_u32_u24_e32 v16, 0x110, v20
	v_or_b32_e32 v20, 3, v67
	s_movk_i32 s6, 0x220
	v_add3_u32 v18, 0, v72, v52
	v_lshlrev_b32_e32 v87, 2, v21
	v_mul_u32_u24_e32 v20, 0x110, v20
	v_mad_u32_u24 v21, v66, s6, 0
	v_ashrrev_i32_e32 v33, 31, v32
	v_ashrrev_i32_e32 v35, 31, v34
	v_add_u32_e32 v81, 0x1100, v80
	v_ashrrev_i32_e32 v37, 31, v36
	v_add_u32_e32 v82, 0x2200, v80
	v_ashrrev_i32_e32 v39, 31, v38
	v_add_u32_e32 v83, 0x3300, v80
	v_ashrrev_i32_e32 v41, 31, v40
	v_ashrrev_i32_e32 v43, 31, v42
	;; [unrolled: 1-line block ×4, first 2 shown]
	v_add3_u32 v88, v21, v16, v65
	v_add3_u32 v89, v21, v20, v65
	s_lshl_b32 s6, s84, 6
	v_mov_b32_e32 v76, 0xfeffffff
	v_lshlrev_b32_e32 v28, 2, v24
	v_add_u32_e32 v90, v18, v19
	s_mov_b32 s14, 0x3f200000
	s_mov_b32 s15, 0x3fb8aa3b
	;; [unrolled: 1-line block ×4, first 2 shown]
	v_mov_b32_e32 v91, 0x3ca908c9
	s_brev_b32 s18, -2
	v_add_u32_e32 v92, 0x4400, v17
	s_mov_b32 s19, 0xc1a00000
	s_mov_b32 s20, 0x5040100
	v_mov_b32_e32 v93, 0x7f800000
	v_mov_b32_e32 v94, v29
	;; [unrolled: 1-line block ×18, first 2 shown]
                                        ; implicit-def: $vgpr16
                                        ; implicit-def: $vgpr16
	;; [unrolled: 1-line block ×3, first 2 shown]
	s_ashr_i32 s7, s6, 31
	s_and_saveexec_b64 s[8:9], s[0:1]
	s_cbranch_execz .LBB25_441
.LBB25_440:
	v_lshl_add_u64 v[16:17], s[6:7], 1, v[30:31]
	global_load_dword v16, v[16:17], off
	s_waitcnt vmcnt(0)
	ds_write_b32 v79, v16 offset:17408
.LBB25_441:                             ; =>This Inner Loop Header: Depth=1
	s_or_b64 exec, exec, s[8:9]
	s_mul_hi_i32 s9, s6, s38
	s_mul_i32 s8, s6, s38
	s_lshl_b64 s[8:9], s[8:9], 2
	s_add_u32 s8, s12, s8
	s_addc_u32 s9, s13, s9
	v_lshl_add_u64 v[16:17], v[32:33], 2, s[8:9]
	v_lshl_add_u64 v[104:105], v[16:17], 0, v[28:29]
	;; [unrolled: 1-line block ×8, first 2 shown]
	global_load_dwordx4 v[16:19], v[104:105], off
	global_load_dwordx4 v[20:23], v[106:107], off
	;; [unrolled: 1-line block ×4, first 2 shown]
	v_add_u32_e32 v95, 0x2000, v90
	s_waitcnt vmcnt(3)
	ds_write_b128 v80, v[16:19]
	s_waitcnt vmcnt(2)
	ds_write_b128 v81, v[20:23]
	;; [unrolled: 2-line block ×4, first 2 shown]
	s_waitcnt lgkmcnt(0)
	s_barrier
	ds_read2_b64 v[16:19], v90 offset1:4
	ds_read2_b64 v[96:99], v95 offset0:64 offset1:68
	s_waitcnt lgkmcnt(1)
	v_mfma_f32_16x16x16_f16 v[20:23], v[16:17], v[12:13], 0
	s_waitcnt lgkmcnt(0)
	v_mfma_f32_16x16x16_f16 v[100:103], v[96:97], v[12:13], 0
	v_mfma_f32_16x16x16_f16 v[16:19], v[18:19], v[14:15], v[20:23]
	;; [unrolled: 1-line block ×3, first 2 shown]
	ds_read2_b64 v[96:99], v90 offset0:8 offset1:12
	s_nop 4
	ds_read2_b64 v[100:103], v95 offset0:72 offset1:76
	s_waitcnt lgkmcnt(1)
	v_mfma_f32_16x16x16_f16 v[16:19], v[96:97], v[8:9], v[16:19]
	s_waitcnt lgkmcnt(0)
	v_mfma_f32_16x16x16_f16 v[20:23], v[100:101], v[8:9], v[20:23]
	v_mfma_f32_16x16x16_f16 v[16:19], v[98:99], v[10:11], v[16:19]
	ds_read2_b64 v[96:99], v90 offset0:16 offset1:20
	v_mfma_f32_16x16x16_f16 v[20:23], v[102:103], v[10:11], v[20:23]
	ds_read2_b64 v[100:103], v95 offset0:80 offset1:84
	s_waitcnt lgkmcnt(1)
	v_mfma_f32_16x16x16_f16 v[16:19], v[96:97], v[4:5], v[16:19]
	s_waitcnt lgkmcnt(0)
	v_mfma_f32_16x16x16_f16 v[20:23], v[100:101], v[4:5], v[20:23]
	v_mfma_f32_16x16x16_f16 v[16:19], v[98:99], v[6:7], v[16:19]
	ds_read2_b64 v[96:99], v90 offset0:24 offset1:28
	v_mfma_f32_16x16x16_f16 v[20:23], v[102:103], v[6:7], v[20:23]
	ds_read2_b64 v[100:103], v95 offset0:88 offset1:92
	s_waitcnt lgkmcnt(0)
	s_barrier
	v_mfma_f32_16x16x16_f16 v[16:19], v[96:97], v[0:1], v[16:19]
                                        ; implicit-def: $vgpr95
	v_mfma_f32_16x16x16_f16 v[20:23], v[100:101], v[0:1], v[20:23]
	v_mfma_f32_16x16x16_f16 v[16:19], v[98:99], v[2:3], v[16:19]
	;; [unrolled: 1-line block ×3, first 2 shown]
	s_nop 6
	v_cmp_nlt_f32_e64 s[8:9], |v16|, s14
	s_and_saveexec_b64 s[22:23], s[8:9]
	s_xor_b64 s[8:9], exec, s[22:23]
	s_cbranch_execz .LBB25_443
; %bb.442:                              ;   in Loop: Header=BB25_441 Depth=1
	v_add_f32_e64 v95, |v16|, |v16|
	v_mul_f32_e32 v96, 0x3fb8aa3b, v95
	v_rndne_f32_e32 v97, v96
	v_sub_f32_e32 v98, v96, v97
	v_fma_f32 v96, v95, s15, -v96
	v_fmac_f32_e32 v96, 0x32a5705f, v95
	v_add_f32_e32 v96, v98, v96
	v_cvt_i32_f32_e32 v97, v97
	v_exp_f32_e32 v96, v96
	v_cmp_ngt_f32_e32 vcc, s16, v95
	v_ldexp_f32 v96, v96, v97
	s_nop 0
	v_cndmask_b32_e32 v96, 0, v96, vcc
	v_cmp_nlt_f32_e32 vcc, s17, v95
	s_nop 1
	v_cndmask_b32_e32 v95, v93, v96, vcc
	v_add_f32_e32 v95, 1.0, v95
	v_rcp_f32_e32 v95, v95
	s_nop 0
	v_fma_f32 v95, v95, -2.0, 1.0
.LBB25_443:                             ;   in Loop: Header=BB25_441 Depth=1
	s_andn2_saveexec_b64 s[8:9], s[8:9]
; %bb.444:                              ;   in Loop: Header=BB25_441 Depth=1
	v_mul_f32_e32 v95, v16, v16
	v_fmamk_f32 v96, v95, 0xbbbac73d, v91
	v_fmaak_f32 v96, v95, v96, 0xbd5c1c4e
	v_fmaak_f32 v96, v95, v96, 0x3e088382
	;; [unrolled: 1-line block ×3, first 2 shown]
	v_mul_f32_e64 v96, |v16|, v96
	v_fma_f32 v95, v95, v96, |v16|
; %bb.445:                              ;   in Loop: Header=BB25_441 Depth=1
	s_or_b64 exec, exec, s[8:9]
	v_cmp_nlt_f32_e64 s[8:9], |v17|, s14
                                        ; implicit-def: $vgpr96
	s_and_saveexec_b64 s[22:23], s[8:9]
	s_xor_b64 s[8:9], exec, s[22:23]
	s_cbranch_execz .LBB25_447
; %bb.446:                              ;   in Loop: Header=BB25_441 Depth=1
	v_add_f32_e64 v96, |v17|, |v17|
	v_mul_f32_e32 v97, 0x3fb8aa3b, v96
	v_rndne_f32_e32 v98, v97
	v_sub_f32_e32 v99, v97, v98
	v_fma_f32 v97, v96, s15, -v97
	v_fmac_f32_e32 v97, 0x32a5705f, v96
	v_add_f32_e32 v97, v99, v97
	v_cvt_i32_f32_e32 v98, v98
	v_exp_f32_e32 v97, v97
	v_cmp_ngt_f32_e32 vcc, s16, v96
	v_ldexp_f32 v97, v97, v98
	s_nop 0
	v_cndmask_b32_e32 v97, 0, v97, vcc
	v_cmp_nlt_f32_e32 vcc, s17, v96
	s_nop 1
	v_cndmask_b32_e32 v96, v93, v97, vcc
	v_add_f32_e32 v96, 1.0, v96
	v_rcp_f32_e32 v96, v96
	s_nop 0
	v_fma_f32 v96, v96, -2.0, 1.0
.LBB25_447:                             ;   in Loop: Header=BB25_441 Depth=1
	s_andn2_saveexec_b64 s[8:9], s[8:9]
; %bb.448:                              ;   in Loop: Header=BB25_441 Depth=1
	v_mul_f32_e32 v96, v17, v17
	v_fmamk_f32 v97, v96, 0xbbbac73d, v91
	v_fmaak_f32 v97, v96, v97, 0xbd5c1c4e
	v_fmaak_f32 v97, v96, v97, 0x3e088382
	;; [unrolled: 1-line block ×3, first 2 shown]
	v_mul_f32_e64 v97, |v17|, v97
	v_fma_f32 v96, v96, v97, |v17|
; %bb.449:                              ;   in Loop: Header=BB25_441 Depth=1
	s_or_b64 exec, exec, s[8:9]
	v_cmp_nlt_f32_e64 s[8:9], |v18|, s14
                                        ; implicit-def: $vgpr97
	s_and_saveexec_b64 s[22:23], s[8:9]
	s_xor_b64 s[8:9], exec, s[22:23]
	s_cbranch_execz .LBB25_451
; %bb.450:                              ;   in Loop: Header=BB25_441 Depth=1
	v_add_f32_e64 v97, |v18|, |v18|
	v_mul_f32_e32 v98, 0x3fb8aa3b, v97
	v_rndne_f32_e32 v99, v98
	v_sub_f32_e32 v100, v98, v99
	v_fma_f32 v98, v97, s15, -v98
	v_fmac_f32_e32 v98, 0x32a5705f, v97
	v_add_f32_e32 v98, v100, v98
	v_cvt_i32_f32_e32 v99, v99
	v_exp_f32_e32 v98, v98
	v_cmp_ngt_f32_e32 vcc, s16, v97
	v_ldexp_f32 v98, v98, v99
	s_nop 0
	v_cndmask_b32_e32 v98, 0, v98, vcc
	v_cmp_nlt_f32_e32 vcc, s17, v97
	s_nop 1
	v_cndmask_b32_e32 v97, v93, v98, vcc
	v_add_f32_e32 v97, 1.0, v97
	v_rcp_f32_e32 v97, v97
	s_nop 0
	v_fma_f32 v97, v97, -2.0, 1.0
.LBB25_451:                             ;   in Loop: Header=BB25_441 Depth=1
	s_andn2_saveexec_b64 s[8:9], s[8:9]
; %bb.452:                              ;   in Loop: Header=BB25_441 Depth=1
	v_mul_f32_e32 v97, v18, v18
	v_fmamk_f32 v98, v97, 0xbbbac73d, v91
	v_fmaak_f32 v98, v97, v98, 0xbd5c1c4e
	v_fmaak_f32 v98, v97, v98, 0x3e088382
	;; [unrolled: 1-line block ×3, first 2 shown]
	v_mul_f32_e64 v98, |v18|, v98
	v_fma_f32 v97, v97, v98, |v18|
; %bb.453:                              ;   in Loop: Header=BB25_441 Depth=1
	s_or_b64 exec, exec, s[8:9]
	v_cmp_nlt_f32_e64 s[8:9], |v19|, s14
                                        ; implicit-def: $vgpr98
	s_and_saveexec_b64 s[22:23], s[8:9]
	s_xor_b64 s[8:9], exec, s[22:23]
	s_cbranch_execz .LBB25_455
; %bb.454:                              ;   in Loop: Header=BB25_441 Depth=1
	v_add_f32_e64 v98, |v19|, |v19|
	v_mul_f32_e32 v99, 0x3fb8aa3b, v98
	v_rndne_f32_e32 v100, v99
	v_sub_f32_e32 v101, v99, v100
	v_fma_f32 v99, v98, s15, -v99
	v_fmac_f32_e32 v99, 0x32a5705f, v98
	v_add_f32_e32 v99, v101, v99
	v_cvt_i32_f32_e32 v100, v100
	v_exp_f32_e32 v99, v99
	v_cmp_ngt_f32_e32 vcc, s16, v98
	v_ldexp_f32 v99, v99, v100
	s_nop 0
	v_cndmask_b32_e32 v99, 0, v99, vcc
	v_cmp_nlt_f32_e32 vcc, s17, v98
	s_nop 1
	v_cndmask_b32_e32 v98, v93, v99, vcc
	v_add_f32_e32 v98, 1.0, v98
	v_rcp_f32_e32 v98, v98
	s_nop 0
	v_fma_f32 v98, v98, -2.0, 1.0
.LBB25_455:                             ;   in Loop: Header=BB25_441 Depth=1
	s_andn2_saveexec_b64 s[8:9], s[8:9]
; %bb.456:                              ;   in Loop: Header=BB25_441 Depth=1
	v_mul_f32_e32 v98, v19, v19
	v_fmamk_f32 v99, v98, 0xbbbac73d, v91
	v_fmaak_f32 v99, v98, v99, 0xbd5c1c4e
	v_fmaak_f32 v99, v98, v99, 0x3e088382
	;; [unrolled: 1-line block ×3, first 2 shown]
	v_mul_f32_e64 v99, |v19|, v99
	v_fma_f32 v98, v98, v99, |v19|
; %bb.457:                              ;   in Loop: Header=BB25_441 Depth=1
	s_or_b64 exec, exec, s[8:9]
	v_cmp_nlt_f32_e64 s[8:9], |v20|, s14
                                        ; implicit-def: $vgpr99
	s_and_saveexec_b64 s[22:23], s[8:9]
	s_xor_b64 s[8:9], exec, s[22:23]
	s_cbranch_execz .LBB25_459
; %bb.458:                              ;   in Loop: Header=BB25_441 Depth=1
	v_add_f32_e64 v99, |v20|, |v20|
	v_mul_f32_e32 v100, 0x3fb8aa3b, v99
	v_rndne_f32_e32 v101, v100
	v_sub_f32_e32 v102, v100, v101
	v_fma_f32 v100, v99, s15, -v100
	v_fmac_f32_e32 v100, 0x32a5705f, v99
	v_add_f32_e32 v100, v102, v100
	v_cvt_i32_f32_e32 v101, v101
	v_exp_f32_e32 v100, v100
	v_cmp_ngt_f32_e32 vcc, s16, v99
	v_ldexp_f32 v100, v100, v101
	s_nop 0
	v_cndmask_b32_e32 v100, 0, v100, vcc
	v_cmp_nlt_f32_e32 vcc, s17, v99
	s_nop 1
	v_cndmask_b32_e32 v99, v93, v100, vcc
	v_add_f32_e32 v99, 1.0, v99
	v_rcp_f32_e32 v99, v99
	s_nop 0
	v_fma_f32 v99, v99, -2.0, 1.0
.LBB25_459:                             ;   in Loop: Header=BB25_441 Depth=1
	s_andn2_saveexec_b64 s[8:9], s[8:9]
; %bb.460:                              ;   in Loop: Header=BB25_441 Depth=1
	v_mul_f32_e32 v99, v20, v20
	v_fmamk_f32 v100, v99, 0xbbbac73d, v91
	v_fmaak_f32 v100, v99, v100, 0xbd5c1c4e
	v_fmaak_f32 v100, v99, v100, 0x3e088382
	;; [unrolled: 1-line block ×3, first 2 shown]
	v_mul_f32_e64 v100, |v20|, v100
	v_fma_f32 v99, v99, v100, |v20|
; %bb.461:                              ;   in Loop: Header=BB25_441 Depth=1
	s_or_b64 exec, exec, s[8:9]
	v_cmp_nlt_f32_e64 s[8:9], |v21|, s14
                                        ; implicit-def: $vgpr100
	s_and_saveexec_b64 s[22:23], s[8:9]
	s_xor_b64 s[8:9], exec, s[22:23]
	s_cbranch_execz .LBB25_463
; %bb.462:                              ;   in Loop: Header=BB25_441 Depth=1
	v_add_f32_e64 v100, |v21|, |v21|
	v_mul_f32_e32 v101, 0x3fb8aa3b, v100
	v_rndne_f32_e32 v102, v101
	v_sub_f32_e32 v103, v101, v102
	v_fma_f32 v101, v100, s15, -v101
	v_fmac_f32_e32 v101, 0x32a5705f, v100
	v_add_f32_e32 v101, v103, v101
	v_cvt_i32_f32_e32 v102, v102
	v_exp_f32_e32 v101, v101
	v_cmp_ngt_f32_e32 vcc, s16, v100
	v_ldexp_f32 v101, v101, v102
	s_nop 0
	v_cndmask_b32_e32 v101, 0, v101, vcc
	v_cmp_nlt_f32_e32 vcc, s17, v100
	s_nop 1
	v_cndmask_b32_e32 v100, v93, v101, vcc
	v_add_f32_e32 v100, 1.0, v100
	v_rcp_f32_e32 v100, v100
	s_nop 0
	v_fma_f32 v100, v100, -2.0, 1.0
.LBB25_463:                             ;   in Loop: Header=BB25_441 Depth=1
	s_andn2_saveexec_b64 s[8:9], s[8:9]
; %bb.464:                              ;   in Loop: Header=BB25_441 Depth=1
	v_mul_f32_e32 v100, v21, v21
	v_fmamk_f32 v101, v100, 0xbbbac73d, v91
	v_fmaak_f32 v101, v100, v101, 0xbd5c1c4e
	v_fmaak_f32 v101, v100, v101, 0x3e088382
	;; [unrolled: 1-line block ×3, first 2 shown]
	v_mul_f32_e64 v101, |v21|, v101
	v_fma_f32 v100, v100, v101, |v21|
; %bb.465:                              ;   in Loop: Header=BB25_441 Depth=1
	s_or_b64 exec, exec, s[8:9]
	v_cmp_nlt_f32_e64 s[8:9], |v22|, s14
                                        ; implicit-def: $vgpr101
	s_and_saveexec_b64 s[22:23], s[8:9]
	s_xor_b64 s[8:9], exec, s[22:23]
	s_cbranch_execz .LBB25_467
; %bb.466:                              ;   in Loop: Header=BB25_441 Depth=1
	v_add_f32_e64 v101, |v22|, |v22|
	v_mul_f32_e32 v102, 0x3fb8aa3b, v101
	v_rndne_f32_e32 v103, v102
	v_sub_f32_e32 v104, v102, v103
	v_fma_f32 v102, v101, s15, -v102
	v_fmac_f32_e32 v102, 0x32a5705f, v101
	v_add_f32_e32 v102, v104, v102
	v_cvt_i32_f32_e32 v103, v103
	v_exp_f32_e32 v102, v102
	v_cmp_ngt_f32_e32 vcc, s16, v101
	v_ldexp_f32 v102, v102, v103
	s_nop 0
	v_cndmask_b32_e32 v102, 0, v102, vcc
	v_cmp_nlt_f32_e32 vcc, s17, v101
	s_nop 1
	v_cndmask_b32_e32 v101, v93, v102, vcc
	v_add_f32_e32 v101, 1.0, v101
	v_rcp_f32_e32 v101, v101
	s_nop 0
	v_fma_f32 v101, v101, -2.0, 1.0
.LBB25_467:                             ;   in Loop: Header=BB25_441 Depth=1
	s_andn2_saveexec_b64 s[8:9], s[8:9]
; %bb.468:                              ;   in Loop: Header=BB25_441 Depth=1
	v_mul_f32_e32 v101, v22, v22
	v_fmamk_f32 v102, v101, 0xbbbac73d, v91
	v_fmaak_f32 v102, v101, v102, 0xbd5c1c4e
	v_fmaak_f32 v102, v101, v102, 0x3e088382
	;; [unrolled: 1-line block ×3, first 2 shown]
	v_mul_f32_e64 v102, |v22|, v102
	v_fma_f32 v101, v101, v102, |v22|
; %bb.469:                              ;   in Loop: Header=BB25_441 Depth=1
	s_or_b64 exec, exec, s[8:9]
	v_cmp_nlt_f32_e64 s[8:9], |v23|, s14
                                        ; implicit-def: $vgpr102
	s_and_saveexec_b64 s[22:23], s[8:9]
	s_xor_b64 s[8:9], exec, s[22:23]
	s_cbranch_execz .LBB25_471
; %bb.470:                              ;   in Loop: Header=BB25_441 Depth=1
	v_add_f32_e64 v102, |v23|, |v23|
	v_mul_f32_e32 v103, 0x3fb8aa3b, v102
	v_rndne_f32_e32 v104, v103
	v_sub_f32_e32 v105, v103, v104
	v_fma_f32 v103, v102, s15, -v103
	v_fmac_f32_e32 v103, 0x32a5705f, v102
	v_add_f32_e32 v103, v105, v103
	v_cvt_i32_f32_e32 v104, v104
	v_exp_f32_e32 v103, v103
	v_cmp_ngt_f32_e32 vcc, s16, v102
	v_ldexp_f32 v103, v103, v104
	s_nop 0
	v_cndmask_b32_e32 v103, 0, v103, vcc
	v_cmp_nlt_f32_e32 vcc, s17, v102
	s_nop 1
	v_cndmask_b32_e32 v102, v93, v103, vcc
	v_add_f32_e32 v102, 1.0, v102
	v_rcp_f32_e32 v102, v102
	s_nop 0
	v_fma_f32 v102, v102, -2.0, 1.0
.LBB25_471:                             ;   in Loop: Header=BB25_441 Depth=1
	s_andn2_saveexec_b64 s[8:9], s[8:9]
; %bb.472:                              ;   in Loop: Header=BB25_441 Depth=1
	v_mul_f32_e32 v102, v23, v23
	v_fmamk_f32 v103, v102, 0xbbbac73d, v91
	v_fmaak_f32 v103, v102, v103, 0xbd5c1c4e
	v_fmaak_f32 v103, v102, v103, 0x3e088382
	;; [unrolled: 1-line block ×3, first 2 shown]
	v_mul_f32_e64 v103, |v23|, v103
	v_fma_f32 v102, v102, v103, |v23|
; %bb.473:                              ;   in Loop: Header=BB25_441 Depth=1
	s_or_b64 exec, exec, s[8:9]
	v_bfi_b32 v95, s18, v95, v16
	v_bfi_b32 v96, s18, v96, v17
	ds_read2_b32 v[16:17], v92 offset1:1
	v_bfi_b32 v19, s18, v98, v19
	v_bfi_b32 v18, s18, v97, v18
	ds_read_b32 v97, v84 offset:17408
	ds_read_b32 v98, v85 offset:17408
	v_bfi_b32 v20, s18, v99, v20
	v_bfi_b32 v21, s18, v100, v21
	s_waitcnt lgkmcnt(2)
	v_fma_mix_f32 v95, s3, v95, v16 op_sel_hi:[0,0,1]
	v_fma_mix_f32 v16, s3, v96, v16 op_sel:[0,0,1] op_sel_hi:[0,0,1]
	v_bfi_b32 v22, s18, v101, v22
	v_fma_mix_f32 v18, s3, v18, v17 op_sel_hi:[0,0,1]
	v_fma_mix_f32 v17, s3, v19, v17 op_sel:[0,0,1] op_sel_hi:[0,0,1]
	s_waitcnt lgkmcnt(1)
	v_fma_mix_f32 v19, s3, v20, v97 op_sel_hi:[0,0,1]
	v_fma_mix_f32 v116, s3, v21, v97 op_sel:[0,0,1] op_sel_hi:[0,0,1]
	v_add_f32_e32 v20, 0x40051340, v95
	v_add_f32_e32 v21, 0x40051340, v16
	v_bfi_b32 v23, s18, v102, v23
	s_waitcnt lgkmcnt(0)
	v_fma_mix_f32 v117, s3, v22, v98 op_sel_hi:[0,0,1]
	v_max3_f32 v20, v76, v20, v21
	v_add_f32_e32 v21, 0x40051340, v18
	v_add_f32_e32 v22, 0x40051340, v17
	v_fma_mix_f32 v118, s3, v23, v98 op_sel:[0,0,1] op_sel_hi:[0,0,1]
	v_max3_f32 v20, v20, v21, v22
	v_add_f32_e32 v21, 0x40051340, v19
	v_add_f32_e32 v22, 0x40051340, v116
	v_max3_f32 v20, v20, v21, v22
	v_add_f32_e32 v21, 0x40051340, v117
	v_add_f32_e32 v22, 0x40051340, v118
	v_max3_f32 v20, v20, v21, v22
	ds_bpermute_b32 v21, v86, v20
	s_mul_hi_i32 s9, s6, s34
	s_mul_i32 s8, s6, s34
	s_lshl_b64 s[8:9], s[8:9], 2
	s_add_u32 s8, s2, s8
	s_waitcnt lgkmcnt(0)
	v_max_f32_e32 v21, v21, v21
	v_max_f32_e32 v20, v20, v21
	ds_bpermute_b32 v21, v87, v20
	s_addc_u32 s9, s10, s9
	s_add_i32 s84, s84, 1
	s_add_i32 s6, s6, 64
	s_waitcnt lgkmcnt(0)
	v_max_f32_e32 v21, v21, v21
	v_max_f32_e32 v20, v20, v21
	v_sub_f32_e32 v21, v95, v20
	v_mul_f32_e32 v22, 0x3fb8aa3b, v21
	v_fma_f32 v23, v21, s15, -v22
	v_rndne_f32_e32 v95, v22
	v_fmac_f32_e32 v23, 0x32a5705f, v21
	v_sub_f32_e32 v22, v22, v95
	v_add_f32_e32 v22, v22, v23
	v_exp_f32_e32 v22, v22
	v_cvt_i32_f32_e32 v23, v95
	v_sub_f32_e32 v16, v16, v20
	v_cmp_ngt_f32_e32 vcc, s16, v21
	v_sub_f32_e32 v18, v18, v20
	v_ldexp_f32 v22, v22, v23
	v_mul_f32_e32 v23, 0x3fb8aa3b, v16
	v_fma_f32 v95, v16, s15, -v23
	v_rndne_f32_e32 v96, v23
	v_fmac_f32_e32 v95, 0x32a5705f, v16
	v_sub_f32_e32 v23, v23, v96
	v_add_f32_e32 v23, v23, v95
	v_exp_f32_e32 v23, v23
	v_cvt_i32_f32_e32 v95, v96
	v_cndmask_b32_e32 v22, 0, v22, vcc
	v_cmp_nlt_f32_e32 vcc, s17, v21
	v_sub_f32_e32 v120, v19, v20
	v_mul_f32_e32 v121, 0x3fb8aa3b, v120
	v_cndmask_b32_e32 v21, v93, v22, vcc
	v_ldexp_f32 v22, v23, v95
	v_mul_f32_e32 v23, 0x3fb8aa3b, v18
	v_fma_f32 v95, v18, s15, -v23
	v_rndne_f32_e32 v96, v23
	v_fmac_f32_e32 v95, 0x32a5705f, v18
	v_sub_f32_e32 v23, v23, v96
	v_add_f32_e32 v23, v23, v95
	v_exp_f32_e32 v23, v23
	v_cvt_i32_f32_e32 v95, v96
	v_cmp_ngt_f32_e32 vcc, s16, v16
	v_fma_f32 v122, v120, s15, -v121
	v_fmac_f32_e32 v122, 0x32a5705f, v120
	v_cndmask_b32_e32 v22, 0, v22, vcc
	v_cmp_nlt_f32_e32 vcc, s17, v16
	v_ldexp_f32 v16, v23, v95
	v_sub_f32_e32 v95, v17, v20
	v_mul_f32_e32 v17, 0x3fb8aa3b, v95
	v_fma_f32 v23, v95, s15, -v17
	v_rndne_f32_e32 v96, v17
	v_fmac_f32_e32 v23, 0x32a5705f, v95
	v_sub_f32_e32 v17, v17, v96
	v_add_f32_e32 v17, v17, v23
	v_exp_f32_e32 v17, v17
	v_cvt_i32_f32_e32 v96, v96
	v_cndmask_b32_e32 v22, v93, v22, vcc
	v_cmp_ngt_f32_e32 vcc, s16, v18
	v_ldexp_f32 v119, v17, v96
	s_nop 0
	v_cndmask_b32_e32 v16, 0, v16, vcc
	v_cmp_nlt_f32_e32 vcc, s17, v18
	s_nop 1
	v_cndmask_b32_e32 v23, v93, v16, vcc
	v_lshl_add_u64 v[16:17], v[40:41], 2, s[8:9]
	v_lshl_add_u64 v[96:97], v[16:17], 0, v[28:29]
	;; [unrolled: 1-line block ×8, first 2 shown]
	global_load_dwordx4 v[16:19], v[96:97], off
	global_load_dwordx4 v[100:103], v[98:99], off
	;; [unrolled: 1-line block ×4, first 2 shown]
	v_rndne_f32_e32 v96, v121
	v_sub_f32_e32 v97, v121, v96
	v_add_f32_e32 v97, v97, v122
	v_exp_f32_e32 v97, v97
	v_cvt_i32_f32_e32 v96, v96
	v_cmp_ngt_f32_e32 vcc, s16, v95
	s_waitcnt vmcnt(3)
	ds_write_b128 v80, v[16:19]
	s_waitcnt vmcnt(2)
	ds_write_b128 v81, v[100:103]
	;; [unrolled: 2-line block ×4, first 2 shown]
	v_cndmask_b32_e32 v98, 0, v119, vcc
	v_cmp_nlt_f32_e32 vcc, s17, v95
	v_ldexp_f32 v96, v97, v96
	v_sub_f32_e32 v97, v116, v20
	v_cndmask_b32_e32 v95, v93, v98, vcc
	v_mul_f32_e32 v98, 0x3fb8aa3b, v97
	v_fma_f32 v99, v97, s15, -v98
	v_rndne_f32_e32 v112, v98
	v_fmac_f32_e32 v99, 0x32a5705f, v97
	v_sub_f32_e32 v98, v98, v112
	v_add_f32_e32 v98, v98, v99
	v_exp_f32_e32 v98, v98
	v_cvt_i32_f32_e32 v99, v112
	v_cmp_ngt_f32_e32 vcc, s16, v120
	s_waitcnt lgkmcnt(0)
	s_barrier
	v_ldexp_f32 v98, v98, v99
	v_sub_f32_e32 v99, v117, v20
	v_mul_f32_e32 v112, 0x3fb8aa3b, v99
	v_fma_f32 v113, v99, s15, -v112
	v_rndne_f32_e32 v114, v112
	v_fmac_f32_e32 v113, 0x32a5705f, v99
	v_sub_f32_e32 v112, v112, v114
	v_add_f32_e32 v112, v112, v113
	v_exp_f32_e32 v112, v112
	v_cvt_i32_f32_e32 v113, v114
	v_cndmask_b32_e32 v96, 0, v96, vcc
	v_cmp_nlt_f32_e32 vcc, s17, v120
	v_cvt_pk_f16_f32 v121, v23, v95
	s_nop 0
	v_cndmask_b32_e32 v96, v93, v96, vcc
	v_cmp_ngt_f32_e32 vcc, s16, v97
	v_cvt_pk_f16_f32 v120, v21, v22
	v_add_f32_e32 v21, v21, v22
	v_cndmask_b32_e32 v98, 0, v98, vcc
	v_cmp_nlt_f32_e32 vcc, s17, v97
	v_add_f32_e32 v21, v23, v21
	v_add_f32_e32 v21, v95, v21
	v_cndmask_b32_e32 v97, v93, v98, vcc
	v_ldexp_f32 v98, v112, v113
	v_sub_f32_e32 v112, v118, v20
	v_mul_f32_e32 v113, 0x3fb8aa3b, v112
	v_fma_f32 v114, v112, s15, -v113
	v_rndne_f32_e32 v115, v113
	v_fmac_f32_e32 v114, 0x32a5705f, v112
	v_sub_f32_e32 v113, v113, v115
	v_add_f32_e32 v113, v113, v114
	v_cvt_i32_f32_e32 v114, v115
	v_sub_f32_e32 v115, v76, v20
	v_mul_f32_e32 v76, 0x3fb8aa3b, v115
	v_fma_f32 v116, v115, s15, -v76
	v_rndne_f32_e32 v117, v76
	v_fmac_f32_e32 v116, 0x32a5705f, v115
	v_sub_f32_e32 v76, v76, v117
	v_add_f32_e32 v76, v76, v116
	v_exp_f32_e32 v116, v76
	v_cvt_i32_f32_e32 v117, v117
	v_cmp_ngt_f32_e32 vcc, s16, v99
	v_exp_f32_e32 v113, v113
	v_cvt_pk_f16_f32 v122, v96, v97
	v_cndmask_b32_e32 v98, 0, v98, vcc
	v_cmp_nlt_f32_e32 vcc, s17, v99
	v_ldexp_f32 v99, v113, v114
	v_add_f32_e32 v21, v96, v21
	v_cndmask_b32_e32 v76, v93, v98, vcc
	v_ldexp_f32 v98, v116, v117
	v_cmp_ngt_f32_e32 vcc, s16, v115
	v_add_f32_e32 v21, v97, v21
	v_add_f32_e32 v21, v76, v21
	v_cndmask_b32_e32 v98, 0, v98, vcc
	v_cmp_nlt_f32_e32 vcc, s17, v115
	s_nop 1
	v_cndmask_b32_e32 v98, v93, v98, vcc
	v_cmp_le_f32_e32 vcc, s19, v115
	s_nop 1
	v_cndmask_b32_e32 v98, 0, v98, vcc
	v_cvt_f16_f32_e32 v113, v98
	v_cmp_ngt_f32_e32 vcc, s16, v112
	v_mul_u32_u24_e32 v116, 0x10001, v113
	s_nop 0
	v_cndmask_b32_e32 v99, 0, v99, vcc
	v_cmp_nlt_f32_e32 vcc, s17, v112
	v_pk_mul_f16 v71, v71, v116
	v_pk_mul_f16 v112, v70, v116
	ds_read_u16 v19, v88 offset:544
	ds_read_u16 v103, v88 offset:576
	;; [unrolled: 1-line block ×8, first 2 shown]
	ds_read_u16 v70, v89
	ds_read_u16 v104, v89 offset:32
	ds_read_u16 v109, v89 offset:64
	;; [unrolled: 1-line block ×7, first 2 shown]
	v_cvt_f32_f16_e32 v16, v71
	v_cvt_f32_f16_sdwa v17, v71 dst_sel:DWORD dst_unused:UNUSED_PAD src0_sel:WORD_1
	s_waitcnt lgkmcnt(7)
	v_perm_b32 v71, v70, v19, s20
	ds_read_u16 v19, v88
	ds_read_u16 v105, v88 offset:32
	ds_read_u16 v125, v88 offset:64
	;; [unrolled: 1-line block ×15, first 2 shown]
	s_waitcnt lgkmcnt(7)
	v_perm_b32 v70, v70, v19, s20
	v_cvt_f32_f16_e32 v18, v112
	v_cvt_f32_f16_sdwa v19, v112 dst_sel:DWORD dst_unused:UNUSED_PAD src0_sel:WORD_1
	v_cndmask_b32_e32 v99, v93, v99, vcc
	v_cvt_pk_f16_f32 v123, v76, v99
	v_mfma_f32_16x16x16_f16 v[16:19], v[70:71], v[120:121], v[16:19]
	ds_read_u16 v70, v88 offset:9248
	ds_read_u16 v112, v88 offset:9280
	;; [unrolled: 1-line block ×16, first 2 shown]
	s_waitcnt lgkmcnt(7)
	v_perm_b32 v71, v71, v70, s20
	ds_read_u16 v70, v88 offset:8704
	ds_read_u16 v150, v88 offset:8736
	;; [unrolled: 1-line block ×16, first 2 shown]
	v_cvt_f16_f32_e32 v16, v16
	v_cvt_f16_f32_e32 v17, v17
	;; [unrolled: 1-line block ×4, first 2 shown]
	s_waitcnt lgkmcnt(7)
	v_perm_b32 v70, v100, v70, s20
	v_cvt_f32_f16_e32 v16, v16
	v_cvt_f32_f16_e32 v17, v17
	v_cvt_f32_f16_e32 v18, v18
	v_cvt_f32_f16_e32 v19, v19
	v_pk_mul_f16 v68, v68, v116
	v_pk_mul_f16 v64, v64, v116
	v_mfma_f32_16x16x16_f16 v[16:19], v[70:71], v[122:123], v[16:19]
	v_perm_b32 v71, v104, v103, s20
	v_perm_b32 v70, v106, v105, s20
	v_cvt_f32_f16_e32 v100, v68
	v_cvt_f32_f16_sdwa v101, v68 dst_sel:DWORD dst_unused:UNUSED_PAD src0_sel:WORD_1
	v_cvt_f32_f16_e32 v102, v64
	v_cvt_f32_f16_sdwa v103, v64 dst_sel:DWORD dst_unused:UNUSED_PAD src0_sel:WORD_1
	v_pk_mul_f16 v63, v63, v116
	v_pk_mul_f16 v59, v59, v116
	v_mfma_f32_16x16x16_f16 v[100:103], v[70:71], v[120:121], v[100:103]
	v_cvt_f32_f16_e32 v104, v63
	v_cvt_f32_f16_sdwa v105, v63 dst_sel:DWORD dst_unused:UNUSED_PAD src0_sel:WORD_1
	v_perm_b32 v63, v109, v107, s20
	v_perm_b32 v71, v143, v112, s20
	s_nop 3
	v_cvt_f16_f32_e32 v64, v100
	v_cvt_f16_f32_e32 v68, v101
	;; [unrolled: 1-line block ×4, first 2 shown]
	v_cvt_f32_f16_e32 v100, v64
	v_pk_mul_f16 v64, v62, v116
	v_perm_b32 v62, v131, v125, s20
	v_cvt_f32_f16_e32 v106, v64
	v_cvt_f32_f16_sdwa v107, v64 dst_sel:DWORD dst_unused:UNUSED_PAD src0_sel:WORD_1
	v_cvt_f32_f16_e32 v101, v68
	v_cvt_f32_f16_e32 v102, v70
	v_mfma_f32_16x16x16_f16 v[104:107], v[62:63], v[120:121], v[104:107]
	s_waitcnt lgkmcnt(6)
	v_perm_b32 v70, v157, v150, s20
	v_cvt_f32_f16_e32 v103, v103
	v_cvt_f32_f16_sdwa v109, v59 dst_sel:DWORD dst_unused:UNUSED_PAD src0_sel:WORD_1
	v_pk_mul_f16 v61, v61, v116
	s_nop 2
	v_cvt_f16_f32_e32 v62, v104
	v_cvt_f16_f32_e32 v63, v105
	;; [unrolled: 1-line block ×4, first 2 shown]
	v_cvt_f32_f16_e32 v104, v62
	v_cvt_f32_f16_e32 v105, v63
	v_perm_b32 v63, v144, v137, s20
	s_waitcnt lgkmcnt(5)
	v_perm_b32 v62, v158, v151, s20
	v_cvt_f32_f16_e32 v106, v64
	v_cvt_f32_f16_e32 v107, v68
	v_pk_mul_f16 v64, v60, v116
	v_mfma_f32_16x16x16_f16 v[100:103], v[70:71], v[122:123], v[100:103]
	v_perm_b32 v71, v110, v108, s20
	v_cvt_f32_f16_e32 v108, v59
	v_perm_b32 v59, v114, v111, s20
	v_mfma_f32_16x16x16_f16 v[104:107], v[62:63], v[122:123], v[104:107]
	v_cvt_f32_f16_e32 v62, v64
	v_cvt_f32_f16_sdwa v63, v64 dst_sel:DWORD dst_unused:UNUSED_PAD src0_sel:WORD_1
	v_pk_mul_f16 v64, v58, v116
	v_perm_b32 v58, v133, v127, s20
	v_perm_b32 v70, v132, v126, s20
	v_cvt_f32_f16_e32 v110, v64
	v_cvt_f32_f16_sdwa v111, v64 dst_sel:DWORD dst_unused:UNUSED_PAD src0_sel:WORD_1
	v_cvt_f32_f16_e32 v60, v61
	v_cvt_f32_f16_sdwa v61, v61 dst_sel:DWORD dst_unused:UNUSED_PAD src0_sel:WORD_1
	v_mfma_f32_16x16x16_f16 v[108:111], v[58:59], v[120:121], v[108:111]
	v_pk_mul_f16 v55, v55, v116
	v_pk_mul_f16 v57, v57, v116
	v_cvt_f32_f16_e32 v112, v55
	v_mfma_f32_16x16x16_f16 v[60:63], v[70:71], v[120:121], v[60:63]
	s_nop 3
	v_cvt_f16_f32_e32 v58, v108
	v_cvt_f16_f32_e32 v59, v109
	v_cvt_f16_f32_e32 v64, v110
	v_cvt_f16_f32_e32 v68, v111
	v_perm_b32 v71, v145, v138, s20
	v_cvt_f16_f32_e32 v60, v60
	v_cvt_f16_f32_e32 v61, v61
	;; [unrolled: 1-line block ×4, first 2 shown]
	s_waitcnt lgkmcnt(4)
	v_perm_b32 v70, v159, v152, s20
	v_cvt_f32_f16_e32 v108, v58
	v_cvt_f32_f16_e32 v109, v59
	v_perm_b32 v59, v146, v139, s20
	s_waitcnt lgkmcnt(3)
	v_perm_b32 v58, v160, v153, s20
	v_cvt_f32_f16_e32 v60, v60
	v_cvt_f32_f16_e32 v61, v61
	;; [unrolled: 1-line block ×6, first 2 shown]
	v_pk_mul_f16 v64, v56, v116
	v_mfma_f32_16x16x16_f16 v[60:63], v[70:71], v[122:123], v[60:63]
	v_perm_b32 v71, v117, v113, s20
	v_cvt_f32_f16_sdwa v113, v55 dst_sel:DWORD dst_unused:UNUSED_PAD src0_sel:WORD_1
	v_perm_b32 v55, v118, v115, s20
	v_mfma_f32_16x16x16_f16 v[108:111], v[58:59], v[122:123], v[108:111]
	v_cvt_f32_f16_e32 v58, v64
	v_cvt_f32_f16_sdwa v59, v64 dst_sel:DWORD dst_unused:UNUSED_PAD src0_sel:WORD_1
	v_pk_mul_f16 v64, v54, v116
	v_perm_b32 v54, v135, v129, s20
	v_cvt_f32_f16_e32 v114, v64
	v_cvt_f32_f16_sdwa v115, v64 dst_sel:DWORD dst_unused:UNUSED_PAD src0_sel:WORD_1
	v_pk_mul_f16 v25, v25, v116
	v_perm_b32 v23, v124, v119, s20
	v_mfma_f32_16x16x16_f16 v[112:115], v[54:55], v[120:121], v[112:115]
	v_perm_b32 v70, v134, v128, s20
	v_cvt_f32_f16_e32 v118, v25
	v_cvt_f32_f16_sdwa v119, v25 dst_sel:DWORD dst_unused:UNUSED_PAD src0_sel:WORD_1
	v_cvt_f32_f16_e32 v56, v57
	s_nop 3
	v_cvt_f16_f32_e32 v22, v112
	v_cvt_f32_f16_sdwa v57, v57 dst_sel:DWORD dst_unused:UNUSED_PAD src0_sel:WORD_1
	v_cvt_f16_f32_e32 v54, v113
	v_cvt_f16_f32_e32 v55, v114
	v_cvt_f32_f16_e32 v112, v22
	v_pk_mul_f16 v22, v53, v116
	v_mfma_f32_16x16x16_f16 v[56:59], v[70:71], v[120:121], v[56:59]
	v_cvt_f32_f16_e32 v116, v22
	v_cvt_f32_f16_sdwa v117, v22 dst_sel:DWORD dst_unused:UNUSED_PAD src0_sel:WORD_1
	v_perm_b32 v22, v136, v130, s20
	v_cvt_f16_f32_e32 v64, v115
	v_perm_b32 v71, v147, v140, s20
	v_mfma_f32_16x16x16_f16 v[116:119], v[22:23], v[120:121], v[116:119]
	s_nop 1
	v_cvt_f16_f32_e32 v56, v56
	v_cvt_f16_f32_e32 v57, v57
	;; [unrolled: 1-line block ×3, first 2 shown]
	s_nop 2
	v_cvt_f16_f32_e32 v22, v116
	v_cvt_f16_f32_e32 v23, v117
	;; [unrolled: 1-line block ×5, first 2 shown]
	s_waitcnt lgkmcnt(2)
	v_perm_b32 v70, v161, v154, s20
	v_cvt_f32_f16_e32 v113, v54
	v_cvt_f32_f16_e32 v114, v55
	v_perm_b32 v55, v148, v141, s20
	s_waitcnt lgkmcnt(1)
	v_perm_b32 v54, v162, v155, s20
	v_cvt_f32_f16_e32 v116, v22
	v_cvt_f32_f16_e32 v117, v23
	v_perm_b32 v23, v149, v142, s20
	s_waitcnt lgkmcnt(0)
	v_perm_b32 v22, v163, v156, s20
	v_cvt_f32_f16_e32 v56, v56
	v_cvt_f32_f16_e32 v57, v57
	;; [unrolled: 1-line block ×7, first 2 shown]
	v_add_f32_e32 v76, v99, v21
	v_mfma_f32_16x16x16_f16 v[56:59], v[70:71], v[122:123], v[56:59]
	v_fmac_f32_e32 v76, v94, v98
	v_cmp_lt_i32_e32 vcc, s84, v78
	v_cvt_pk_f16_f32 v61, v60, v61
	v_mfma_f32_16x16x16_f16 v[112:115], v[54:55], v[122:123], v[112:115]
	v_cvt_pk_f16_f32 v60, v62, v63
	s_nop 2
	v_cvt_pk_f16_f32 v57, v56, v57
	v_cvt_pk_f16_f32 v56, v58, v59
	v_mfma_f32_16x16x16_f16 v[94:97], v[22:23], v[122:123], v[116:119]
	v_cvt_pk_f16_f32 v59, v108, v109
	v_cvt_pk_f16_f32 v55, v112, v113
	;; [unrolled: 1-line block ×5, first 2 shown]
	s_nop 2
	v_cvt_pk_f16_f32 v53, v94, v95
	v_cvt_pk_f16_f32 v25, v96, v97
	;; [unrolled: 1-line block ×7, first 2 shown]
	s_barrier
	s_cbranch_vccz .LBB25_478
; %bb.474:                              ;   in Loop: Header=BB25_441 Depth=1
	v_mov_b32_e32 v94, v76
	v_mov_b32_e32 v76, v20
	s_ashr_i32 s7, s6, 31
	s_and_saveexec_b64 s[8:9], s[0:1]
	s_cbranch_execnz .LBB25_440
	s_branch .LBB25_441
.LBB25_475:
                                        ; implicit-def: $sgpr56_sgpr57
	s_load_dwordx2 s[54:55], s[0:1], 0x74
	v_cvt_f32_u32_e32 v1, s35
	s_branch .LBB25_2
.LBB25_476:
                                        ; implicit-def: $sgpr60_sgpr61
	s_load_dwordx2 s[44:45], s[0:1], 0x5c
	s_branch .LBB25_5
.LBB25_477:
	v_mov_b32_e32 v20, 0xfeffffff
	v_mov_b32_e32 v76, 0
	;; [unrolled: 1-line block ×18, first 2 shown]
.LBB25_478:
	s_lshl_b32 s0, s84, 6
	s_ashr_i32 s1, s0, 31
	v_cmp_gt_u32_e32 vcc, 4, v74
	s_and_saveexec_b64 s[6:7], vcc
	s_cbranch_execz .LBB25_480
; %bb.479:
	v_or_b32_e32 v16, s11, v74
	v_mul_hi_u32 v17, s44, v16
	v_add_u32_e32 v17, v16, v17
	v_lshrrev_b32_e32 v17, s45, v17
	s_lshl_b64 s[8:9], s[0:1], 1
	v_mul_lo_u32 v17, v17, s36
	s_add_u32 s4, s4, s8
	v_sub_u32_e32 v17, v16, v17
	s_addc_u32 s5, s5, s9
	v_lshlrev_b32_e32 v16, 2, v48
	v_mad_i64_i32 v[18:19], s[8:9], v17, s46, 0
	v_and_b32_e32 v16, 0x7c, v16
	v_lshl_add_u64 v[18:19], v[18:19], 1, s[4:5]
	v_mov_b32_e32 v17, 0
	v_lshl_add_u64 v[18:19], v[18:19], 0, v[16:17]
	global_load_dword v17, v[18:19], off
	v_mul_u32_u24_e32 v18, 0x90, v74
	v_add3_u32 v16, 0, v18, v16
	s_waitcnt vmcnt(0)
	ds_write_b32 v16, v17 offset:17408
.LBB25_480:
	s_or_b64 exec, exec, s[6:7]
	s_mul_hi_i32 s5, s0, s38
	s_mul_i32 s4, s0, s38
	s_lshl_b64 s[4:5], s[4:5], 2
	v_lshl_add_u32 v17, v49, 2, v27
	s_add_u32 s4, s12, s4
	v_mul_lo_u32 v18, s38, v17
	s_addc_u32 s5, s13, s5
	v_ashrrev_i32_e32 v19, 31, v18
	s_lshl_b32 s1, s38, 4
	v_lshl_add_u64 v[22:23], v[18:19], 2, s[4:5]
	v_add_u32_e32 v18, s1, v18
	v_ashrrev_i32_e32 v19, 31, v18
	v_lshl_add_u64 v[28:29], v[18:19], 2, s[4:5]
	v_add_u32_e32 v18, s1, v18
	v_mov_b32_e32 v27, 0
	v_ashrrev_i32_e32 v19, 31, v18
	v_lshl_add_u64 v[44:45], v[28:29], 0, v[26:27]
	v_lshl_add_u64 v[28:29], v[18:19], 2, s[4:5]
	v_add_u32_e32 v18, s1, v18
	v_ashrrev_i32_e32 v19, 31, v18
	v_lshl_add_u64 v[22:23], v[22:23], 0, v[26:27]
	v_lshl_add_u64 v[18:19], v[18:19], 2, s[4:5]
	;; [unrolled: 1-line block ×4, first 2 shown]
	global_load_dwordx4 v[28:31], v[22:23], off
	global_load_dwordx4 v[32:35], v[44:45], off
	;; [unrolled: 1-line block ×4, first 2 shown]
	v_and_b32_e32 v18, 16, v73
	v_add_u32_e32 v19, 0, v72
	v_mul_u32_u24_e32 v21, 0x110, v18
	v_mul_u32_u24_e32 v16, 0x110, v17
	v_add3_u32 v19, v19, v52, v21
	v_add3_u32 v16, 0, v16, v26
	v_add_u32_e32 v21, 0x2000, v19
	s_mov_b32 s1, 0x3f200000
	s_waitcnt vmcnt(3)
	ds_write_b128 v16, v[28:31]
	s_waitcnt vmcnt(2)
	ds_write_b128 v16, v[32:35] offset:4352
	s_waitcnt vmcnt(1)
	ds_write_b128 v16, v[36:39] offset:8704
	;; [unrolled: 2-line block ×3, first 2 shown]
	s_waitcnt lgkmcnt(0)
	s_barrier
	ds_read2_b64 v[26:29], v19 offset1:4
	ds_read2_b64 v[34:37], v21 offset0:64 offset1:68
	s_waitcnt lgkmcnt(1)
	v_mfma_f32_16x16x16_f16 v[30:33], v[26:27], v[12:13], 0
	s_waitcnt lgkmcnt(0)
	v_mfma_f32_16x16x16_f16 v[38:41], v[34:35], v[12:13], 0
	v_mfma_f32_16x16x16_f16 v[26:29], v[28:29], v[14:15], v[30:33]
	;; [unrolled: 1-line block ×3, first 2 shown]
	s_nop 3
	ds_read2_b64 v[30:33], v19 offset0:8 offset1:12
	ds_read2_b64 v[34:37], v21 offset0:72 offset1:76
	s_waitcnt lgkmcnt(1)
	v_mfma_f32_16x16x16_f16 v[26:29], v[30:31], v[8:9], v[26:29]
	s_waitcnt lgkmcnt(0)
	v_mfma_f32_16x16x16_f16 v[12:15], v[34:35], v[8:9], v[12:15]
	v_mfma_f32_16x16x16_f16 v[26:29], v[32:33], v[10:11], v[26:29]
	ds_read2_b64 v[30:33], v21 offset0:80 offset1:84
	v_mfma_f32_16x16x16_f16 v[8:11], v[36:37], v[10:11], v[12:15]
	s_nop 4
	ds_read2_b64 v[12:15], v19 offset0:16 offset1:20
	s_waitcnt lgkmcnt(0)
	v_mfma_f32_16x16x16_f16 v[26:29], v[12:13], v[4:5], v[26:29]
	v_mfma_f32_16x16x16_f16 v[8:11], v[30:31], v[4:5], v[8:11]
	;; [unrolled: 1-line block ×4, first 2 shown]
	s_nop 4
	ds_read2_b64 v[26:29], v21 offset0:88 offset1:92
	ds_read2_b64 v[8:11], v19 offset0:24 offset1:28
	s_waitcnt lgkmcnt(0)
	v_mfma_f32_16x16x16_f16 v[12:15], v[8:9], v[0:1], v[12:15]
	s_barrier
	v_mfma_f32_16x16x16_f16 v[30:33], v[26:27], v[0:1], v[4:7]
                                        ; implicit-def: $vgpr8
	v_mfma_f32_16x16x16_f16 v[4:7], v[10:11], v[2:3], v[12:15]
	v_mfma_f32_16x16x16_f16 v[0:3], v[28:29], v[2:3], v[30:33]
	s_nop 6
	v_cmp_nlt_f32_e64 s[4:5], |v4|, s1
	s_and_saveexec_b64 s[6:7], s[4:5]
	s_xor_b64 s[4:5], exec, s[6:7]
	s_cbranch_execz .LBB25_482
; %bb.481:
	v_add_f32_e64 v8, |v4|, |v4|
	v_mul_f32_e32 v9, 0x3fb8aa3b, v8
	s_mov_b32 s1, 0x3fb8aa3b
	v_rndne_f32_e32 v10, v9
	v_sub_f32_e32 v11, v9, v10
	v_fma_f32 v9, v8, s1, -v9
	v_fmamk_f32 v9, v8, 0x32a5705f, v9
	v_add_f32_e32 v9, v11, v9
	v_exp_f32_e32 v9, v9
	v_cvt_i32_f32_e32 v10, v10
	s_mov_b32 s1, 0xc2ce8ed0
	v_cmp_ngt_f32_e32 vcc, s1, v8
	s_mov_b32 s1, 0x42b17218
	v_ldexp_f32 v9, v9, v10
	v_cndmask_b32_e32 v9, 0, v9, vcc
	v_mov_b32_e32 v10, 0x7f800000
	v_cmp_nlt_f32_e32 vcc, s1, v8
	s_nop 1
	v_cndmask_b32_e32 v8, v10, v9, vcc
	v_add_f32_e32 v8, 1.0, v8
	v_rcp_f32_e32 v8, v8
	s_nop 0
	v_fma_f32 v8, v8, -2.0, 1.0
.LBB25_482:
	s_andn2_saveexec_b64 s[4:5], s[4:5]
; %bb.483:
	v_mul_f32_e32 v8, v4, v4
	v_mov_b32_e32 v9, 0x3ca908c9
	v_fmac_f32_e32 v9, 0xbbbac73d, v8
	v_fmaak_f32 v9, v8, v9, 0xbd5c1c4e
	v_fmaak_f32 v9, v8, v9, 0x3e088382
	;; [unrolled: 1-line block ×3, first 2 shown]
	v_mul_f32_e64 v9, |v4|, v9
	v_fma_f32 v8, v8, v9, |v4|
; %bb.484:
	s_or_b64 exec, exec, s[4:5]
	s_mov_b32 s1, 0x3f200000
	v_cmp_nlt_f32_e64 s[4:5], |v5|, s1
                                        ; implicit-def: $vgpr12
	s_and_saveexec_b64 s[6:7], s[4:5]
	s_xor_b64 s[4:5], exec, s[6:7]
	s_cbranch_execz .LBB25_486
; %bb.485:
	v_add_f32_e64 v9, |v5|, |v5|
	v_mul_f32_e32 v10, 0x3fb8aa3b, v9
	s_mov_b32 s1, 0x3fb8aa3b
	v_rndne_f32_e32 v11, v10
	v_sub_f32_e32 v12, v10, v11
	v_fma_f32 v10, v9, s1, -v10
	v_fmamk_f32 v10, v9, 0x32a5705f, v10
	v_add_f32_e32 v10, v12, v10
	v_exp_f32_e32 v10, v10
	v_cvt_i32_f32_e32 v11, v11
	s_mov_b32 s1, 0xc2ce8ed0
	v_cmp_ngt_f32_e32 vcc, s1, v9
	s_mov_b32 s1, 0x42b17218
	v_ldexp_f32 v10, v10, v11
	v_cndmask_b32_e32 v10, 0, v10, vcc
	v_mov_b32_e32 v11, 0x7f800000
	v_cmp_nlt_f32_e32 vcc, s1, v9
	s_nop 1
	v_cndmask_b32_e32 v9, v11, v10, vcc
	v_add_f32_e32 v9, 1.0, v9
	v_rcp_f32_e32 v9, v9
	s_nop 0
	v_fma_f32 v12, v9, -2.0, 1.0
.LBB25_486:
	s_andn2_saveexec_b64 s[4:5], s[4:5]
; %bb.487:
	v_mul_f32_e32 v9, v5, v5
	v_mov_b32_e32 v10, 0x3ca908c9
	v_fmac_f32_e32 v10, 0xbbbac73d, v9
	v_fmaak_f32 v10, v9, v10, 0xbd5c1c4e
	v_fmaak_f32 v10, v9, v10, 0x3e088382
	;; [unrolled: 1-line block ×3, first 2 shown]
	v_mul_f32_e64 v10, |v5|, v10
	v_fma_f32 v12, v9, v10, |v5|
; %bb.488:
	s_or_b64 exec, exec, s[4:5]
	s_mov_b32 s1, 0x3f200000
	v_cmp_nlt_f32_e64 s[4:5], |v6|, s1
                                        ; implicit-def: $vgpr13
	s_and_saveexec_b64 s[6:7], s[4:5]
	s_xor_b64 s[4:5], exec, s[6:7]
	s_cbranch_execz .LBB25_490
; %bb.489:
	v_add_f32_e64 v9, |v6|, |v6|
	v_mul_f32_e32 v10, 0x3fb8aa3b, v9
	s_mov_b32 s1, 0x3fb8aa3b
	v_rndne_f32_e32 v11, v10
	v_sub_f32_e32 v13, v10, v11
	v_fma_f32 v10, v9, s1, -v10
	v_fmamk_f32 v10, v9, 0x32a5705f, v10
	v_add_f32_e32 v10, v13, v10
	v_exp_f32_e32 v10, v10
	v_cvt_i32_f32_e32 v11, v11
	s_mov_b32 s1, 0xc2ce8ed0
	v_cmp_ngt_f32_e32 vcc, s1, v9
	s_mov_b32 s1, 0x42b17218
	v_ldexp_f32 v10, v10, v11
	v_cndmask_b32_e32 v10, 0, v10, vcc
	v_mov_b32_e32 v11, 0x7f800000
	v_cmp_nlt_f32_e32 vcc, s1, v9
	s_nop 1
	v_cndmask_b32_e32 v9, v11, v10, vcc
	v_add_f32_e32 v9, 1.0, v9
	v_rcp_f32_e32 v9, v9
	s_nop 0
	v_fma_f32 v13, v9, -2.0, 1.0
.LBB25_490:
	s_andn2_saveexec_b64 s[4:5], s[4:5]
; %bb.491:
	v_mul_f32_e32 v9, v6, v6
	v_mov_b32_e32 v10, 0x3ca908c9
	v_fmac_f32_e32 v10, 0xbbbac73d, v9
	v_fmaak_f32 v10, v9, v10, 0xbd5c1c4e
	v_fmaak_f32 v10, v9, v10, 0x3e088382
	;; [unrolled: 1-line block ×3, first 2 shown]
	v_mul_f32_e64 v10, |v6|, v10
	v_fma_f32 v13, v9, v10, |v6|
; %bb.492:
	s_or_b64 exec, exec, s[4:5]
	s_mov_b32 s1, 0x3f200000
	v_cmp_nlt_f32_e64 s[4:5], |v7|, s1
                                        ; implicit-def: $vgpr14
	s_and_saveexec_b64 s[6:7], s[4:5]
	s_xor_b64 s[4:5], exec, s[6:7]
	s_cbranch_execz .LBB25_494
; %bb.493:
	v_add_f32_e64 v9, |v7|, |v7|
	v_mul_f32_e32 v10, 0x3fb8aa3b, v9
	s_mov_b32 s1, 0x3fb8aa3b
	v_rndne_f32_e32 v11, v10
	v_sub_f32_e32 v14, v10, v11
	v_fma_f32 v10, v9, s1, -v10
	v_fmamk_f32 v10, v9, 0x32a5705f, v10
	v_add_f32_e32 v10, v14, v10
	v_exp_f32_e32 v10, v10
	v_cvt_i32_f32_e32 v11, v11
	s_mov_b32 s1, 0xc2ce8ed0
	v_cmp_ngt_f32_e32 vcc, s1, v9
	s_mov_b32 s1, 0x42b17218
	v_ldexp_f32 v10, v10, v11
	v_cndmask_b32_e32 v10, 0, v10, vcc
	v_mov_b32_e32 v11, 0x7f800000
	v_cmp_nlt_f32_e32 vcc, s1, v9
	s_nop 1
	v_cndmask_b32_e32 v9, v11, v10, vcc
	v_add_f32_e32 v9, 1.0, v9
	v_rcp_f32_e32 v9, v9
	s_nop 0
	v_fma_f32 v14, v9, -2.0, 1.0
.LBB25_494:
	s_andn2_saveexec_b64 s[4:5], s[4:5]
; %bb.495:
	v_mul_f32_e32 v9, v7, v7
	v_mov_b32_e32 v10, 0x3ca908c9
	v_fmac_f32_e32 v10, 0xbbbac73d, v9
	v_fmaak_f32 v10, v9, v10, 0xbd5c1c4e
	v_fmaak_f32 v10, v9, v10, 0x3e088382
	;; [unrolled: 1-line block ×3, first 2 shown]
	v_mul_f32_e64 v10, |v7|, v10
	v_fma_f32 v14, v9, v10, |v7|
; %bb.496:
	s_or_b64 exec, exec, s[4:5]
	s_mov_b32 s1, 0x3f200000
	v_cmp_nlt_f32_e64 s[4:5], |v0|, s1
                                        ; implicit-def: $vgpr15
	s_and_saveexec_b64 s[6:7], s[4:5]
	s_xor_b64 s[4:5], exec, s[6:7]
	s_cbranch_execz .LBB25_498
; %bb.497:
	v_add_f32_e64 v9, |v0|, |v0|
	v_mul_f32_e32 v10, 0x3fb8aa3b, v9
	s_mov_b32 s1, 0x3fb8aa3b
	v_rndne_f32_e32 v11, v10
	v_sub_f32_e32 v15, v10, v11
	v_fma_f32 v10, v9, s1, -v10
	v_fmamk_f32 v10, v9, 0x32a5705f, v10
	v_add_f32_e32 v10, v15, v10
	v_exp_f32_e32 v10, v10
	v_cvt_i32_f32_e32 v11, v11
	s_mov_b32 s1, 0xc2ce8ed0
	v_cmp_ngt_f32_e32 vcc, s1, v9
	s_mov_b32 s1, 0x42b17218
	v_ldexp_f32 v10, v10, v11
	v_cndmask_b32_e32 v10, 0, v10, vcc
	v_mov_b32_e32 v11, 0x7f800000
	v_cmp_nlt_f32_e32 vcc, s1, v9
	s_nop 1
	v_cndmask_b32_e32 v9, v11, v10, vcc
	v_add_f32_e32 v9, 1.0, v9
	v_rcp_f32_e32 v9, v9
	s_nop 0
	v_fma_f32 v15, v9, -2.0, 1.0
.LBB25_498:
	s_andn2_saveexec_b64 s[4:5], s[4:5]
; %bb.499:
	v_mul_f32_e32 v9, v0, v0
	v_mov_b32_e32 v10, 0x3ca908c9
	v_fmac_f32_e32 v10, 0xbbbac73d, v9
	v_fmaak_f32 v10, v9, v10, 0xbd5c1c4e
	v_fmaak_f32 v10, v9, v10, 0x3e088382
	;; [unrolled: 1-line block ×3, first 2 shown]
	v_mul_f32_e64 v10, |v0|, v10
	v_fma_f32 v15, v9, v10, |v0|
; %bb.500:
	s_or_b64 exec, exec, s[4:5]
	s_mov_b32 s1, 0x3f200000
	v_cmp_nlt_f32_e64 s[4:5], |v1|, s1
                                        ; implicit-def: $vgpr19
	s_and_saveexec_b64 s[6:7], s[4:5]
	s_xor_b64 s[4:5], exec, s[6:7]
	s_cbranch_execz .LBB25_502
; %bb.501:
	v_add_f32_e64 v9, |v1|, |v1|
	v_mul_f32_e32 v10, 0x3fb8aa3b, v9
	s_mov_b32 s1, 0x3fb8aa3b
	v_rndne_f32_e32 v11, v10
	v_sub_f32_e32 v19, v10, v11
	v_fma_f32 v10, v9, s1, -v10
	v_fmamk_f32 v10, v9, 0x32a5705f, v10
	v_add_f32_e32 v10, v19, v10
	v_exp_f32_e32 v10, v10
	v_cvt_i32_f32_e32 v11, v11
	s_mov_b32 s1, 0xc2ce8ed0
	v_cmp_ngt_f32_e32 vcc, s1, v9
	s_mov_b32 s1, 0x42b17218
	v_ldexp_f32 v10, v10, v11
	v_cndmask_b32_e32 v10, 0, v10, vcc
	v_mov_b32_e32 v11, 0x7f800000
	v_cmp_nlt_f32_e32 vcc, s1, v9
	s_nop 1
	v_cndmask_b32_e32 v9, v11, v10, vcc
	v_add_f32_e32 v9, 1.0, v9
	v_rcp_f32_e32 v9, v9
	s_nop 0
	v_fma_f32 v19, v9, -2.0, 1.0
.LBB25_502:
	s_andn2_saveexec_b64 s[4:5], s[4:5]
; %bb.503:
	v_mul_f32_e32 v9, v1, v1
	v_mov_b32_e32 v10, 0x3ca908c9
	v_fmac_f32_e32 v10, 0xbbbac73d, v9
	v_fmaak_f32 v10, v9, v10, 0xbd5c1c4e
	v_fmaak_f32 v10, v9, v10, 0x3e088382
	;; [unrolled: 1-line block ×3, first 2 shown]
	v_mul_f32_e64 v10, |v1|, v10
	v_fma_f32 v19, v9, v10, |v1|
; %bb.504:
	s_or_b64 exec, exec, s[4:5]
	s_mov_b32 s1, 0x3f200000
	v_cmp_nlt_f32_e64 s[4:5], |v2|, s1
                                        ; implicit-def: $vgpr21
	s_and_saveexec_b64 s[6:7], s[4:5]
	s_xor_b64 s[4:5], exec, s[6:7]
	s_cbranch_execz .LBB25_506
; %bb.505:
	v_add_f32_e64 v9, |v2|, |v2|
	v_mul_f32_e32 v10, 0x3fb8aa3b, v9
	s_mov_b32 s1, 0x3fb8aa3b
	v_rndne_f32_e32 v11, v10
	v_sub_f32_e32 v21, v10, v11
	v_fma_f32 v10, v9, s1, -v10
	v_fmamk_f32 v10, v9, 0x32a5705f, v10
	v_add_f32_e32 v10, v21, v10
	v_exp_f32_e32 v10, v10
	v_cvt_i32_f32_e32 v11, v11
	s_mov_b32 s1, 0xc2ce8ed0
	v_cmp_ngt_f32_e32 vcc, s1, v9
	s_mov_b32 s1, 0x42b17218
	v_ldexp_f32 v10, v10, v11
	v_cndmask_b32_e32 v10, 0, v10, vcc
	v_mov_b32_e32 v11, 0x7f800000
	v_cmp_nlt_f32_e32 vcc, s1, v9
	s_nop 1
	v_cndmask_b32_e32 v9, v11, v10, vcc
	v_add_f32_e32 v9, 1.0, v9
	v_rcp_f32_e32 v9, v9
	s_nop 0
	v_fma_f32 v21, v9, -2.0, 1.0
.LBB25_506:
	s_andn2_saveexec_b64 s[4:5], s[4:5]
; %bb.507:
	v_mul_f32_e32 v9, v2, v2
	v_mov_b32_e32 v10, 0x3ca908c9
	v_fmac_f32_e32 v10, 0xbbbac73d, v9
	v_fmaak_f32 v10, v9, v10, 0xbd5c1c4e
	v_fmaak_f32 v10, v9, v10, 0x3e088382
	;; [unrolled: 1-line block ×3, first 2 shown]
	v_mul_f32_e64 v10, |v2|, v10
	v_fma_f32 v21, v9, v10, |v2|
; %bb.508:
	s_or_b64 exec, exec, s[4:5]
	s_mov_b32 s1, 0x3f200000
	v_cmp_nlt_f32_e64 s[4:5], |v3|, s1
                                        ; implicit-def: $vgpr22
	s_and_saveexec_b64 s[6:7], s[4:5]
	s_xor_b64 s[4:5], exec, s[6:7]
	s_cbranch_execz .LBB25_510
; %bb.509:
	v_add_f32_e64 v9, |v3|, |v3|
	v_mul_f32_e32 v10, 0x3fb8aa3b, v9
	s_mov_b32 s1, 0x3fb8aa3b
	v_rndne_f32_e32 v11, v10
	v_sub_f32_e32 v22, v10, v11
	v_fma_f32 v10, v9, s1, -v10
	v_fmamk_f32 v10, v9, 0x32a5705f, v10
	v_add_f32_e32 v10, v22, v10
	v_exp_f32_e32 v10, v10
	v_cvt_i32_f32_e32 v11, v11
	s_mov_b32 s1, 0xc2ce8ed0
	v_cmp_ngt_f32_e32 vcc, s1, v9
	s_mov_b32 s1, 0x42b17218
	v_ldexp_f32 v10, v10, v11
	v_cndmask_b32_e32 v10, 0, v10, vcc
	v_mov_b32_e32 v11, 0x7f800000
	v_cmp_nlt_f32_e32 vcc, s1, v9
	s_nop 1
	v_cndmask_b32_e32 v9, v11, v10, vcc
	v_add_f32_e32 v9, 1.0, v9
	v_rcp_f32_e32 v9, v9
	s_nop 0
	v_fma_f32 v22, v9, -2.0, 1.0
.LBB25_510:
	s_or_saveexec_b64 s[4:5], s[4:5]
	v_add_u32_e32 v9, 0x1100, v16
	v_add_u32_e32 v10, 0x2200, v16
	;; [unrolled: 1-line block ×3, first 2 shown]
	s_xor_b64 exec, exec, s[4:5]
; %bb.511:
	v_mul_f32_e32 v22, v3, v3
	v_mov_b32_e32 v23, 0x3ca908c9
	v_fmac_f32_e32 v23, 0xbbbac73d, v22
	v_fmaak_f32 v23, v22, v23, 0xbd5c1c4e
	v_fmaak_f32 v23, v22, v23, 0x3e088382
	;; [unrolled: 1-line block ×3, first 2 shown]
	v_mul_f32_e64 v23, |v3|, v23
	v_fma_f32 v22, v22, v23, |v3|
; %bb.512:
	s_or_b64 exec, exec, s[4:5]
	s_brev_b32 s1, -2
	v_bfi_b32 v15, s1, v15, v0
	v_bfi_b32 v19, s1, v19, v1
	;; [unrolled: 1-line block ×8, first 2 shown]
	v_and_b32_e32 v23, 0xfc, v67
	v_lshrrev_b32_e32 v0, 3, v69
	s_movk_i32 s1, 0x90
	v_mad_u32_u24 v2, v0, s1, 0
	v_add_u16_e32 v0, v23, v18
	v_lshrrev_b16_e32 v0, 1, v0
	v_lshlrev_b32_e32 v0, 2, v0
	s_movk_i32 s1, 0x4400
	v_add_u32_e32 v3, v23, v18
	v_add3_u32 v0, v2, v0, s1
	v_lshl_add_u32 v2, v3, 1, v2
	ds_read2_b32 v[0:1], v0 offset1:1
	v_add_u32_e32 v2, 0x4400, v2
	ds_read2_b32 v[2:3], v2 offset0:16 offset1:17
	s_mov_b32 s4, 0x3fb8aa3b
	s_mov_b32 s1, 0xc2ce8ed0
	s_waitcnt lgkmcnt(1)
	v_fma_mix_f32 v4, s3, v4, v0 op_sel_hi:[0,0,1]
	v_fma_mix_f32 v0, s3, v5, v0 op_sel:[0,0,1] op_sel_hi:[0,0,1]
	v_fma_mix_f32 v5, s3, v6, v1 op_sel_hi:[0,0,1]
	v_fma_mix_f32 v1, s3, v7, v1 op_sel:[0,0,1] op_sel_hi:[0,0,1]
	s_waitcnt lgkmcnt(0)
	v_fma_mix_f32 v6, s3, v15, v2 op_sel_hi:[0,0,1]
	v_fma_mix_f32 v27, s3, v19, v2 op_sel:[0,0,1] op_sel_hi:[0,0,1]
	v_fma_mix_f32 v29, s3, v21, v3 op_sel_hi:[0,0,1]
	v_fma_mix_f32 v8, s3, v8, v3 op_sel:[0,0,1] op_sel_hi:[0,0,1]
	v_add_f32_e32 v2, 0x40051340, v4
	v_add_f32_e32 v3, 0x40051340, v0
	v_max3_f32 v2, v20, v2, v3
	v_add_f32_e32 v3, 0x40051340, v5
	v_add_f32_e32 v7, 0x40051340, v1
	v_max3_f32 v2, v2, v3, v7
	;; [unrolled: 3-line block ×4, first 2 shown]
	v_mbcnt_hi_u32_b32 v3, -1, v77
	v_and_b32_e32 v7, 64, v3
	v_add_u32_e32 v7, 64, v7
	v_xor_b32_e32 v12, 32, v3
	v_cmp_lt_i32_e32 vcc, v12, v7
	s_mov_b32 s3, 0x42b17218
	v_mov_b32_e32 v42, 0x7f800000
	v_cndmask_b32_e32 v12, v3, v12, vcc
	v_lshlrev_b32_e32 v28, 2, v12
	ds_bpermute_b32 v12, v28, v2
	s_mul_hi_i32 s7, s0, s34
	s_mul_i32 s6, s0, s34
	s_lshl_b64 s[6:7], s[6:7], 2
	s_add_u32 s6, s2, s6
	s_waitcnt lgkmcnt(0)
	v_max_f32_e32 v12, v12, v12
	v_max_f32_e32 v2, v2, v12
	v_xor_b32_e32 v12, 16, v3
	v_cmp_lt_i32_e32 vcc, v12, v7
	s_addc_u32 s7, s10, s7
	s_lshl_b32 s0, s34, 4
	v_cndmask_b32_e32 v3, v3, v12, vcc
	v_lshlrev_b32_e32 v33, 2, v3
	ds_bpermute_b32 v3, v33, v2
	s_movk_i32 s2, 0x110
	s_waitcnt lgkmcnt(0)
	v_max_f32_e32 v3, v3, v3
	v_max_f32_e32 v32, v2, v3
	v_sub_f32_e32 v2, v4, v32
	v_mul_f32_e32 v3, 0x3fb8aa3b, v2
	v_fma_f32 v4, v2, s4, -v3
	v_rndne_f32_e32 v7, v3
	v_fmac_f32_e32 v4, 0x32a5705f, v2
	v_sub_f32_e32 v3, v3, v7
	v_add_f32_e32 v3, v3, v4
	v_exp_f32_e32 v3, v3
	v_cvt_i32_f32_e32 v4, v7
	v_sub_f32_e32 v0, v0, v32
	v_cmp_ngt_f32_e32 vcc, s1, v2
	v_sub_f32_e32 v43, v1, v32
	v_ldexp_f32 v3, v3, v4
	v_mul_f32_e32 v4, 0x3fb8aa3b, v0
	v_fma_f32 v7, v0, s4, -v4
	v_rndne_f32_e32 v12, v4
	v_fmac_f32_e32 v7, 0x32a5705f, v0
	v_sub_f32_e32 v4, v4, v12
	v_add_f32_e32 v4, v4, v7
	v_exp_f32_e32 v4, v4
	v_cvt_i32_f32_e32 v7, v12
	v_cndmask_b32_e32 v3, 0, v3, vcc
	v_cmp_nlt_f32_e32 vcc, s3, v2
	v_mul_f32_e32 v1, 0x3fb8aa3b, v43
	v_ldexp_f32 v2, v4, v7
	v_cndmask_b32_e32 v21, v42, v3, vcc
	v_sub_f32_e32 v3, v5, v32
	v_mul_f32_e32 v4, 0x3fb8aa3b, v3
	v_fma_f32 v5, v3, s4, -v4
	v_rndne_f32_e32 v7, v4
	v_fmac_f32_e32 v5, 0x32a5705f, v3
	v_sub_f32_e32 v4, v4, v7
	v_add_f32_e32 v4, v4, v5
	v_exp_f32_e32 v4, v4
	v_cvt_i32_f32_e32 v5, v7
	v_cmp_ngt_f32_e32 vcc, s1, v0
	v_sub_f32_e32 v45, v6, v32
	v_sub_f32_e32 v8, v8, v32
	v_cndmask_b32_e32 v2, 0, v2, vcc
	v_cmp_nlt_f32_e32 vcc, s3, v0
	v_ldexp_f32 v0, v4, v5
	v_rndne_f32_e32 v4, v1
	v_cndmask_b32_e32 v22, v42, v2, vcc
	v_fma_f32 v2, v43, s4, -v1
	v_fmac_f32_e32 v2, 0x32a5705f, v43
	v_sub_f32_e32 v1, v1, v4
	v_add_f32_e32 v1, v1, v2
	v_exp_f32_e32 v1, v1
	v_cvt_i32_f32_e32 v2, v4
	v_cmp_ngt_f32_e32 vcc, s1, v3
	v_lshlrev_b32_e32 v4, 2, v24
	v_mov_b32_e32 v5, 0
	v_cndmask_b32_e32 v0, 0, v0, vcc
	v_cmp_nlt_f32_e32 vcc, s3, v3
	v_ldexp_f32 v44, v1, v2
	v_sub_f32_e32 v20, v20, v32
	v_cndmask_b32_e32 v26, v42, v0, vcc
	v_mul_f32_e32 v0, 0x3fb8aa3b, v45
	v_fma_f32 v1, v45, s4, -v0
	v_rndne_f32_e32 v46, v0
	v_fmac_f32_e32 v1, 0x32a5705f, v45
	v_sub_f32_e32 v0, v0, v46
	v_add_f32_e32 v0, v0, v1
	v_exp_f32_e32 v47, v0
	v_mul_lo_u32 v0, s34, v17
	v_ashrrev_i32_e32 v1, 31, v0
	v_lshl_add_u64 v[2:3], v[0:1], 2, s[6:7]
	v_add_u32_e32 v0, s0, v0
	v_ashrrev_i32_e32 v1, 31, v0
	v_lshl_add_u64 v[18:19], v[2:3], 0, v[4:5]
	v_lshl_add_u64 v[2:3], v[0:1], 2, s[6:7]
	v_add_u32_e32 v0, s0, v0
	v_ashrrev_i32_e32 v1, 31, v0
	v_lshl_add_u64 v[30:31], v[2:3], 0, v[4:5]
	;; [unrolled: 4-line block ×3, first 2 shown]
	v_lshl_add_u64 v[34:35], v[2:3], 0, v[4:5]
	v_lshl_add_u64 v[40:41], v[0:1], 0, v[4:5]
	global_load_dwordx4 v[0:3], v[18:19], off
	global_load_dwordx4 v[4:7], v[30:31], off
	;; [unrolled: 1-line block ×4, first 2 shown]
	v_cmp_ngt_f32_e32 vcc, s1, v43
	v_cvt_i32_f32_e32 v17, v46
	s_mov_b32 s0, 0xc1a00000
	v_cndmask_b32_e32 v18, 0, v44, vcc
	v_cmp_nlt_f32_e32 vcc, s3, v43
	v_ldexp_f32 v17, v47, v17
	v_cvt_pk_f16_f32 v40, v21, v22
	v_cndmask_b32_e32 v24, v42, v18, vcc
	v_sub_f32_e32 v18, v27, v32
	v_mul_f32_e32 v19, 0x3fb8aa3b, v18
	v_fma_f32 v27, v18, s4, -v19
	v_rndne_f32_e32 v30, v19
	v_fmac_f32_e32 v27, 0x32a5705f, v18
	v_sub_f32_e32 v19, v19, v30
	v_add_f32_e32 v19, v19, v27
	v_exp_f32_e32 v19, v19
	v_cvt_i32_f32_e32 v30, v30
	v_cmp_ngt_f32_e32 vcc, s1, v45
	s_waitcnt vmcnt(3)
	ds_write_b128 v16, v[0:3]
	s_waitcnt vmcnt(2)
	ds_write_b128 v9, v[4:7]
	;; [unrolled: 2-line block ×4, first 2 shown]
	v_cndmask_b32_e32 v17, 0, v17, vcc
	v_cmp_nlt_f32_e32 vcc, s3, v45
	s_waitcnt lgkmcnt(0)
	s_barrier
	v_cndmask_b32_e32 v27, v42, v17, vcc
	v_ldexp_f32 v17, v19, v30
	v_sub_f32_e32 v19, v29, v32
	v_mul_f32_e32 v29, 0x3fb8aa3b, v19
	v_fma_f32 v30, v19, s4, -v29
	v_rndne_f32_e32 v31, v29
	v_fmac_f32_e32 v30, 0x32a5705f, v19
	v_sub_f32_e32 v29, v29, v31
	v_add_f32_e32 v29, v29, v30
	v_exp_f32_e32 v30, v29
	v_cvt_i32_f32_e32 v31, v31
	v_cmp_ngt_f32_e32 vcc, s1, v18
	v_cvt_pk_f16_f32 v41, v26, v24
	s_nop 0
	v_cndmask_b32_e32 v17, 0, v17, vcc
	v_cmp_nlt_f32_e32 vcc, s3, v18
	v_mul_f32_e32 v18, 0x3fb8aa3b, v8
	s_nop 0
	v_cndmask_b32_e32 v29, v42, v17, vcc
	v_ldexp_f32 v17, v30, v31
	v_fma_f32 v30, v8, s4, -v18
	v_rndne_f32_e32 v31, v18
	v_fmac_f32_e32 v30, 0x32a5705f, v8
	v_sub_f32_e32 v18, v18, v31
	v_add_f32_e32 v18, v18, v30
	v_mul_f32_e32 v30, 0x3fb8aa3b, v20
	v_fma_f32 v34, v20, s4, -v30
	v_rndne_f32_e32 v35, v30
	v_fmac_f32_e32 v34, 0x32a5705f, v20
	v_sub_f32_e32 v30, v30, v35
	v_add_f32_e32 v30, v30, v34
	v_exp_f32_e32 v18, v18
	v_cvt_i32_f32_e32 v31, v31
	v_exp_f32_e32 v34, v30
	v_cvt_i32_f32_e32 v35, v35
	v_cmp_ngt_f32_e32 vcc, s1, v19
	s_nop 1
	v_cndmask_b32_e32 v17, 0, v17, vcc
	v_cmp_nlt_f32_e32 vcc, s3, v19
	v_or_b32_e32 v19, 3, v67
	v_mul_u32_u24_e32 v19, 0x110, v19
	v_cndmask_b32_e32 v30, v42, v17, vcc
	v_ldexp_f32 v17, v18, v31
	v_ldexp_f32 v18, v34, v35
	v_cmp_ngt_f32_e32 vcc, s1, v20
	s_nop 1
	v_cndmask_b32_e32 v18, 0, v18, vcc
	v_cmp_nlt_f32_e32 vcc, s3, v20
	s_nop 1
	v_cndmask_b32_e32 v18, v42, v18, vcc
	v_cmp_le_f32_e32 vcc, s0, v20
	s_movk_i32 s0, 0x220
	v_mad_u32_u24 v0, v66, s0, 0
	v_cndmask_b32_e32 v31, 0, v18, vcc
	v_cvt_f16_f32_e32 v18, v31
	v_cmp_ngt_f32_e32 vcc, s1, v8
	v_add3_u32 v7, v0, v19, v65
	s_mov_b32 s0, 0x5040100
	v_mul_u32_u24_e32 v35, 0x10001, v18
	v_mul_u32_u24_e32 v18, 0x110, v23
	v_cndmask_b32_e32 v17, 0, v17, vcc
	v_cmp_nlt_f32_e32 vcc, s3, v8
	v_pk_mul_f16 v8, v71, v35
	v_add3_u32 v6, v0, v18, v65
	v_cvt_f32_f16_e32 v0, v8
	v_cvt_f32_f16_sdwa v1, v8 dst_sel:DWORD dst_unused:UNUSED_PAD src0_sel:WORD_1
	ds_read_u16 v3, v6 offset:544
	ds_read_u16 v8, v6 offset:576
	;; [unrolled: 1-line block ×8, first 2 shown]
	ds_read_u16 v4, v7
	ds_read_u16 v9, v7 offset:32
	ds_read_u16 v12, v7 offset:64
	;; [unrolled: 1-line block ×7, first 2 shown]
	v_cndmask_b32_e32 v34, v42, v17, vcc
	v_pk_mul_f16 v17, v70, v35
	s_waitcnt lgkmcnt(7)
	v_perm_b32 v5, v4, v3, s0
	ds_read_u16 v3, v6
	ds_read_u16 v10, v6 offset:32
	ds_read_u16 v14, v6 offset:64
	;; [unrolled: 1-line block ×15, first 2 shown]
	s_waitcnt lgkmcnt(7)
	v_perm_b32 v4, v4, v3, s0
	v_cvt_f32_f16_e32 v2, v17
	v_cvt_f32_f16_sdwa v3, v17 dst_sel:DWORD dst_unused:UNUSED_PAD src0_sel:WORD_1
	v_pk_mul_f16 v17, v68, v35
	v_cvt_pk_f16_f32 v43, v30, v34
	v_mfma_f32_16x16x16_f16 v[0:3], v[4:5], v[40:41], v[0:3]
	ds_read_u16 v4, v6 offset:9248
	ds_read_u16 v68, v6 offset:9280
	;; [unrolled: 1-line block ×16, first 2 shown]
	s_waitcnt lgkmcnt(7)
	v_perm_b32 v5, v5, v4, s0
	ds_read_u16 v4, v6 offset:8704
	ds_read_u16 v89, v6 offset:8736
	;; [unrolled: 1-line block ×16, first 2 shown]
	v_cvt_f16_f32_e32 v0, v0
	v_cvt_f16_f32_e32 v1, v1
	;; [unrolled: 1-line block ×4, first 2 shown]
	s_waitcnt lgkmcnt(7)
	v_perm_b32 v4, v7, v4, s0
	v_cvt_f32_f16_e32 v0, v0
	v_cvt_f32_f16_e32 v1, v1
	;; [unrolled: 1-line block ×4, first 2 shown]
	v_pk_mul_f16 v7, v64, v35
	v_cvt_pk_f16_f32 v42, v27, v29
	v_perm_b32 v9, v9, v8, s0
	v_perm_b32 v8, v13, v10, s0
	v_mfma_f32_16x16x16_f16 v[0:3], v[4:5], v[42:43], v[0:3]
	v_cvt_f32_f16_e32 v4, v17
	v_cvt_f32_f16_sdwa v5, v17 dst_sel:DWORD dst_unused:UNUSED_PAD src0_sel:WORD_1
	v_cvt_f32_f16_e32 v6, v7
	v_cvt_f32_f16_sdwa v7, v7 dst_sel:DWORD dst_unused:UNUSED_PAD src0_sel:WORD_1
	v_pk_mul_f16 v10, v63, v35
	v_pk_mul_f16 v17, v62, v35
	v_mfma_f32_16x16x16_f16 v[4:7], v[8:9], v[40:41], v[4:7]
	v_perm_b32 v9, v82, v68, s0
	s_waitcnt lgkmcnt(6)
	v_perm_b32 v8, v96, v89, s0
	v_perm_b32 v13, v12, v11, s0
	;; [unrolled: 1-line block ×3, first 2 shown]
	s_nop 2
	v_cvt_f16_f32_e32 v4, v4
	v_cvt_f16_f32_e32 v5, v5
	;; [unrolled: 1-line block ×4, first 2 shown]
	v_cvt_f32_f16_e32 v4, v4
	v_cvt_f32_f16_e32 v5, v5
	;; [unrolled: 1-line block ×4, first 2 shown]
	v_cvt_f32_f16_sdwa v11, v17 dst_sel:DWORD dst_unused:UNUSED_PAD src0_sel:WORD_1
	v_pk_mul_f16 v14, v61, v35
	v_mfma_f32_16x16x16_f16 v[4:7], v[8:9], v[42:43], v[4:7]
	v_cvt_f32_f16_e32 v8, v10
	v_cvt_f32_f16_sdwa v9, v10 dst_sel:DWORD dst_unused:UNUSED_PAD src0_sel:WORD_1
	v_cvt_f32_f16_e32 v10, v17
	v_pk_mul_f16 v37, v60, v35
	v_perm_b32 v17, v16, v15, s0
	v_mfma_f32_16x16x16_f16 v[8:11], v[12:13], v[40:41], v[8:11]
	v_perm_b32 v13, v83, v74, s0
	s_waitcnt lgkmcnt(5)
	v_perm_b32 v12, v97, v90, s0
	v_perm_b32 v16, v38, v18, s0
	v_cvt_f32_f16_sdwa v15, v37 dst_sel:DWORD dst_unused:UNUSED_PAD src0_sel:WORD_1
	s_nop 2
	v_cvt_f16_f32_e32 v8, v8
	v_cvt_f16_f32_e32 v9, v9
	;; [unrolled: 1-line block ×4, first 2 shown]
	v_cvt_f32_f16_e32 v8, v8
	v_cvt_f32_f16_e32 v9, v9
	;; [unrolled: 1-line block ×4, first 2 shown]
	v_pk_mul_f16 v18, v59, v35
	v_pk_mul_f16 v38, v58, v35
	v_mfma_f32_16x16x16_f16 v[8:11], v[12:13], v[42:43], v[8:11]
	v_cvt_f32_f16_e32 v12, v14
	v_cvt_f32_f16_sdwa v13, v14 dst_sel:DWORD dst_unused:UNUSED_PAD src0_sel:WORD_1
	v_cvt_f32_f16_e32 v14, v37
	v_perm_b32 v37, v23, v19, s0
	v_perm_b32 v36, v45, v36, s0
	v_mfma_f32_16x16x16_f16 v[12:15], v[16:17], v[40:41], v[12:15]
	v_perm_b32 v17, v84, v77, s0
	s_waitcnt lgkmcnt(4)
	v_perm_b32 v16, v98, v91, s0
	v_cvt_f32_f16_sdwa v19, v38 dst_sel:DWORD dst_unused:UNUSED_PAD src0_sel:WORD_1
	v_pk_mul_f16 v23, v57, v35
	s_nop 2
	v_cvt_f16_f32_e32 v12, v12
	v_cvt_f16_f32_e32 v13, v13
	;; [unrolled: 1-line block ×4, first 2 shown]
	v_cvt_f32_f16_e32 v12, v12
	v_cvt_f32_f16_e32 v13, v13
	;; [unrolled: 1-line block ×4, first 2 shown]
	v_pk_mul_f16 v56, v56, v35
	v_perm_b32 v45, v39, v20, s0
	v_mfma_f32_16x16x16_f16 v[12:15], v[16:17], v[42:43], v[12:15]
	v_cvt_f32_f16_e32 v16, v18
	v_cvt_f32_f16_sdwa v17, v18 dst_sel:DWORD dst_unused:UNUSED_PAD src0_sel:WORD_1
	v_cvt_f32_f16_e32 v18, v38
	v_perm_b32 v44, v70, v44, s0
	v_cvt_f32_f16_e32 v38, v56
	v_mfma_f32_16x16x16_f16 v[16:19], v[36:37], v[40:41], v[16:19]
	v_perm_b32 v37, v85, v78, s0
	s_waitcnt lgkmcnt(3)
	v_perm_b32 v36, v99, v92, s0
	v_cvt_f32_f16_sdwa v39, v56 dst_sel:DWORD dst_unused:UNUSED_PAD src0_sel:WORD_1
	v_add_f32_e32 v56, v21, v22
	s_nop 2
	v_cvt_f16_f32_e32 v16, v16
	v_cvt_f16_f32_e32 v17, v17
	;; [unrolled: 1-line block ×4, first 2 shown]
	v_cvt_f32_f16_e32 v16, v16
	v_cvt_f32_f16_e32 v17, v17
	;; [unrolled: 1-line block ×4, first 2 shown]
	v_pk_mul_f16 v55, v55, v35
	v_pk_mul_f16 v54, v54, v35
	v_mfma_f32_16x16x16_f16 v[16:19], v[36:37], v[42:43], v[16:19]
	v_cvt_f32_f16_e32 v36, v23
	v_cvt_f32_f16_sdwa v37, v23 dst_sel:DWORD dst_unused:UNUSED_PAD src0_sel:WORD_1
	v_add_f32_e32 v26, v26, v56
	v_add_f32_e32 v24, v24, v26
	v_mfma_f32_16x16x16_f16 v[36:39], v[44:45], v[40:41], v[36:39]
	v_perm_b32 v45, v86, v79, s0
	s_waitcnt lgkmcnt(2)
	v_perm_b32 v44, v100, v93, s0
	v_add_f32_e32 v24, v27, v24
	v_add_f32_e32 v29, v29, v24
	s_nop 2
	v_cvt_f16_f32_e32 v20, v36
	v_cvt_f16_f32_e32 v23, v37
	;; [unrolled: 1-line block ×4, first 2 shown]
	v_cvt_f32_f16_e32 v36, v20
	v_cvt_f32_f16_e32 v37, v23
	;; [unrolled: 1-line block ×4, first 2 shown]
	v_add_f32_e32 v29, v30, v29
	s_waitcnt lgkmcnt(0)
	v_mfma_f32_16x16x16_f16 v[20:23], v[44:45], v[42:43], v[36:39]
	v_perm_b32 v45, v65, v46, s0
	v_perm_b32 v44, v71, v67, s0
	s_nop 0
	v_cvt_f32_f16_e32 v36, v55
	v_cvt_f32_f16_sdwa v37, v55 dst_sel:DWORD dst_unused:UNUSED_PAD src0_sel:WORD_1
	v_cvt_f32_f16_e32 v38, v54
	v_cvt_f32_f16_sdwa v39, v54 dst_sel:DWORD dst_unused:UNUSED_PAD src0_sel:WORD_1
	v_add_f32_e32 v46, v34, v29
	v_fmac_f32_e32 v46, v76, v31
	v_mfma_f32_16x16x16_f16 v[36:39], v[44:45], v[40:41], v[36:39]
	v_pk_mul_f16 v44, v53, v35
	v_pk_mul_f16 v35, v25, v35
	v_perm_b32 v45, v66, v47, s0
	s_barrier
	s_nop 3
	v_cvt_f16_f32_e32 v26, v36
	v_cvt_f16_f32_e32 v27, v37
	;; [unrolled: 1-line block ×4, first 2 shown]
	v_cvt_f32_f16_e32 v36, v26
	v_cvt_f32_f16_e32 v37, v27
	v_perm_b32 v27, v87, v80, s0
	v_perm_b32 v26, v101, v94, s0
	v_cvt_f32_f16_e32 v38, v38
	v_cvt_f32_f16_e32 v39, v39
	s_nop 1
	v_mfma_f32_16x16x16_f16 v[24:27], v[26:27], v[42:43], v[36:39]
	s_nop 2
	v_cvt_f32_f16_e32 v36, v44
	v_cvt_f32_f16_sdwa v37, v44 dst_sel:DWORD dst_unused:UNUSED_PAD src0_sel:WORD_1
	v_perm_b32 v44, v72, v69, s0
	v_cvt_f32_f16_e32 v38, v35
	v_cvt_f32_f16_sdwa v39, v35 dst_sel:DWORD dst_unused:UNUSED_PAD src0_sel:WORD_1
	s_nop 1
	v_mfma_f32_16x16x16_f16 v[34:37], v[44:45], v[40:41], v[36:39]
	s_nop 2
	ds_bpermute_b32 v38, v28, v46
	s_nop 3
	v_cvt_f16_f32_e32 v30, v35
	v_cvt_f16_f32_e32 v31, v36
	v_cvt_f16_f32_e32 v29, v34
	v_cvt_f16_f32_e32 v37, v37
	v_cvt_f32_f16_e32 v35, v30
	v_cvt_f32_f16_e32 v36, v31
	v_perm_b32 v31, v88, v81, s0
	v_perm_b32 v30, v102, v95, s0
	v_cvt_f32_f16_e32 v34, v29
	v_cvt_f32_f16_e32 v37, v37
	v_cmp_gt_u32_e64 s[0:1], 16, v48
	s_nop 0
	v_mfma_f32_16x16x16_f16 v[28:31], v[30:31], v[42:43], v[34:37]
	s_waitcnt lgkmcnt(0)
	s_nop 1
	v_add_f32_e32 v34, v46, v38
	ds_bpermute_b32 v35, v33, v34
	s_and_saveexec_b64 s[4:5], s[0:1]
	s_cbranch_execz .LBB25_514
; %bb.513:
	s_waitcnt lgkmcnt(0)
	v_add_f32_e32 v34, v34, v35
	v_or_b32_e32 v35, v73, v48
	v_mad_u32_u24 v35, v35, s2, 0
	ds_write2_b32 v35, v32, v34 offset0:64 offset1:65
.LBB25_514:
	s_or_b64 exec, exec, s[4:5]
	v_and_b32_e32 v32, 1, v49
	v_cmp_eq_u32_e32 vcc, 0, v32
	v_cmp_eq_u32_e64 s[4:5], 1, v32
	s_waitcnt lgkmcnt(0)
	s_barrier
	s_and_saveexec_b64 s[2:3], s[4:5]
	s_xor_b64 s[4:5], exec, s[2:3]
	s_cbranch_execz .LBB25_516
; %bb.515:
	s_barrier
                                        ; implicit-def: $vgpr75
                                        ; implicit-def: $vgpr33
.LBB25_516:
	s_andn2_saveexec_b64 s[6:7], s[4:5]
	s_cbranch_execz .LBB25_522
; %bb.517:
	v_and_or_b32 v36, v48, 31, v73
	s_movk_i32 s2, 0x110
	v_mad_u32_u24 v32, v36, s2, 0
	ds_read_b64 v[38:39], v32 offset:256
	s_mov_b32 s2, 0x3fb8aa3b
	s_mov_b32 s3, 0x42b17218
	s_waitcnt lgkmcnt(0)
	s_barrier
	ds_bpermute_b32 v32, v33, v38
	v_max_f32_e32 v34, v38, v38
	s_waitcnt lgkmcnt(0)
	v_max_f32_e32 v32, v32, v32
	v_max_f32_e32 v32, v34, v32
	v_sub_f32_e32 v34, v38, v32
	v_mul_f32_e32 v35, 0x3fb8aa3b, v34
	v_fma_f32 v37, v34, s2, -v35
	v_rndne_f32_e32 v38, v35
	v_fmamk_f32 v37, v34, 0x32a5705f, v37
	v_sub_f32_e32 v35, v35, v38
	v_add_f32_e32 v35, v35, v37
	v_cvt_i32_f32_e32 v38, v38
	v_exp_f32_e32 v35, v35
	s_mov_b32 s2, 0xc2ce8ed0
	v_cmp_ngt_f32_e64 s[4:5], s2, v34
	v_mov_b32_e32 v37, 0x7f800000
	v_ldexp_f32 v35, v35, v38
	v_cndmask_b32_e64 v35, 0, v35, s[4:5]
	v_cmp_nlt_f32_e64 s[4:5], s3, v34
	s_nop 1
	v_cndmask_b32_e64 v34, v37, v35, s[4:5]
	v_mul_f32_e32 v35, v39, v34
	ds_bpermute_b32 v35, v33, v35
	v_cmp_gt_u32_e64 s[4:5], 32, v48
	s_waitcnt lgkmcnt(0)
	v_fmac_f32_e32 v35, v39, v34
	s_and_saveexec_b64 s[8:9], s[4:5]
; %bb.518:
	v_mul_u32_u24_e32 v33, 0x110, v36
	v_add_u32_e32 v33, 0, v33
	ds_write_b64 v33, v[34:35] offset:256
; %bb.519:
	s_or_b64 exec, exec, s[8:9]
	s_and_saveexec_b64 s[4:5], s[0:1]
	s_cbranch_execz .LBB25_521
; %bb.520:
	s_add_i32 s0, s35, s33
	s_lshl_b32 s0, s0, 5
	s_mov_b32 s1, 0
	s_lshl_b64 s[0:1], s[0:1], 3
	s_add_u32 s0, s30, s0
	v_or_b32_e32 v33, v75, v48
	s_addc_u32 s1, s31, s1
	v_lshlrev_b32_e32 v34, 3, v33
	v_mov_b32_e32 v33, v35
	global_store_dwordx2 v34, v[32:33], s[0:1]
.LBB25_521:
	s_or_b64 exec, exec, s[4:5]
.LBB25_522:
	s_or_b64 exec, exec, s[6:7]
	v_cvt_pk_f16_f32 v2, v2, v3
	v_cvt_pk_f16_f32 v3, v4, v5
	;; [unrolled: 1-line block ×4, first 2 shown]
	v_or_b32_e32 v16, v73, v51
	v_mul_u32_u24_e32 v16, 0x110, v16
	v_cvt_pk_f16_f32 v0, v0, v1
	s_mov_b32 s3, 0
	s_movk_i32 s4, 0x110
	v_add3_u32 v16, 0, v52, v16
	v_cvt_pk_f16_f32 v1, v6, v7
	v_cvt_pk_f16_f32 v4, v10, v11
	;; [unrolled: 1-line block ×11, first 2 shown]
	ds_write2_b32 v16, v0, v2 offset1:1
	ds_write2_b32 v16, v3, v1 offset0:8 offset1:9
	ds_write2_b32 v16, v5, v4 offset0:16 offset1:17
	ds_write2_b32 v16, v7, v6 offset0:24 offset1:25
	ds_write2_b32 v16, v9, v8 offset0:32 offset1:33
	ds_write2_b32 v16, v11, v10 offset0:40 offset1:41
	ds_write2_b32 v16, v13, v12 offset0:48 offset1:49
	ds_write2_b32 v16, v15, v14 offset0:56 offset1:57
	s_waitcnt lgkmcnt(0)
	s_barrier
	s_and_saveexec_b64 s[0:1], vcc
	s_cbranch_execz .LBB25_524
; %bb.523:
	s_lshl_b32 s2, s33, 11
	s_lshl_b64 s[6:7], s[2:3], 3
	s_add_u32 s5, s30, s6
	s_addc_u32 s6, s31, s7
	s_lshl_b32 s2, s35, 6
	s_lshl_b64 s[2:3], s[2:3], 3
	s_add_u32 s2, s5, s2
	v_bfe_u32 v7, v49, 1, 4
	s_movk_i32 s5, 0x3e0
	v_and_or_b32 v2, v49, s5, v7
	v_mad_u32_u24 v0, v2, s4, v50
	ds_read2st64_b32 v[0:1], v0 offset1:17
	v_mad_u32_u24 v2, v2, s4, 0
	ds_read2st64_b32 v[2:3], v2 offset0:1 offset1:18
	v_lshrrev_b32_e32 v6, 1, v49
	s_movk_i32 s5, 0x7e0
	s_waitcnt lgkmcnt(1)
	v_cvt_f32_f16_e32 v4, v0
	v_cvt_f32_f16_sdwa v5, v0 dst_sel:DWORD dst_unused:UNUSED_PAD src0_sel:WORD_1
	v_cvt_f32_f16_e32 v0, v1
	v_cvt_f32_f16_sdwa v1, v1 dst_sel:DWORD dst_unused:UNUSED_PAD src0_sel:WORD_1
	v_lshlrev_b32_e32 v8, 5, v49
	s_waitcnt lgkmcnt(0)
	v_pk_fma_f32 v[4:5], v[2:3], v[4:5], 0 op_sel_hi:[0,1,0]
	v_mov_b32_e32 v2, v3
	v_pk_fma_f32 v[0:1], v[2:3], v[0:1], v[4:5] op_sel_hi:[0,1,1]
	v_add_u32_e32 v4, 2, v6
	v_lshlrev_b32_e32 v2, 1, v4
	v_and_b32_e32 v3, 15, v4
	v_and_or_b32 v5, v2, s5, v3
	v_mad_u32_u24 v2, v5, s4, v50
	ds_read2st64_b32 v[2:3], v2 offset1:17
	s_addc_u32 s3, s6, s3
	v_add_lshl_u32 v8, v8, v48, 3
	global_store_dwordx2 v8, v[0:1], s[2:3]
	v_mad_u32_u24 v0, v5, s4, 0
	ds_read2st64_b32 v[0:1], v0 offset0:1 offset1:18
	v_lshlrev_b32_e32 v8, 6, v4
	s_waitcnt lgkmcnt(1)
	v_cvt_f32_f16_e32 v4, v2
	v_cvt_f32_f16_sdwa v5, v2 dst_sel:DWORD dst_unused:UNUSED_PAD src0_sel:WORD_1
	v_cvt_f32_f16_e32 v2, v3
	v_cvt_f32_f16_sdwa v3, v3 dst_sel:DWORD dst_unused:UNUSED_PAD src0_sel:WORD_1
	v_add_lshl_u32 v8, v8, v48, 3
	s_waitcnt lgkmcnt(0)
	v_pk_fma_f32 v[4:5], v[0:1], v[4:5], 0 op_sel_hi:[0,1,0]
	v_mov_b32_e32 v0, v1
	v_pk_fma_f32 v[0:1], v[0:1], v[2:3], v[4:5] op_sel_hi:[0,1,1]
	v_add_u32_e32 v4, 4, v6
	v_lshlrev_b32_e32 v2, 1, v4
	v_and_b32_e32 v3, 15, v4
	v_and_or_b32 v5, v2, s5, v3
	v_mad_u32_u24 v2, v5, s4, v50
	ds_read2st64_b32 v[2:3], v2 offset1:17
	global_store_dwordx2 v8, v[0:1], s[2:3]
	v_mad_u32_u24 v0, v5, s4, 0
	ds_read2st64_b32 v[0:1], v0 offset0:1 offset1:18
	v_lshlrev_b32_e32 v8, 6, v4
	s_waitcnt lgkmcnt(1)
	v_cvt_f32_f16_e32 v4, v2
	v_cvt_f32_f16_sdwa v5, v2 dst_sel:DWORD dst_unused:UNUSED_PAD src0_sel:WORD_1
	v_cvt_f32_f16_e32 v2, v3
	v_cvt_f32_f16_sdwa v3, v3 dst_sel:DWORD dst_unused:UNUSED_PAD src0_sel:WORD_1
	v_add_lshl_u32 v8, v8, v48, 3
	s_waitcnt lgkmcnt(0)
	v_pk_fma_f32 v[4:5], v[0:1], v[4:5], 0 op_sel_hi:[0,1,0]
	v_mov_b32_e32 v0, v1
	v_pk_fma_f32 v[0:1], v[0:1], v[2:3], v[4:5] op_sel_hi:[0,1,1]
	v_add_u32_e32 v4, 6, v6
	v_lshlrev_b32_e32 v2, 1, v4
	v_and_b32_e32 v3, 15, v4
	v_and_or_b32 v5, v2, s5, v3
	v_mad_u32_u24 v2, v5, s4, v50
	ds_read2st64_b32 v[2:3], v2 offset1:17
	;; [unrolled: 20-line block ×6, first 2 shown]
	global_store_dwordx2 v8, v[0:1], s[2:3]
	v_mad_u32_u24 v0, v5, s4, 0
	ds_read2st64_b32 v[0:1], v0 offset0:1 offset1:18
	v_lshlrev_b32_e32 v8, 6, v4
	s_waitcnt lgkmcnt(1)
	v_cvt_f32_f16_e32 v4, v2
	v_cvt_f32_f16_sdwa v5, v2 dst_sel:DWORD dst_unused:UNUSED_PAD src0_sel:WORD_1
	v_cvt_f32_f16_e32 v2, v3
	v_cvt_f32_f16_sdwa v3, v3 dst_sel:DWORD dst_unused:UNUSED_PAD src0_sel:WORD_1
	v_add_lshl_u32 v8, v8, v48, 3
	s_waitcnt lgkmcnt(0)
	v_pk_fma_f32 v[4:5], v[0:1], v[4:5], 0 op_sel_hi:[0,1,0]
	v_mov_b32_e32 v0, v1
	v_pk_fma_f32 v[0:1], v[0:1], v[2:3], v[4:5] op_sel_hi:[0,1,1]
	v_add_u32_e32 v4, 16, v6
	v_lshlrev_b32_e32 v2, 1, v4
	v_and_or_b32 v5, v2, s5, v7
	v_mad_u32_u24 v2, v5, s4, v50
	ds_read2st64_b32 v[2:3], v2 offset1:17
	global_store_dwordx2 v8, v[0:1], s[2:3]
	v_mad_u32_u24 v0, v5, s4, 0
	ds_read2st64_b32 v[0:1], v0 offset0:1 offset1:18
	v_lshlrev_b32_e32 v7, 6, v4
	s_waitcnt lgkmcnt(1)
	v_cvt_f32_f16_e32 v4, v2
	v_cvt_f32_f16_sdwa v5, v2 dst_sel:DWORD dst_unused:UNUSED_PAD src0_sel:WORD_1
	v_cvt_f32_f16_e32 v2, v3
	v_cvt_f32_f16_sdwa v3, v3 dst_sel:DWORD dst_unused:UNUSED_PAD src0_sel:WORD_1
	v_add_lshl_u32 v7, v7, v48, 3
	s_waitcnt lgkmcnt(0)
	v_pk_fma_f32 v[4:5], v[0:1], v[4:5], 0 op_sel_hi:[0,1,0]
	v_mov_b32_e32 v0, v1
	v_pk_fma_f32 v[0:1], v[0:1], v[2:3], v[4:5] op_sel_hi:[0,1,1]
	v_add_u32_e32 v4, 18, v6
	v_lshlrev_b32_e32 v2, 1, v4
	v_and_b32_e32 v3, 15, v4
	v_and_or_b32 v5, v2, s5, v3
	v_mad_u32_u24 v2, v5, s4, v50
	ds_read2st64_b32 v[2:3], v2 offset1:17
	global_store_dwordx2 v7, v[0:1], s[2:3]
	v_mad_u32_u24 v0, v5, s4, 0
	ds_read2st64_b32 v[0:1], v0 offset0:1 offset1:18
	v_lshlrev_b32_e32 v7, 6, v4
	s_waitcnt lgkmcnt(1)
	v_cvt_f32_f16_e32 v4, v2
	v_cvt_f32_f16_sdwa v5, v2 dst_sel:DWORD dst_unused:UNUSED_PAD src0_sel:WORD_1
	v_cvt_f32_f16_e32 v2, v3
	v_cvt_f32_f16_sdwa v3, v3 dst_sel:DWORD dst_unused:UNUSED_PAD src0_sel:WORD_1
	v_add_lshl_u32 v7, v7, v48, 3
	s_waitcnt lgkmcnt(0)
	v_pk_fma_f32 v[4:5], v[0:1], v[4:5], 0 op_sel_hi:[0,1,0]
	v_mov_b32_e32 v0, v1
	v_pk_fma_f32 v[0:1], v[0:1], v[2:3], v[4:5] op_sel_hi:[0,1,1]
	v_add_u32_e32 v4, 20, v6
	v_lshlrev_b32_e32 v2, 1, v4
	v_and_b32_e32 v3, 15, v4
	;; [unrolled: 20-line block ×7, first 2 shown]
	v_and_or_b32 v5, v2, s5, v3
	v_mad_u32_u24 v2, v5, s4, v50
	ds_read2st64_b32 v[2:3], v2 offset1:17
	global_store_dwordx2 v7, v[0:1], s[2:3]
	v_mad_u32_u24 v0, v5, s4, 0
	ds_read2st64_b32 v[0:1], v0 offset0:1 offset1:18
	v_lshlrev_b32_e32 v6, 6, v4
	s_waitcnt lgkmcnt(1)
	v_cvt_f32_f16_e32 v4, v2
	v_cvt_f32_f16_sdwa v5, v2 dst_sel:DWORD dst_unused:UNUSED_PAD src0_sel:WORD_1
	v_cvt_f32_f16_e32 v2, v3
	v_cvt_f32_f16_sdwa v3, v3 dst_sel:DWORD dst_unused:UNUSED_PAD src0_sel:WORD_1
	v_add_lshl_u32 v6, v6, v48, 3
	s_waitcnt lgkmcnt(0)
	v_pk_fma_f32 v[4:5], v[0:1], v[4:5], 0 op_sel_hi:[0,1,0]
	v_mov_b32_e32 v0, v1
	v_pk_fma_f32 v[0:1], v[0:1], v[2:3], v[4:5] op_sel_hi:[0,1,1]
	global_store_dwordx2 v6, v[0:1], s[2:3]
.LBB25_524:
	s_or_b64 exec, exec, s[0:1]
	s_barrier
	s_endpgm
	.section	.rodata,"a",@progbits
	.p2align	6, 0x0
	.amdhsa_kernel _ZL18flash_attn_ext_f16ILi128ELi128ELi4ELi8ELb1ELb0EEvPKcS1_S1_S1_S1_PKiPfP15HIP_vector_typeIfLj2EEffffjfiS5_IjLj3EEiiiiiiiiiiiliiliiiiil
		.amdhsa_group_segment_fixed_size 0
		.amdhsa_private_segment_fixed_size 0
		.amdhsa_kernarg_size 464
		.amdhsa_user_sgpr_count 2
		.amdhsa_user_sgpr_dispatch_ptr 0
		.amdhsa_user_sgpr_queue_ptr 0
		.amdhsa_user_sgpr_kernarg_segment_ptr 1
		.amdhsa_user_sgpr_dispatch_id 0
		.amdhsa_user_sgpr_kernarg_preload_length 0
		.amdhsa_user_sgpr_kernarg_preload_offset 0
		.amdhsa_user_sgpr_private_segment_size 0
		.amdhsa_uses_dynamic_stack 0
		.amdhsa_enable_private_segment 0
		.amdhsa_system_sgpr_workgroup_id_x 1
		.amdhsa_system_sgpr_workgroup_id_y 0
		.amdhsa_system_sgpr_workgroup_id_z 0
		.amdhsa_system_sgpr_workgroup_info 0
		.amdhsa_system_vgpr_workitem_id 1
		.amdhsa_next_free_vgpr 225
		.amdhsa_next_free_sgpr 100
		.amdhsa_accum_offset 228
		.amdhsa_reserve_vcc 1
		.amdhsa_float_round_mode_32 0
		.amdhsa_float_round_mode_16_64 0
		.amdhsa_float_denorm_mode_32 3
		.amdhsa_float_denorm_mode_16_64 3
		.amdhsa_dx10_clamp 1
		.amdhsa_ieee_mode 1
		.amdhsa_fp16_overflow 0
		.amdhsa_tg_split 0
		.amdhsa_exception_fp_ieee_invalid_op 0
		.amdhsa_exception_fp_denorm_src 0
		.amdhsa_exception_fp_ieee_div_zero 0
		.amdhsa_exception_fp_ieee_overflow 0
		.amdhsa_exception_fp_ieee_underflow 0
		.amdhsa_exception_fp_ieee_inexact 0
		.amdhsa_exception_int_div_zero 0
	.end_amdhsa_kernel
	.section	.text._ZL18flash_attn_ext_f16ILi128ELi128ELi4ELi8ELb1ELb0EEvPKcS1_S1_S1_S1_PKiPfP15HIP_vector_typeIfLj2EEffffjfiS5_IjLj3EEiiiiiiiiiiiliiliiiiil,"axG",@progbits,_ZL18flash_attn_ext_f16ILi128ELi128ELi4ELi8ELb1ELb0EEvPKcS1_S1_S1_S1_PKiPfP15HIP_vector_typeIfLj2EEffffjfiS5_IjLj3EEiiiiiiiiiiiliiliiiiil,comdat
.Lfunc_end25:
	.size	_ZL18flash_attn_ext_f16ILi128ELi128ELi4ELi8ELb1ELb0EEvPKcS1_S1_S1_S1_PKiPfP15HIP_vector_typeIfLj2EEffffjfiS5_IjLj3EEiiiiiiiiiiiliiliiiiil, .Lfunc_end25-_ZL18flash_attn_ext_f16ILi128ELi128ELi4ELi8ELb1ELb0EEvPKcS1_S1_S1_S1_PKiPfP15HIP_vector_typeIfLj2EEffffjfiS5_IjLj3EEiiiiiiiiiiiliiliiiiil
                                        ; -- End function
	.set _ZL18flash_attn_ext_f16ILi128ELi128ELi4ELi8ELb1ELb0EEvPKcS1_S1_S1_S1_PKiPfP15HIP_vector_typeIfLj2EEffffjfiS5_IjLj3EEiiiiiiiiiiiliiliiiiil.num_vgpr, 225
	.set _ZL18flash_attn_ext_f16ILi128ELi128ELi4ELi8ELb1ELb0EEvPKcS1_S1_S1_S1_PKiPfP15HIP_vector_typeIfLj2EEffffjfiS5_IjLj3EEiiiiiiiiiiiliiliiiiil.num_agpr, 0
	.set _ZL18flash_attn_ext_f16ILi128ELi128ELi4ELi8ELb1ELb0EEvPKcS1_S1_S1_S1_PKiPfP15HIP_vector_typeIfLj2EEffffjfiS5_IjLj3EEiiiiiiiiiiiliiliiiiil.numbered_sgpr, 100
	.set _ZL18flash_attn_ext_f16ILi128ELi128ELi4ELi8ELb1ELb0EEvPKcS1_S1_S1_S1_PKiPfP15HIP_vector_typeIfLj2EEffffjfiS5_IjLj3EEiiiiiiiiiiiliiliiiiil.num_named_barrier, 0
	.set _ZL18flash_attn_ext_f16ILi128ELi128ELi4ELi8ELb1ELb0EEvPKcS1_S1_S1_S1_PKiPfP15HIP_vector_typeIfLj2EEffffjfiS5_IjLj3EEiiiiiiiiiiiliiliiiiil.private_seg_size, 0
	.set _ZL18flash_attn_ext_f16ILi128ELi128ELi4ELi8ELb1ELb0EEvPKcS1_S1_S1_S1_PKiPfP15HIP_vector_typeIfLj2EEffffjfiS5_IjLj3EEiiiiiiiiiiiliiliiiiil.uses_vcc, 1
	.set _ZL18flash_attn_ext_f16ILi128ELi128ELi4ELi8ELb1ELb0EEvPKcS1_S1_S1_S1_PKiPfP15HIP_vector_typeIfLj2EEffffjfiS5_IjLj3EEiiiiiiiiiiiliiliiiiil.uses_flat_scratch, 0
	.set _ZL18flash_attn_ext_f16ILi128ELi128ELi4ELi8ELb1ELb0EEvPKcS1_S1_S1_S1_PKiPfP15HIP_vector_typeIfLj2EEffffjfiS5_IjLj3EEiiiiiiiiiiiliiliiiiil.has_dyn_sized_stack, 0
	.set _ZL18flash_attn_ext_f16ILi128ELi128ELi4ELi8ELb1ELb0EEvPKcS1_S1_S1_S1_PKiPfP15HIP_vector_typeIfLj2EEffffjfiS5_IjLj3EEiiiiiiiiiiiliiliiiiil.has_recursion, 0
	.set _ZL18flash_attn_ext_f16ILi128ELi128ELi4ELi8ELb1ELb0EEvPKcS1_S1_S1_S1_PKiPfP15HIP_vector_typeIfLj2EEffffjfiS5_IjLj3EEiiiiiiiiiiiliiliiiiil.has_indirect_call, 0
	.section	.AMDGPU.csdata,"",@progbits
; Kernel info:
; codeLenInByte = 54040
; TotalNumSgprs: 106
; NumVgprs: 225
; NumAgprs: 0
; TotalNumVgprs: 225
; ScratchSize: 0
; MemoryBound: 0
; FloatMode: 240
; IeeeMode: 1
; LDSByteSize: 0 bytes/workgroup (compile time only)
; SGPRBlocks: 13
; VGPRBlocks: 28
; NumSGPRsForWavesPerEU: 106
; NumVGPRsForWavesPerEU: 225
; AccumOffset: 228
; Occupancy: 2
; WaveLimiterHint : 0
; COMPUTE_PGM_RSRC2:SCRATCH_EN: 0
; COMPUTE_PGM_RSRC2:USER_SGPR: 2
; COMPUTE_PGM_RSRC2:TRAP_HANDLER: 0
; COMPUTE_PGM_RSRC2:TGID_X_EN: 1
; COMPUTE_PGM_RSRC2:TGID_Y_EN: 0
; COMPUTE_PGM_RSRC2:TGID_Z_EN: 0
; COMPUTE_PGM_RSRC2:TIDIG_COMP_CNT: 1
; COMPUTE_PGM_RSRC3_GFX90A:ACCUM_OFFSET: 56
; COMPUTE_PGM_RSRC3_GFX90A:TG_SPLIT: 0
	.section	.text._ZL33flash_attn_stream_k_fixup_uniformILi128ELi4ELi8EEvPfPK15HIP_vector_typeIfLj2EEiiiiiiS1_IjLj3EES5_S5_,"axG",@progbits,_ZL33flash_attn_stream_k_fixup_uniformILi128ELi4ELi8EEvPfPK15HIP_vector_typeIfLj2EEiiiiiiS1_IjLj3EES5_S5_,comdat
	.globl	_ZL33flash_attn_stream_k_fixup_uniformILi128ELi4ELi8EEvPfPK15HIP_vector_typeIfLj2EEiiiiiiS1_IjLj3EES5_S5_ ; -- Begin function _ZL33flash_attn_stream_k_fixup_uniformILi128ELi4ELi8EEvPfPK15HIP_vector_typeIfLj2EEiiiiiiS1_IjLj3EES5_S5_
	.p2align	8
	.type	_ZL33flash_attn_stream_k_fixup_uniformILi128ELi4ELi8EEvPfPK15HIP_vector_typeIfLj2EEiiiiiiS1_IjLj3EES5_S5_,@function
_ZL33flash_attn_stream_k_fixup_uniformILi128ELi4ELi8EEvPfPK15HIP_vector_typeIfLj2EEiiiiiiS1_IjLj3EES5_S5_: ; @_ZL33flash_attn_stream_k_fixup_uniformILi128ELi4ELi8EEvPfPK15HIP_vector_typeIfLj2EEiiiiiiS1_IjLj3EES5_S5_
; %bb.0:
	s_load_dwordx8 s[8:15], s[0:1], 0x1c
	s_load_dwordx2 s[6:7], s[0:1], 0x10
	s_load_dwordx4 s[20:23], s[0:1], 0x3c
	s_waitcnt lgkmcnt(0)
	s_mul_hi_u32 s5, s11, s2
	s_add_i32 s5, s2, s5
	s_lshr_b32 s5, s5, s12
	s_mul_i32 s11, s5, s13
	s_sub_i32 s11, s2, s11
	s_mul_hi_u32 s12, s11, s14
	s_add_i32 s12, s11, s12
	s_lshr_b32 s16, s12, s15
	s_mul_i32 s12, s16, s20
	s_sub_i32 s11, s11, s12
	;; [unrolled: 5-line block ×3, first 2 shown]
	s_lshl_b32 s11, s12, 3
	s_lshl_b32 s12, s17, 2
	s_add_i32 s12, s12, s3
	s_cmp_lt_i32 s12, s6
	s_cselect_b64 s[12:13], -1, 0
	s_add_i32 s14, s11, s4
	s_cmp_lt_i32 s14, s9
	s_cselect_b64 s[14:15], -1, 0
	s_and_b64 s[12:13], s[12:13], s[14:15]
	s_andn2_b64 vcc, exec, s[12:13]
	s_cbranch_vccnz .LBB26_6
; %bb.1:
	s_load_dwordx4 s[12:15], s[0:1], 0x0
	s_mul_i32 s0, s5, s6
	s_add_i32 s0, s0, s3
	s_mul_i32 s0, s0, s7
	s_mul_i32 s16, s16, s9
	s_add_i32 s0, s0, s4
	s_add_i32 s0, s0, s16
	s_mul_i32 s1, s7, s17
	s_add_i32 s0, s0, s11
	s_lshl_b32 s1, s1, 9
	s_lshl_b32 s0, s0, 7
	s_add_i32 s1, s1, s0
	v_or_b32_e32 v4, s1, v0
	s_waitcnt lgkmcnt(0)
	v_mov_b32_e32 v2, s12
	v_mov_b32_e32 v3, s13
	v_ashrrev_i32_e32 v5, 31, v4
	v_lshl_add_u64 v[2:3], v[4:5], 2, v[2:3]
	global_load_dword v5, v[2:3], off
	s_mul_i32 s5, s10, s2
	s_lshl_b32 s11, s3, 3
	s_add_i32 s9, s5, s10
	s_add_i32 s0, s11, s4
	s_lshl_b32 s1, s9, 5
	s_add_i32 s0, s0, s1
	s_sub_i32 s0, s0, 32
	s_ashr_i32 s1, s0, 31
	s_lshl_b64 s[0:1], s[0:1], 3
	s_add_u32 s0, s14, s0
	s_addc_u32 s1, s15, s1
	s_load_dword s12, s[0:1], 0x4
	s_add_i32 s6, s9, -2
	s_cmp_lt_i32 s6, s5
	s_cbranch_scc1 .LBB26_4
; %bb.2:
	s_lshl_b32 s6, s8, 7
	s_ashr_i32 s7, s6, 31
	s_lshl_b64 s[6:7], s[6:7], 2
	s_add_u32 s6, s14, s6
	s_addc_u32 s7, s15, s7
	s_add_i32 s2, s2, 1
	s_load_dword s0, s[0:1], 0x0
	s_mul_i32 s1, s10, s2
	s_lshl_b32 s3, s3, 10
	s_lshl_b32 s10, s4, 7
	;; [unrolled: 1-line block ×3, first 2 shown]
	s_add_i32 s3, s10, s3
	s_lshl_b32 s1, s1, 5
	s_add_i32 s3, s3, s2
	s_add_i32 s1, s4, s1
	s_lshl_b32 s2, s8, 5
	s_add_i32 s1, s1, s2
	v_or_b32_e32 v0, s3, v0
	s_add_i32 s1, s1, s11
	s_add_i32 s9, s9, -1
	v_add_u32_e32 v0, 0xffffe000, v0
	s_sub_i32 s2, s1, 64
	s_waitcnt lgkmcnt(0)
	v_mov_b32_e32 v7, s0
	v_mov_b32_e32 v4, s12
	s_mov_b32 s4, 0x3fb8aa3b
	s_mov_b32 s8, 0xc2ce8ed0
	;; [unrolled: 1-line block ×3, first 2 shown]
	v_mov_b32_e32 v6, 0x7f800000
	s_mov_b32 s11, 0xc1a00000
.LBB26_3:                               ; =>This Inner Loop Header: Depth=1
	v_ashrrev_i32_e32 v1, 31, v0
	v_lshl_add_u64 v[8:9], v[0:1], 2, s[6:7]
	global_load_dword v9, v[8:9], off
	s_ashr_i32 s3, s2, 31
	s_lshl_b64 s[0:1], s[2:3], 3
	s_add_u32 s0, s14, s0
	s_addc_u32 s1, s15, s1
	s_load_dwordx2 s[0:1], s[0:1], 0x0
	v_max_f32_e32 v1, v7, v7
	s_add_i32 s9, s9, -1
	s_sub_i32 s2, s2, 32
	v_add_u32_e32 v0, 0xfffff000, v0
	s_waitcnt lgkmcnt(0)
	v_max_f32_e64 v10, s0, s0
	v_max_f32_e32 v1, v1, v10
	v_sub_f32_e32 v11, s0, v1
	v_sub_f32_e32 v10, v7, v1
	v_mul_f32_e32 v12, 0x3fb8aa3b, v11
	v_mov_b32_e32 v7, v1
	v_mul_f32_e32 v1, 0x3fb8aa3b, v10
	v_fma_f32 v15, v11, s4, -v12
	v_rndne_f32_e32 v16, v12
	v_fma_f32 v13, v10, s4, -v1
	v_rndne_f32_e32 v14, v1
	v_fmac_f32_e32 v15, 0x32a5705f, v11
	v_sub_f32_e32 v12, v12, v16
	v_fmac_f32_e32 v13, 0x32a5705f, v10
	v_sub_f32_e32 v1, v1, v14
	v_add_f32_e32 v12, v12, v15
	v_cvt_i32_f32_e32 v16, v16
	v_add_f32_e32 v1, v1, v13
	v_exp_f32_e32 v12, v12
	v_cvt_i32_f32_e32 v14, v14
	v_exp_f32_e32 v1, v1
	v_cmp_ngt_f32_e32 vcc, s8, v11
	v_ldexp_f32 v12, v12, v16
	v_mov_b32_e32 v8, s1
	v_ldexp_f32 v1, v1, v14
	v_cmp_ngt_f32_e64 s[0:1], s8, v10
	v_cndmask_b32_e32 v12, 0, v12, vcc
	v_cmp_nlt_f32_e32 vcc, s10, v11
	v_cndmask_b32_e64 v1, 0, v1, s[0:1]
	v_cmp_nlt_f32_e64 s[0:1], s10, v10
	v_cndmask_b32_e32 v12, v6, v12, vcc
	v_cmp_le_f32_e32 vcc, s11, v11
	v_cndmask_b32_e64 v1, v6, v1, s[0:1]
	v_cmp_le_f32_e64 s[0:1], s11, v10
	v_cndmask_b32_e32 v12, 0, v12, vcc
	s_cmp_le_i32 s9, s5
	v_cndmask_b32_e64 v10, 0, v1, s[0:1]
	s_waitcnt vmcnt(0)
	v_pk_mul_f32 v[8:9], v[8:9], v[12:13] op_sel_hi:[1,0]
	s_nop 0
	v_pk_fma_f32 v[4:5], v[4:5], v[10:11], v[8:9] op_sel_hi:[1,0,1]
	s_cbranch_scc0 .LBB26_3
	s_branch .LBB26_5
.LBB26_4:
	s_waitcnt lgkmcnt(0)
	v_mov_b32_e32 v4, s12
.LBB26_5:
	s_waitcnt vmcnt(0)
	v_div_scale_f32 v0, s[0:1], v4, v4, v5
	v_rcp_f32_e32 v1, v0
	v_div_scale_f32 v6, vcc, v5, v4, v5
	v_fma_f32 v7, -v0, v1, 1.0
	v_fmac_f32_e32 v1, v7, v1
	v_mul_f32_e32 v7, v6, v1
	v_fma_f32 v8, -v0, v7, v6
	v_fmac_f32_e32 v7, v8, v1
	v_fma_f32 v0, -v0, v7, v6
	v_div_fmas_f32 v0, v0, v1, v7
	v_div_fixup_f32 v0, v0, v4, v5
	global_store_dword v[2:3], v0, off
.LBB26_6:
	s_endpgm
	.section	.rodata,"a",@progbits
	.p2align	6, 0x0
	.amdhsa_kernel _ZL33flash_attn_stream_k_fixup_uniformILi128ELi4ELi8EEvPfPK15HIP_vector_typeIfLj2EEiiiiiiS1_IjLj3EES5_S5_
		.amdhsa_group_segment_fixed_size 0
		.amdhsa_private_segment_fixed_size 0
		.amdhsa_kernarg_size 76
		.amdhsa_user_sgpr_count 2
		.amdhsa_user_sgpr_dispatch_ptr 0
		.amdhsa_user_sgpr_queue_ptr 0
		.amdhsa_user_sgpr_kernarg_segment_ptr 1
		.amdhsa_user_sgpr_dispatch_id 0
		.amdhsa_user_sgpr_kernarg_preload_length 0
		.amdhsa_user_sgpr_kernarg_preload_offset 0
		.amdhsa_user_sgpr_private_segment_size 0
		.amdhsa_uses_dynamic_stack 0
		.amdhsa_enable_private_segment 0
		.amdhsa_system_sgpr_workgroup_id_x 1
		.amdhsa_system_sgpr_workgroup_id_y 1
		.amdhsa_system_sgpr_workgroup_id_z 1
		.amdhsa_system_sgpr_workgroup_info 0
		.amdhsa_system_vgpr_workitem_id 0
		.amdhsa_next_free_vgpr 17
		.amdhsa_next_free_sgpr 24
		.amdhsa_accum_offset 20
		.amdhsa_reserve_vcc 1
		.amdhsa_float_round_mode_32 0
		.amdhsa_float_round_mode_16_64 0
		.amdhsa_float_denorm_mode_32 3
		.amdhsa_float_denorm_mode_16_64 3
		.amdhsa_dx10_clamp 1
		.amdhsa_ieee_mode 1
		.amdhsa_fp16_overflow 0
		.amdhsa_tg_split 0
		.amdhsa_exception_fp_ieee_invalid_op 0
		.amdhsa_exception_fp_denorm_src 0
		.amdhsa_exception_fp_ieee_div_zero 0
		.amdhsa_exception_fp_ieee_overflow 0
		.amdhsa_exception_fp_ieee_underflow 0
		.amdhsa_exception_fp_ieee_inexact 0
		.amdhsa_exception_int_div_zero 0
	.end_amdhsa_kernel
	.section	.text._ZL33flash_attn_stream_k_fixup_uniformILi128ELi4ELi8EEvPfPK15HIP_vector_typeIfLj2EEiiiiiiS1_IjLj3EES5_S5_,"axG",@progbits,_ZL33flash_attn_stream_k_fixup_uniformILi128ELi4ELi8EEvPfPK15HIP_vector_typeIfLj2EEiiiiiiS1_IjLj3EES5_S5_,comdat
.Lfunc_end26:
	.size	_ZL33flash_attn_stream_k_fixup_uniformILi128ELi4ELi8EEvPfPK15HIP_vector_typeIfLj2EEiiiiiiS1_IjLj3EES5_S5_, .Lfunc_end26-_ZL33flash_attn_stream_k_fixup_uniformILi128ELi4ELi8EEvPfPK15HIP_vector_typeIfLj2EEiiiiiiS1_IjLj3EES5_S5_
                                        ; -- End function
	.set _ZL33flash_attn_stream_k_fixup_uniformILi128ELi4ELi8EEvPfPK15HIP_vector_typeIfLj2EEiiiiiiS1_IjLj3EES5_S5_.num_vgpr, 17
	.set _ZL33flash_attn_stream_k_fixup_uniformILi128ELi4ELi8EEvPfPK15HIP_vector_typeIfLj2EEiiiiiiS1_IjLj3EES5_S5_.num_agpr, 0
	.set _ZL33flash_attn_stream_k_fixup_uniformILi128ELi4ELi8EEvPfPK15HIP_vector_typeIfLj2EEiiiiiiS1_IjLj3EES5_S5_.numbered_sgpr, 24
	.set _ZL33flash_attn_stream_k_fixup_uniformILi128ELi4ELi8EEvPfPK15HIP_vector_typeIfLj2EEiiiiiiS1_IjLj3EES5_S5_.num_named_barrier, 0
	.set _ZL33flash_attn_stream_k_fixup_uniformILi128ELi4ELi8EEvPfPK15HIP_vector_typeIfLj2EEiiiiiiS1_IjLj3EES5_S5_.private_seg_size, 0
	.set _ZL33flash_attn_stream_k_fixup_uniformILi128ELi4ELi8EEvPfPK15HIP_vector_typeIfLj2EEiiiiiiS1_IjLj3EES5_S5_.uses_vcc, 1
	.set _ZL33flash_attn_stream_k_fixup_uniformILi128ELi4ELi8EEvPfPK15HIP_vector_typeIfLj2EEiiiiiiS1_IjLj3EES5_S5_.uses_flat_scratch, 0
	.set _ZL33flash_attn_stream_k_fixup_uniformILi128ELi4ELi8EEvPfPK15HIP_vector_typeIfLj2EEiiiiiiS1_IjLj3EES5_S5_.has_dyn_sized_stack, 0
	.set _ZL33flash_attn_stream_k_fixup_uniformILi128ELi4ELi8EEvPfPK15HIP_vector_typeIfLj2EEiiiiiiS1_IjLj3EES5_S5_.has_recursion, 0
	.set _ZL33flash_attn_stream_k_fixup_uniformILi128ELi4ELi8EEvPfPK15HIP_vector_typeIfLj2EEiiiiiiS1_IjLj3EES5_S5_.has_indirect_call, 0
	.section	.AMDGPU.csdata,"",@progbits
; Kernel info:
; codeLenInByte = 836
; TotalNumSgprs: 30
; NumVgprs: 17
; NumAgprs: 0
; TotalNumVgprs: 17
; ScratchSize: 0
; MemoryBound: 0
; FloatMode: 240
; IeeeMode: 1
; LDSByteSize: 0 bytes/workgroup (compile time only)
; SGPRBlocks: 3
; VGPRBlocks: 2
; NumSGPRsForWavesPerEU: 30
; NumVGPRsForWavesPerEU: 17
; AccumOffset: 20
; Occupancy: 8
; WaveLimiterHint : 0
; COMPUTE_PGM_RSRC2:SCRATCH_EN: 0
; COMPUTE_PGM_RSRC2:USER_SGPR: 2
; COMPUTE_PGM_RSRC2:TRAP_HANDLER: 0
; COMPUTE_PGM_RSRC2:TGID_X_EN: 1
; COMPUTE_PGM_RSRC2:TGID_Y_EN: 1
; COMPUTE_PGM_RSRC2:TGID_Z_EN: 1
; COMPUTE_PGM_RSRC2:TIDIG_COMP_CNT: 0
; COMPUTE_PGM_RSRC3_GFX90A:ACCUM_OFFSET: 4
; COMPUTE_PGM_RSRC3_GFX90A:TG_SPLIT: 0
	.section	.text._ZL33flash_attn_stream_k_fixup_generalILi128ELi4ELi8EEvPfPK15HIP_vector_typeIfLj2EEiiiiS1_IjLj3EES5_S5_S5_,"axG",@progbits,_ZL33flash_attn_stream_k_fixup_generalILi128ELi4ELi8EEvPfPK15HIP_vector_typeIfLj2EEiiiiS1_IjLj3EES5_S5_S5_,comdat
	.globl	_ZL33flash_attn_stream_k_fixup_generalILi128ELi4ELi8EEvPfPK15HIP_vector_typeIfLj2EEiiiiS1_IjLj3EES5_S5_S5_ ; -- Begin function _ZL33flash_attn_stream_k_fixup_generalILi128ELi4ELi8EEvPfPK15HIP_vector_typeIfLj2EEiiiiS1_IjLj3EES5_S5_S5_
	.p2align	8
	.type	_ZL33flash_attn_stream_k_fixup_generalILi128ELi4ELi8EEvPfPK15HIP_vector_typeIfLj2EEiiiiS1_IjLj3EES5_S5_S5_,@function
_ZL33flash_attn_stream_k_fixup_generalILi128ELi4ELi8EEvPfPK15HIP_vector_typeIfLj2EEiiiiS1_IjLj3EES5_S5_S5_: ; @_ZL33flash_attn_stream_k_fixup_generalILi128ELi4ELi8EEvPfPK15HIP_vector_typeIfLj2EEiiiiS1_IjLj3EES5_S5_S5_
; %bb.0:
	s_load_dwordx4 s[8:11], s[0:1], 0x10
	s_load_dword s22, s[0:1], 0x50
	s_mov_b32 s12, 0
	s_waitcnt lgkmcnt(0)
	s_mul_hi_i32 s13, s11, s2
	s_cmp_lg_u64 s[12:13], 0
	s_mul_i32 s5, s11, s2
	s_cbranch_scc0 .LBB27_20
; %bb.1:
	s_add_u32 s6, s22, 0
	s_addc_u32 s7, 0, 0
	s_xor_b64 s[6:7], s[6:7], 0
	v_cvt_f32_u32_e32 v1, s6
	v_cvt_f32_u32_e32 v2, s7
	s_sub_u32 s12, 0, s6
	s_subb_u32 s18, 0, s7
	v_fmamk_f32 v1, v2, 0x4f800000, v1
	v_rcp_f32_e32 v1, v1
	s_nop 0
	v_mul_f32_e32 v1, 0x5f7ffffc, v1
	v_mul_f32_e32 v2, 0x2f800000, v1
	v_trunc_f32_e32 v2, v2
	v_fmamk_f32 v1, v2, 0xcf800000, v1
	v_cvt_u32_f32_e32 v2, v2
	v_cvt_u32_f32_e32 v1, v1
	v_readfirstlane_b32 s19, v2
	v_readfirstlane_b32 s14, v1
	s_mul_i32 s15, s12, s19
	s_mul_hi_u32 s21, s12, s14
	s_mul_i32 s20, s18, s14
	s_add_i32 s15, s21, s15
	s_add_i32 s15, s15, s20
	s_mul_i32 s23, s12, s14
	s_mul_i32 s21, s14, s15
	s_mul_hi_u32 s24, s14, s23
	s_mul_hi_u32 s20, s14, s15
	s_add_u32 s21, s24, s21
	s_addc_u32 s20, 0, s20
	s_mul_hi_u32 s25, s19, s23
	s_mul_i32 s23, s19, s23
	s_add_u32 s21, s21, s23
	s_mul_hi_u32 s24, s19, s15
	s_addc_u32 s20, s20, s25
	s_addc_u32 s21, s24, 0
	s_mul_i32 s15, s19, s15
	s_add_u32 s15, s20, s15
	s_addc_u32 s20, 0, s21
	s_add_u32 s21, s14, s15
	s_cselect_b64 s[14:15], -1, 0
	s_cmp_lg_u64 s[14:15], 0
	s_addc_u32 s19, s19, s20
	s_mul_i32 s14, s12, s19
	s_mul_hi_u32 s15, s12, s21
	s_add_i32 s14, s15, s14
	s_mul_i32 s18, s18, s21
	s_add_i32 s14, s14, s18
	s_mul_i32 s12, s12, s21
	s_mul_hi_u32 s18, s19, s12
	s_mul_i32 s20, s19, s12
	s_mul_i32 s24, s21, s14
	s_mul_hi_u32 s12, s21, s12
	s_mul_hi_u32 s23, s21, s14
	s_add_u32 s12, s12, s24
	s_addc_u32 s23, 0, s23
	s_add_u32 s12, s12, s20
	s_mul_hi_u32 s15, s19, s14
	s_addc_u32 s12, s23, s18
	s_addc_u32 s15, s15, 0
	s_mul_i32 s14, s19, s14
	s_add_u32 s12, s12, s14
	s_addc_u32 s18, 0, s15
	s_add_u32 s20, s21, s12
	s_cselect_b64 s[14:15], -1, 0
	s_cmp_lg_u64 s[14:15], 0
	s_addc_u32 s18, s19, s18
	s_ashr_i32 s14, s13, 31
	s_add_u32 s12, s5, s14
	s_mov_b32 s15, s14
	s_addc_u32 s13, s13, s14
	s_xor_b64 s[12:13], s[12:13], s[14:15]
	s_mul_i32 s21, s12, s18
	s_mul_hi_u32 s23, s12, s20
	s_mul_hi_u32 s19, s12, s18
	s_add_u32 s21, s23, s21
	s_addc_u32 s19, 0, s19
	s_mul_hi_u32 s24, s13, s20
	s_mul_i32 s20, s13, s20
	s_add_u32 s20, s21, s20
	s_mul_hi_u32 s23, s13, s18
	s_addc_u32 s19, s19, s24
	s_addc_u32 s20, s23, 0
	s_mul_i32 s18, s13, s18
	s_add_u32 s23, s19, s18
	s_addc_u32 s24, 0, s20
	s_mul_i32 s18, s6, s24
	s_mul_hi_u32 s19, s6, s23
	s_add_i32 s18, s19, s18
	s_mul_i32 s19, s7, s23
	s_add_i32 s25, s18, s19
	s_sub_i32 s20, s13, s25
	s_mul_i32 s18, s6, s23
	s_sub_u32 s12, s12, s18
	s_cselect_b64 s[18:19], -1, 0
	s_cmp_lg_u64 s[18:19], 0
	s_subb_u32 s26, s20, s7
	s_sub_u32 s27, s12, s6
	s_cselect_b64 s[20:21], -1, 0
	s_cmp_lg_u64 s[20:21], 0
	s_subb_u32 s20, s26, 0
	s_cmp_ge_u32 s20, s7
	s_cselect_b32 s21, -1, 0
	s_cmp_ge_u32 s27, s6
	s_cselect_b32 s26, -1, 0
	s_cmp_eq_u32 s20, s7
	s_cselect_b32 s20, s26, s21
	s_add_u32 s21, s23, 1
	s_addc_u32 s26, s24, 0
	s_add_u32 s27, s23, 2
	s_addc_u32 s28, s24, 0
	s_cmp_lg_u32 s20, 0
	s_cselect_b32 s20, s27, s21
	s_cselect_b32 s21, s28, s26
	s_cmp_lg_u64 s[18:19], 0
	s_subb_u32 s13, s13, s25
	s_cmp_ge_u32 s13, s7
	s_cselect_b32 s18, -1, 0
	s_cmp_ge_u32 s12, s6
	s_cselect_b32 s6, -1, 0
	s_cmp_eq_u32 s13, s7
	s_cselect_b32 s6, s6, s18
	s_cmp_lg_u32 s6, 0
	s_cselect_b32 s7, s21, s24
	s_cselect_b32 s6, s20, s23
	s_xor_b64 s[12:13], s[14:15], 0
	s_xor_b64 s[6:7], s[6:7], s[12:13]
	s_sub_u32 s6, s6, s12
	s_load_dwordx4 s[12:15], s[0:1], 0x44
	s_cbranch_execnz .LBB27_3
.LBB27_2:
	v_cvt_f32_u32_e32 v1, s22
	s_sub_i32 s6, 0, s22
	v_rcp_iflag_f32_e32 v1, v1
	s_nop 0
	v_mul_f32_e32 v1, 0x4f7ffffe, v1
	v_cvt_u32_f32_e32 v1, v1
	s_nop 0
	v_readfirstlane_b32 s7, v1
	s_mul_i32 s6, s6, s7
	s_mul_hi_u32 s6, s7, s6
	s_add_i32 s7, s7, s6
	s_mul_hi_u32 s6, s5, s7
	s_waitcnt lgkmcnt(0)
	s_mul_i32 s15, s6, s22
	s_sub_i32 s5, s5, s15
	s_add_i32 s7, s6, 1
	s_sub_i32 s15, s5, s22
	s_cmp_ge_u32 s5, s22
	s_cselect_b32 s6, s7, s6
	s_cselect_b32 s5, s15, s5
	s_add_i32 s7, s6, 1
	s_cmp_ge_u32 s5, s22
	s_cselect_b32 s6, s7, s6
.LBB27_3:
	s_add_i32 s5, s2, 1
	s_mul_hi_i32 s21, s11, s5
	s_mov_b32 s20, 0
	s_cmp_lg_u64 s[20:21], 0
	s_mul_i32 s5, s11, s5
	s_cbranch_scc0 .LBB27_21
; %bb.4:
	s_add_u32 s16, s22, 0
	s_addc_u32 s17, 0, 0
	s_xor_b64 s[18:19], s[16:17], 0
	v_cvt_f32_u32_e32 v1, s18
	v_cvt_f32_u32_e32 v2, s19
	s_sub_u32 s7, 0, s18
	s_waitcnt lgkmcnt(0)
	s_subb_u32 s15, 0, s19
	v_fmamk_f32 v1, v2, 0x4f800000, v1
	v_rcp_f32_e32 v1, v1
	s_nop 0
	v_mul_f32_e32 v1, 0x5f7ffffc, v1
	v_mul_f32_e32 v2, 0x2f800000, v1
	v_trunc_f32_e32 v2, v2
	v_fmamk_f32 v1, v2, 0xcf800000, v1
	v_cvt_u32_f32_e32 v2, v2
	v_cvt_u32_f32_e32 v1, v1
	v_readfirstlane_b32 s20, v2
	v_readfirstlane_b32 s23, v1
	s_mul_i32 s24, s7, s20
	s_mul_hi_u32 s26, s7, s23
	s_mul_i32 s25, s15, s23
	s_add_i32 s24, s26, s24
	s_add_i32 s24, s24, s25
	s_mul_i32 s27, s7, s23
	s_mul_i32 s26, s23, s24
	s_mul_hi_u32 s28, s23, s27
	s_mul_hi_u32 s25, s23, s24
	s_add_u32 s26, s28, s26
	s_addc_u32 s25, 0, s25
	s_mul_hi_u32 s29, s20, s27
	s_mul_i32 s27, s20, s27
	s_add_u32 s26, s26, s27
	s_mul_hi_u32 s28, s20, s24
	s_addc_u32 s25, s25, s29
	s_addc_u32 s26, s28, 0
	s_mul_i32 s24, s20, s24
	s_add_u32 s24, s25, s24
	s_addc_u32 s26, 0, s26
	s_add_u32 s23, s23, s24
	s_cselect_b64 s[24:25], -1, 0
	s_cmp_lg_u64 s[24:25], 0
	s_addc_u32 s20, s20, s26
	s_mul_i32 s24, s7, s20
	s_mul_hi_u32 s25, s7, s23
	s_add_i32 s24, s25, s24
	s_mul_i32 s15, s15, s23
	s_add_i32 s24, s24, s15
	s_mul_i32 s7, s7, s23
	s_mul_hi_u32 s25, s20, s7
	s_mul_i32 s26, s20, s7
	s_mul_i32 s28, s23, s24
	s_mul_hi_u32 s7, s23, s7
	s_mul_hi_u32 s27, s23, s24
	s_add_u32 s7, s7, s28
	s_addc_u32 s27, 0, s27
	s_add_u32 s7, s7, s26
	s_mul_hi_u32 s15, s20, s24
	s_addc_u32 s7, s27, s25
	s_addc_u32 s15, s15, 0
	s_mul_i32 s24, s20, s24
	s_add_u32 s7, s7, s24
	s_addc_u32 s15, 0, s15
	s_add_u32 s7, s23, s7
	s_cselect_b64 s[24:25], -1, 0
	s_cmp_lg_u64 s[24:25], 0
	s_addc_u32 s15, s20, s15
	s_ashr_i32 s24, s21, 31
	s_add_u32 s20, s5, s24
	s_mov_b32 s25, s24
	s_addc_u32 s21, s21, s24
	s_xor_b64 s[20:21], s[20:21], s[24:25]
	s_mul_i32 s26, s20, s15
	s_mul_hi_u32 s27, s20, s7
	s_mul_hi_u32 s23, s20, s15
	s_add_u32 s26, s27, s26
	s_addc_u32 s23, 0, s23
	s_mul_hi_u32 s28, s21, s7
	s_mul_i32 s7, s21, s7
	s_add_u32 s7, s26, s7
	s_mul_hi_u32 s27, s21, s15
	s_addc_u32 s7, s23, s28
	s_addc_u32 s23, s27, 0
	s_mul_i32 s15, s21, s15
	s_add_u32 s7, s7, s15
	s_addc_u32 s15, 0, s23
	s_mul_i32 s23, s18, s15
	s_mul_hi_u32 s26, s18, s7
	s_add_i32 s23, s26, s23
	s_mul_i32 s26, s19, s7
	s_add_i32 s23, s23, s26
	s_sub_i32 s28, s21, s23
	s_mul_i32 s26, s18, s7
	s_sub_u32 s20, s20, s26
	s_cselect_b64 s[26:27], -1, 0
	s_cmp_lg_u64 s[26:27], 0
	s_subb_u32 s30, s28, s19
	s_sub_u32 s31, s20, s18
	s_cselect_b64 s[28:29], -1, 0
	s_cmp_lg_u64 s[28:29], 0
	s_subb_u32 s28, s30, 0
	s_cmp_ge_u32 s28, s19
	s_cselect_b32 s29, -1, 0
	s_cmp_ge_u32 s31, s18
	s_cselect_b32 s30, -1, 0
	s_cmp_eq_u32 s28, s19
	s_cselect_b32 s28, s30, s29
	s_add_u32 s29, s7, 1
	s_addc_u32 s30, s15, 0
	s_add_u32 s31, s7, 2
	s_addc_u32 s33, s15, 0
	s_cmp_lg_u32 s28, 0
	s_cselect_b32 s28, s31, s29
	s_cselect_b32 s29, s33, s30
	s_cmp_lg_u64 s[26:27], 0
	s_subb_u32 s21, s21, s23
	s_cmp_ge_u32 s21, s19
	s_cselect_b32 s23, -1, 0
	s_cmp_ge_u32 s20, s18
	s_cselect_b32 s18, -1, 0
	s_cmp_eq_u32 s21, s19
	s_cselect_b32 s18, s18, s23
	s_cmp_lg_u32 s18, 0
	s_cselect_b32 s19, s29, s15
	s_cselect_b32 s18, s28, s7
	s_xor_b64 s[20:21], s[24:25], 0
	s_xor_b64 s[18:19], s[18:19], s[20:21]
	s_sub_u32 s18, s18, s20
	s_cbranch_execnz .LBB27_6
.LBB27_5:
	v_cvt_f32_u32_e32 v1, s22
	s_sub_i32 s7, 0, s22
	v_rcp_iflag_f32_e32 v1, v1
	s_nop 0
	v_mul_f32_e32 v1, 0x4f7ffffe, v1
	v_cvt_u32_f32_e32 v1, v1
	s_waitcnt lgkmcnt(0)
	v_readfirstlane_b32 s15, v1
	s_mul_i32 s7, s7, s15
	s_mul_hi_u32 s7, s15, s7
	s_add_i32 s15, s15, s7
	s_mul_hi_u32 s7, s5, s15
	s_mul_i32 s16, s7, s22
	s_sub_i32 s5, s5, s16
	s_add_i32 s15, s7, 1
	s_sub_i32 s16, s5, s22
	s_cmp_ge_u32 s5, s22
	s_cselect_b32 s7, s15, s7
	s_cselect_b32 s5, s16, s5
	s_add_i32 s15, s7, 1
	s_cmp_ge_u32 s5, s22
	s_cselect_b32 s18, s15, s7
.LBB27_6:
	s_cmp_eq_u32 s6, s18
	s_waitcnt lgkmcnt(0)
	s_mul_hi_u32 s5, s6, s12
	s_cselect_b64 s[16:17], -1, 0
	s_add_i32 s5, s5, s6
	s_lshr_b32 s7, s5, s13
	s_mul_i32 s5, s7, s14
	s_cmp_eq_u32 s5, s6
	s_mul_hi_u32 s5, s18, s12
	s_cselect_b64 s[20:21], -1, 0
	s_add_i32 s5, s5, s18
	s_lshr_b32 s5, s5, s13
	s_cmp_eq_u32 s7, s5
	s_mul_i32 s5, s5, s14
	s_cselect_b64 s[24:25], -1, 0
	s_cmp_lg_u32 s5, s18
	s_cselect_b64 s[18:19], -1, 0
	s_and_b64 s[18:19], s[24:25], s[18:19]
	s_or_b64 s[16:17], s[16:17], s[20:21]
	s_or_b64 s[16:17], s[16:17], s[18:19]
	s_and_b64 vcc, exec, s[16:17]
	s_cbranch_vccnz .LBB27_23
; %bb.7:
	s_load_dwordx8 s[24:31], s[0:1], 0x20
	s_load_dword s15, s[0:1], 0x40
	s_waitcnt lgkmcnt(0)
	s_mul_hi_u32 s5, s6, s24
	s_add_i32 s5, s5, s6
	s_lshr_b32 s5, s5, s25
	s_mul_i32 s16, s5, s26
	s_sub_i32 s16, s6, s16
	s_mul_hi_u32 s17, s16, s27
	s_add_i32 s17, s16, s17
	s_lshr_b32 s20, s17, s28
	s_mul_i32 s17, s20, s29
	s_sub_i32 s16, s16, s17
	;; [unrolled: 5-line block ×3, first 2 shown]
	s_mul_hi_u32 s16, s15, s12
	s_add_i32 s15, s15, s16
	s_lshr_b32 s23, s15, s13
	s_lshl_b32 s15, s23, 2
	s_lshl_b32 s21, s17, 3
	s_add_i32 s15, s15, s3
	s_cmp_lt_i32 s15, s8
	s_cselect_b64 s[16:17], -1, 0
	s_add_i32 s15, s21, s4
	s_cmp_lt_i32 s15, s10
	s_cselect_b64 s[18:19], -1, 0
	s_and_b64 s[16:17], s[16:17], s[18:19]
	s_andn2_b64 vcc, exec, s[16:17]
	s_cbranch_vccnz .LBB27_23
; %bb.8:
	s_load_dwordx4 s[16:19], s[0:1], 0x0
	s_mov_b32 s0, 0
	s_lshl_b32 s15, s3, 3
	s_lshl_b32 s24, s22, 7
	s_mov_b32 s25, s0
	s_add_i32 s15, s15, s4
	s_waitcnt lgkmcnt(0)
	v_mov_b32_e32 v2, s16
	v_mov_b32_e32 v3, s17
	s_lshl_b64 s[16:17], s[24:25], 2
	s_add_u32 s16, s18, s16
	s_mul_i32 s1, s5, s8
	s_addc_u32 s17, s19, s17
	s_add_i32 s1, s1, s3
	s_mul_i32 s1, s1, s9
	s_mul_i32 s20, s20, s10
	s_add_i32 s1, s1, s4
	s_add_i32 s1, s1, s20
	s_mul_i32 s5, s9, s23
	s_add_i32 s1, s1, s21
	s_lshl_b32 s5, s5, 9
	s_lshl_b32 s1, s1, 7
	s_add_i32 s5, s5, s1
	v_or_b32_e32 v4, s5, v0
	v_ashrrev_i32_e32 v5, 31, v4
	v_lshl_add_u64 v[2:3], v[4:5], 2, v[2:3]
	global_load_dword v1, v[2:3], off
	v_cvt_f32_u32_e32 v4, s22
	s_lshl_b32 s1, s2, 5
	s_add_i32 s4, s15, s1
	s_ashr_i32 s5, s4, 31
	s_lshl_b64 s[4:5], s[4:5], 3
	v_rcp_iflag_f32_e32 v4, v4
	s_add_u32 s4, s18, s4
	s_addc_u32 s5, s19, s5
	s_load_dwordx2 s[4:5], s[4:5], 0x0
	v_mul_f32_e32 v4, 0x4f7ffffe, v4
	v_cvt_u32_f32_e32 v7, v4
	s_add_i32 s24, s2, -1
	v_lshl_or_b32 v6, s15, 7, v0
	s_waitcnt lgkmcnt(0)
	v_mov_b32_e32 v0, s5
	v_mov_b32_e32 v9, s4
	s_mov_b32 s10, 0x3fb8aa3b
	s_mov_b32 s20, 0xc2ce8ed0
	;; [unrolled: 1-line block ×4, first 2 shown]
	v_mov_b32_e32 v8, 0x7f800000
	s_mul_hi_i32 s1, s24, s11
	s_cmp_lg_u64 s[0:1], 0
	s_mul_i32 s8, s24, s11
	s_cbranch_scc0 .LBB27_19
.LBB27_9:
	s_add_u32 s2, s22, 0
	s_addc_u32 s3, 0, 0
	s_xor_b64 s[2:3], s[2:3], 0
	v_cvt_f32_u32_e32 v4, s2
	v_cvt_f32_u32_e32 v5, s3
	s_sub_u32 s9, 0, s2
	s_subb_u32 s25, 0, s3
	v_fmac_f32_e32 v4, 0x4f800000, v5
	v_rcp_f32_e32 v4, v4
	s_nop 0
	v_mul_f32_e32 v4, 0x5f7ffffc, v4
	v_mul_f32_e32 v5, 0x2f800000, v4
	v_trunc_f32_e32 v5, v5
	v_fmac_f32_e32 v4, 0xcf800000, v5
	v_cvt_u32_f32_e32 v5, v5
	v_cvt_u32_f32_e32 v4, v4
	v_readfirstlane_b32 s26, v5
	v_readfirstlane_b32 s4, v4
	s_mul_i32 s5, s9, s26
	s_mul_hi_u32 s28, s9, s4
	s_mul_i32 s27, s25, s4
	s_add_i32 s5, s28, s5
	s_mul_i32 s29, s9, s4
	s_add_i32 s5, s5, s27
	s_mul_i32 s28, s4, s5
	s_mul_hi_u32 s30, s4, s29
	s_mul_hi_u32 s27, s4, s5
	s_add_u32 s28, s30, s28
	s_addc_u32 s27, 0, s27
	s_mul_hi_u32 s31, s26, s29
	s_mul_i32 s29, s26, s29
	s_add_u32 s28, s28, s29
	s_mul_hi_u32 s30, s26, s5
	s_addc_u32 s27, s27, s31
	s_addc_u32 s28, s30, 0
	s_mul_i32 s5, s26, s5
	s_add_u32 s5, s27, s5
	s_addc_u32 s27, 0, s28
	s_add_u32 s28, s4, s5
	s_cselect_b64 s[4:5], -1, 0
	s_cmp_lg_u64 s[4:5], 0
	s_addc_u32 s26, s26, s27
	s_mul_i32 s4, s9, s26
	s_mul_hi_u32 s5, s9, s28
	s_add_i32 s4, s5, s4
	s_mul_i32 s25, s25, s28
	s_add_i32 s4, s4, s25
	s_mul_i32 s9, s9, s28
	s_mul_hi_u32 s25, s26, s9
	s_mul_i32 s27, s26, s9
	s_mul_i32 s30, s28, s4
	s_mul_hi_u32 s9, s28, s9
	s_mul_hi_u32 s29, s28, s4
	s_add_u32 s9, s9, s30
	s_addc_u32 s29, 0, s29
	s_add_u32 s9, s9, s27
	s_mul_hi_u32 s5, s26, s4
	s_addc_u32 s9, s29, s25
	s_addc_u32 s5, s5, 0
	s_mul_i32 s4, s26, s4
	s_add_u32 s4, s9, s4
	s_addc_u32 s9, 0, s5
	s_add_u32 s25, s28, s4
	s_cselect_b64 s[4:5], -1, 0
	s_cmp_lg_u64 s[4:5], 0
	s_addc_u32 s9, s26, s9
	s_ashr_i32 s4, s1, 31
	s_add_u32 s26, s8, s4
	s_mov_b32 s5, s4
	s_addc_u32 s27, s1, s4
	s_xor_b64 s[26:27], s[26:27], s[4:5]
	s_mul_i32 s28, s26, s9
	s_mul_hi_u32 s29, s26, s25
	s_mul_hi_u32 s1, s26, s9
	s_add_u32 s28, s29, s28
	s_addc_u32 s1, 0, s1
	s_mul_hi_u32 s30, s27, s25
	s_mul_i32 s25, s27, s25
	s_add_u32 s25, s28, s25
	s_mul_hi_u32 s29, s27, s9
	s_addc_u32 s1, s1, s30
	s_addc_u32 s25, s29, 0
	s_mul_i32 s9, s27, s9
	s_add_u32 s1, s1, s9
	s_addc_u32 s9, 0, s25
	s_mul_i32 s25, s2, s9
	s_mul_hi_u32 s28, s2, s1
	s_add_i32 s25, s28, s25
	s_mul_i32 s28, s3, s1
	s_add_i32 s25, s25, s28
	s_sub_i32 s30, s27, s25
	s_mul_i32 s28, s2, s1
	s_sub_u32 s26, s26, s28
	s_cselect_b64 s[28:29], -1, 0
	s_cmp_lg_u64 s[28:29], 0
	s_subb_u32 s33, s30, s3
	s_sub_u32 s34, s26, s2
	s_cselect_b64 s[30:31], -1, 0
	s_cmp_lg_u64 s[30:31], 0
	s_subb_u32 s30, s33, 0
	s_cmp_ge_u32 s30, s3
	s_cselect_b32 s31, -1, 0
	s_cmp_ge_u32 s34, s2
	s_cselect_b32 s33, -1, 0
	s_cmp_eq_u32 s30, s3
	s_cselect_b32 s30, s33, s31
	s_add_u32 s31, s1, 1
	s_addc_u32 s33, s9, 0
	s_add_u32 s34, s1, 2
	s_addc_u32 s35, s9, 0
	s_cmp_lg_u32 s30, 0
	s_cselect_b32 s30, s34, s31
	s_cselect_b32 s31, s35, s33
	s_cmp_lg_u64 s[28:29], 0
	s_subb_u32 s25, s27, s25
	s_cmp_ge_u32 s25, s3
	s_cselect_b32 s27, -1, 0
	s_cmp_ge_u32 s26, s2
	s_cselect_b32 s2, -1, 0
	s_cmp_eq_u32 s25, s3
	s_cselect_b32 s2, s2, s27
	s_cmp_lg_u32 s2, 0
	s_cselect_b32 s3, s31, s9
	s_cselect_b32 s2, s30, s1
	s_xor_b64 s[4:5], s[4:5], 0
	s_xor_b64 s[2:3], s[2:3], s[4:5]
	s_sub_u32 s4, s2, s4
	s_cbranch_execnz .LBB27_11
.LBB27_10:
	s_sub_i32 s1, 0, s22
	v_readfirstlane_b32 s2, v7
	s_mul_i32 s1, s1, s2
	s_mul_hi_u32 s1, s2, s1
	s_add_i32 s2, s2, s1
	s_mul_hi_u32 s1, s8, s2
	s_mul_i32 s3, s1, s22
	s_sub_i32 s3, s8, s3
	s_add_i32 s2, s1, 1
	s_sub_i32 s4, s3, s22
	s_cmp_ge_u32 s3, s22
	s_cselect_b32 s1, s2, s1
	s_cselect_b32 s3, s4, s3
	s_add_i32 s2, s1, 1
	s_cmp_ge_u32 s3, s22
	s_cselect_b32 s4, s2, s1
.LBB27_11:
	s_cmp_lg_u32 s6, s4
	s_cbranch_scc0 .LBB27_15
; %bb.12:
	s_add_i32 s1, s24, s22
	s_lshl_b32 s1, s1, 5
	s_add_i32 s2, s1, s15
	s_mov_b32 s3, s0
	s_lshl_b64 s[2:3], s[2:3], 3
	s_add_u32 s8, s18, s2
	s_mul_hi_u32 s1, s4, s12
	s_addc_u32 s9, s19, s3
	s_add_i32 s1, s1, s4
	s_lshr_b32 s1, s1, s13
	s_mul_i32 s2, s1, s14
	s_cmp_eq_u32 s2, s4
	s_cselect_b64 s[2:3], -1, 0
	s_cmp_lt_u32 s1, s7
	s_cselect_b64 s[26:27], -1, 0
	s_or_b64 s[26:27], s[26:27], s[2:3]
	s_mov_b64 s[2:3], -1
	s_and_b64 vcc, exec, s[26:27]
	s_mov_b32 s1, s24
	s_mov_b32 s25, s6
	s_cbranch_vccnz .LBB27_14
; %bb.13:
	s_add_i32 s1, s24, -1
	s_mov_b64 s[2:3], 0
	s_mov_b32 s25, s4
.LBB27_14:
	v_lshl_add_u32 v4, s24, 12, v6
	v_ashrrev_i32_e32 v5, 31, v4
	v_lshl_add_u64 v[4:5], v[4:5], 2, s[16:17]
	global_load_dword v5, v[4:5], off
	s_load_dwordx2 s[4:5], s[8:9], 0x0
	v_max_f32_e32 v4, v9, v9
	s_waitcnt lgkmcnt(0)
	v_max_f32_e64 v10, s4, s4
	v_max_f32_e32 v10, v4, v10
	v_sub_f32_e32 v11, v9, v10
	v_sub_f32_e32 v13, s4, v10
	v_mul_f32_e32 v4, 0x3fb8aa3b, v11
	v_mul_f32_e32 v12, 0x3fb8aa3b, v13
	v_fma_f32 v14, v11, s10, -v4
	v_rndne_f32_e32 v15, v4
	v_fma_f32 v16, v13, s10, -v12
	v_rndne_f32_e32 v17, v12
	v_fmac_f32_e32 v14, 0x32a5705f, v11
	v_sub_f32_e32 v4, v4, v15
	v_fmac_f32_e32 v16, 0x32a5705f, v13
	v_sub_f32_e32 v12, v12, v17
	v_add_f32_e32 v4, v4, v14
	v_cvt_i32_f32_e32 v15, v15
	v_add_f32_e32 v12, v12, v16
	v_exp_f32_e32 v14, v4
	v_cvt_i32_f32_e32 v17, v17
	v_exp_f32_e32 v12, v12
	v_cmp_ngt_f32_e32 vcc, s20, v11
	v_ldexp_f32 v14, v14, v15
	v_mov_b32_e32 v4, s5
	v_ldexp_f32 v12, v12, v17
	v_cndmask_b32_e32 v14, 0, v14, vcc
	v_cmp_ngt_f32_e32 vcc, s20, v13
	s_nop 1
	v_cndmask_b32_e32 v12, 0, v12, vcc
	v_cmp_nlt_f32_e32 vcc, s21, v11
	s_nop 1
	v_cndmask_b32_e32 v14, v8, v14, vcc
	v_cmp_nlt_f32_e32 vcc, s21, v13
	s_nop 1
	v_cndmask_b32_e32 v15, v8, v12, vcc
	v_cmp_le_f32_e32 vcc, s23, v11
	s_nop 1
	v_cndmask_b32_e32 v12, 0, v14, vcc
	v_cmp_le_f32_e32 vcc, s23, v13
	s_nop 1
	v_cndmask_b32_e32 v14, 0, v15, vcc
	s_waitcnt vmcnt(0)
	v_pk_mul_f32 v[4:5], v[4:5], v[14:15] op_sel_hi:[1,0]
	s_nop 0
	v_pk_fma_f32 v[4:5], v[0:1], v[12:13], v[4:5] op_sel_hi:[1,0,1]
	s_cbranch_execz .LBB27_16
	s_branch .LBB27_17
.LBB27_15:
                                        ; implicit-def: $vgpr4_vgpr5
                                        ; implicit-def: $sgpr2_sgpr3
                                        ; implicit-def: $vgpr10
                                        ; implicit-def: $sgpr1
                                        ; implicit-def: $sgpr25
.LBB27_16:
	s_add_i32 s1, s24, -1
	s_mov_b64 s[2:3], 0
	s_mov_b32 s25, s6
	v_mov_b32_e32 v10, v9
	s_waitcnt vmcnt(0)
	v_mov_b64_e32 v[4:5], v[0:1]
.LBB27_17:
	s_andn2_b64 vcc, exec, s[2:3]
	s_cbranch_vccz .LBB27_22
; %bb.18:
	s_mov_b32 s6, s25
	s_mov_b32 s24, s1
	v_mov_b32_e32 v9, v10
	s_waitcnt vmcnt(0)
	v_mov_b64_e32 v[0:1], v[4:5]
	s_mul_hi_i32 s1, s24, s11
	s_cmp_lg_u64 s[0:1], 0
	s_mul_i32 s8, s24, s11
	s_cbranch_scc1 .LBB27_9
.LBB27_19:
                                        ; implicit-def: $sgpr4_sgpr5
	s_branch .LBB27_10
.LBB27_20:
                                        ; implicit-def: $sgpr6_sgpr7
	s_load_dwordx4 s[12:15], s[0:1], 0x44
	s_branch .LBB27_2
.LBB27_21:
                                        ; implicit-def: $sgpr18_sgpr19
	s_branch .LBB27_5
.LBB27_22:
	v_div_scale_f32 v0, s[0:1], v4, v4, v5
	s_waitcnt vmcnt(0)
	v_rcp_f32_e32 v1, v0
	v_div_scale_f32 v6, vcc, v5, v4, v5
	v_fma_f32 v7, -v0, v1, 1.0
	v_fmac_f32_e32 v1, v7, v1
	v_mul_f32_e32 v7, v6, v1
	v_fma_f32 v8, -v0, v7, v6
	v_fmac_f32_e32 v7, v8, v1
	v_fma_f32 v0, -v0, v7, v6
	v_div_fmas_f32 v0, v0, v1, v7
	v_div_fixup_f32 v0, v0, v4, v5
	global_store_dword v[2:3], v0, off
.LBB27_23:
	s_endpgm
	.section	.rodata,"a",@progbits
	.p2align	6, 0x0
	.amdhsa_kernel _ZL33flash_attn_stream_k_fixup_generalILi128ELi4ELi8EEvPfPK15HIP_vector_typeIfLj2EEiiiiS1_IjLj3EES5_S5_S5_
		.amdhsa_group_segment_fixed_size 0
		.amdhsa_private_segment_fixed_size 0
		.amdhsa_kernarg_size 336
		.amdhsa_user_sgpr_count 2
		.amdhsa_user_sgpr_dispatch_ptr 0
		.amdhsa_user_sgpr_queue_ptr 0
		.amdhsa_user_sgpr_kernarg_segment_ptr 1
		.amdhsa_user_sgpr_dispatch_id 0
		.amdhsa_user_sgpr_kernarg_preload_length 0
		.amdhsa_user_sgpr_kernarg_preload_offset 0
		.amdhsa_user_sgpr_private_segment_size 0
		.amdhsa_uses_dynamic_stack 0
		.amdhsa_enable_private_segment 0
		.amdhsa_system_sgpr_workgroup_id_x 1
		.amdhsa_system_sgpr_workgroup_id_y 1
		.amdhsa_system_sgpr_workgroup_id_z 1
		.amdhsa_system_sgpr_workgroup_info 0
		.amdhsa_system_vgpr_workitem_id 0
		.amdhsa_next_free_vgpr 18
		.amdhsa_next_free_sgpr 36
		.amdhsa_accum_offset 20
		.amdhsa_reserve_vcc 1
		.amdhsa_float_round_mode_32 0
		.amdhsa_float_round_mode_16_64 0
		.amdhsa_float_denorm_mode_32 3
		.amdhsa_float_denorm_mode_16_64 3
		.amdhsa_dx10_clamp 1
		.amdhsa_ieee_mode 1
		.amdhsa_fp16_overflow 0
		.amdhsa_tg_split 0
		.amdhsa_exception_fp_ieee_invalid_op 0
		.amdhsa_exception_fp_denorm_src 0
		.amdhsa_exception_fp_ieee_div_zero 0
		.amdhsa_exception_fp_ieee_overflow 0
		.amdhsa_exception_fp_ieee_underflow 0
		.amdhsa_exception_fp_ieee_inexact 0
		.amdhsa_exception_int_div_zero 0
	.end_amdhsa_kernel
	.section	.text._ZL33flash_attn_stream_k_fixup_generalILi128ELi4ELi8EEvPfPK15HIP_vector_typeIfLj2EEiiiiS1_IjLj3EES5_S5_S5_,"axG",@progbits,_ZL33flash_attn_stream_k_fixup_generalILi128ELi4ELi8EEvPfPK15HIP_vector_typeIfLj2EEiiiiS1_IjLj3EES5_S5_S5_,comdat
.Lfunc_end27:
	.size	_ZL33flash_attn_stream_k_fixup_generalILi128ELi4ELi8EEvPfPK15HIP_vector_typeIfLj2EEiiiiS1_IjLj3EES5_S5_S5_, .Lfunc_end27-_ZL33flash_attn_stream_k_fixup_generalILi128ELi4ELi8EEvPfPK15HIP_vector_typeIfLj2EEiiiiS1_IjLj3EES5_S5_S5_
                                        ; -- End function
	.set _ZL33flash_attn_stream_k_fixup_generalILi128ELi4ELi8EEvPfPK15HIP_vector_typeIfLj2EEiiiiS1_IjLj3EES5_S5_S5_.num_vgpr, 18
	.set _ZL33flash_attn_stream_k_fixup_generalILi128ELi4ELi8EEvPfPK15HIP_vector_typeIfLj2EEiiiiS1_IjLj3EES5_S5_S5_.num_agpr, 0
	.set _ZL33flash_attn_stream_k_fixup_generalILi128ELi4ELi8EEvPfPK15HIP_vector_typeIfLj2EEiiiiS1_IjLj3EES5_S5_S5_.numbered_sgpr, 36
	.set _ZL33flash_attn_stream_k_fixup_generalILi128ELi4ELi8EEvPfPK15HIP_vector_typeIfLj2EEiiiiS1_IjLj3EES5_S5_S5_.num_named_barrier, 0
	.set _ZL33flash_attn_stream_k_fixup_generalILi128ELi4ELi8EEvPfPK15HIP_vector_typeIfLj2EEiiiiS1_IjLj3EES5_S5_S5_.private_seg_size, 0
	.set _ZL33flash_attn_stream_k_fixup_generalILi128ELi4ELi8EEvPfPK15HIP_vector_typeIfLj2EEiiiiS1_IjLj3EES5_S5_S5_.uses_vcc, 1
	.set _ZL33flash_attn_stream_k_fixup_generalILi128ELi4ELi8EEvPfPK15HIP_vector_typeIfLj2EEiiiiS1_IjLj3EES5_S5_S5_.uses_flat_scratch, 0
	.set _ZL33flash_attn_stream_k_fixup_generalILi128ELi4ELi8EEvPfPK15HIP_vector_typeIfLj2EEiiiiS1_IjLj3EES5_S5_S5_.has_dyn_sized_stack, 0
	.set _ZL33flash_attn_stream_k_fixup_generalILi128ELi4ELi8EEvPfPK15HIP_vector_typeIfLj2EEiiiiS1_IjLj3EES5_S5_S5_.has_recursion, 0
	.set _ZL33flash_attn_stream_k_fixup_generalILi128ELi4ELi8EEvPfPK15HIP_vector_typeIfLj2EEiiiiS1_IjLj3EES5_S5_S5_.has_indirect_call, 0
	.section	.AMDGPU.csdata,"",@progbits
; Kernel info:
; codeLenInByte = 2940
; TotalNumSgprs: 42
; NumVgprs: 18
; NumAgprs: 0
; TotalNumVgprs: 18
; ScratchSize: 0
; MemoryBound: 0
; FloatMode: 240
; IeeeMode: 1
; LDSByteSize: 0 bytes/workgroup (compile time only)
; SGPRBlocks: 5
; VGPRBlocks: 2
; NumSGPRsForWavesPerEU: 42
; NumVGPRsForWavesPerEU: 18
; AccumOffset: 20
; Occupancy: 8
; WaveLimiterHint : 0
; COMPUTE_PGM_RSRC2:SCRATCH_EN: 0
; COMPUTE_PGM_RSRC2:USER_SGPR: 2
; COMPUTE_PGM_RSRC2:TRAP_HANDLER: 0
; COMPUTE_PGM_RSRC2:TGID_X_EN: 1
; COMPUTE_PGM_RSRC2:TGID_Y_EN: 1
; COMPUTE_PGM_RSRC2:TGID_Z_EN: 1
; COMPUTE_PGM_RSRC2:TIDIG_COMP_CNT: 0
; COMPUTE_PGM_RSRC3_GFX90A:ACCUM_OFFSET: 4
; COMPUTE_PGM_RSRC3_GFX90A:TG_SPLIT: 0
	.section	.text._ZL26flash_attn_combine_resultsILi128EEvPKfPK15HIP_vector_typeIfLj2EEPfi,"axG",@progbits,_ZL26flash_attn_combine_resultsILi128EEvPKfPK15HIP_vector_typeIfLj2EEPfi,comdat
	.globl	_ZL26flash_attn_combine_resultsILi128EEvPKfPK15HIP_vector_typeIfLj2EEPfi ; -- Begin function _ZL26flash_attn_combine_resultsILi128EEvPKfPK15HIP_vector_typeIfLj2EEPfi
	.p2align	8
	.type	_ZL26flash_attn_combine_resultsILi128EEvPKfPK15HIP_vector_typeIfLj2EEPfi,@function
_ZL26flash_attn_combine_resultsILi128EEvPKfPK15HIP_vector_typeIfLj2EEPfi: ; @_ZL26flash_attn_combine_resultsILi128EEvPKfPK15HIP_vector_typeIfLj2EEPfi
; %bb.0:
	s_load_dwordx2 s[6:7], s[0:1], 0x20
	s_load_dword s19, s[0:1], 0x18
	s_load_dwordx4 s[8:11], s[0:1], 0x0
	s_load_dwordx2 s[14:15], s[0:1], 0x10
	s_waitcnt lgkmcnt(0)
	s_mul_i32 s0, s6, s4
	s_add_i32 s0, s0, s2
	s_mul_i32 s18, s0, s7
	s_add_i32 s18, s18, s3
	s_lshl_b32 s20, s19, 1
	s_mul_i32 s2, s18, s19
	v_cmp_gt_i32_e32 vcc, s20, v0
	s_and_saveexec_b64 s[0:1], vcc
	s_cbranch_execz .LBB28_13
; %bb.1:
	v_xad_u32 v1, v0, -1, s20
	s_movk_i32 s4, 0x7f
	s_ashr_i32 s3, s2, 31
	v_cmp_lt_u32_e32 vcc, s4, v1
	s_mov_b64 s[6:7], -1
	v_mov_b32_e32 v2, v0
	s_and_saveexec_b64 s[4:5], vcc
	s_cbranch_execz .LBB28_10
; %bb.2:
	v_lshrrev_b32_e32 v6, 7, v1
	s_lshl_b64 s[6:7], s[2:3], 3
	v_add_u32_e32 v2, -1, v6
	s_add_u32 s6, s10, s6
	v_or_b32_e32 v1, 0x80, v0
	v_lshrrev_b32_e32 v3, 1, v2
	s_addc_u32 s7, s11, s7
	s_mov_b32 s21, 0
	v_add_u32_e32 v7, 1, v3
	v_cmp_lt_u32_e32 vcc, 13, v2
	v_mov_b32_e32 v4, 0
	v_mov_b64_e32 v[2:3], v[0:1]
	s_and_saveexec_b64 s[12:13], vcc
	s_cbranch_execz .LBB28_6
; %bb.3:
	v_and_b32_e32 v8, -8, v7
	v_lshl_add_u32 v9, v0, 2, 0
	s_mov_b64 s[16:17], 0
	v_mov_b32_e32 v5, 0
	v_mov_b64_e32 v[2:3], v[0:1]
.LBB28_4:                               ; =>This Inner Loop Header: Depth=1
	v_mov_b32_e32 v4, v2
	v_lshl_add_u64 v[24:25], v[4:5], 2, s[6:7]
	v_mov_b32_e32 v4, v3
	v_add_u32_e32 v10, 0x100, v3
	v_mov_b32_e32 v11, v5
	v_lshl_add_u64 v[26:27], v[4:5], 2, s[6:7]
	v_add_u32_e32 v4, 0x100, v2
	v_lshl_add_u64 v[10:11], v[10:11], 2, s[6:7]
	global_load_dword v1, v[24:25], off
	v_lshl_add_u64 v[24:25], v[4:5], 2, s[6:7]
	v_add_u32_e32 v4, 0x200, v2
	global_load_dword v28, v[26:27], off
	global_load_dword v29, v[24:25], off
	;; [unrolled: 1-line block ×3, first 2 shown]
	v_lshl_add_u64 v[10:11], v[4:5], 2, s[6:7]
	v_add_u32_e32 v4, 0x300, v2
	v_add_u32_e32 v12, 0x200, v3
	v_mov_b32_e32 v13, v5
	v_add_u32_e32 v14, 0x300, v3
	v_mov_b32_e32 v15, v5
	v_lshl_add_u64 v[24:25], v[4:5], 2, s[6:7]
	v_add_u32_e32 v4, 0x400, v2
	v_lshl_add_u64 v[12:13], v[12:13], 2, s[6:7]
	v_lshl_add_u64 v[14:15], v[14:15], 2, s[6:7]
	global_load_dword v26, v[10:11], off
	global_load_dword v27, v[12:13], off
	;; [unrolled: 1-line block ×4, first 2 shown]
	v_lshl_add_u64 v[10:11], v[4:5], 2, s[6:7]
	v_add_u32_e32 v4, 0x500, v2
	v_add_u32_e32 v16, 0x400, v3
	v_mov_b32_e32 v17, v5
	v_add_u32_e32 v18, 0x500, v3
	v_mov_b32_e32 v19, v5
	v_lshl_add_u64 v[12:13], v[4:5], 2, s[6:7]
	v_add_u32_e32 v4, 0x600, v2
	v_add_u32_e32 v20, 0x600, v3
	v_mov_b32_e32 v21, v5
	v_add_u32_e32 v22, 0x700, v3
	v_mov_b32_e32 v23, v5
	v_lshl_add_u64 v[16:17], v[16:17], 2, s[6:7]
	v_lshl_add_u64 v[18:19], v[18:19], 2, s[6:7]
	global_load_dword v14, v[10:11], off
	global_load_dword v15, v[16:17], off
	;; [unrolled: 1-line block ×4, first 2 shown]
	v_lshl_add_u64 v[10:11], v[4:5], 2, s[6:7]
	v_add_u32_e32 v4, 0x700, v2
	v_lshl_add_u64 v[20:21], v[20:21], 2, s[6:7]
	v_lshl_add_u64 v[22:23], v[22:23], 2, s[6:7]
	;; [unrolled: 1-line block ×3, first 2 shown]
	global_load_dword v16, v[10:11], off
	global_load_dword v17, v[20:21], off
	;; [unrolled: 1-line block ×4, first 2 shown]
	v_add_u32_e32 v8, -8, v8
	s_add_i32 s21, s21, 16
	v_cmp_eq_u32_e32 vcc, 0, v8
	v_add_u32_e32 v3, 0x800, v3
	v_mov_b32_e32 v4, s21
	s_or_b64 s[16:17], vcc, s[16:17]
	v_add_u32_e32 v2, 0x800, v2
	s_waitcnt vmcnt(14)
	ds_write2st64_b32 v9, v1, v28 offset1:2
	s_waitcnt vmcnt(12)
	ds_write2st64_b32 v9, v29, v30 offset0:4 offset1:6
	s_waitcnt vmcnt(10)
	ds_write2st64_b32 v9, v26, v27 offset0:8 offset1:10
	s_waitcnt vmcnt(8)
	ds_write2st64_b32 v9, v31, v32 offset0:12 offset1:14
	s_waitcnt vmcnt(6)
	ds_write2st64_b32 v9, v14, v15 offset0:16 offset1:18
	s_waitcnt vmcnt(4)
	ds_write2st64_b32 v9, v24, v25 offset0:20 offset1:22
	s_waitcnt vmcnt(2)
	ds_write2st64_b32 v9, v16, v17 offset0:24 offset1:26
	s_waitcnt vmcnt(0)
	ds_write2st64_b32 v9, v18, v19 offset0:28 offset1:30
	v_add_u32_e32 v9, 0x2000, v9
	s_andn2_b64 exec, exec, s[16:17]
	s_cbranch_execnz .LBB28_4
; %bb.5:
	s_or_b64 exec, exec, s[16:17]
.LBB28_6:
	s_or_b64 exec, exec, s[12:13]
	v_and_b32_e32 v1, 7, v7
	v_cmp_ne_u32_e32 vcc, 0, v1
	s_and_saveexec_b64 s[12:13], vcc
	s_cbranch_execz .LBB28_9
; %bb.7:
	v_lshlrev_b32_e32 v5, 2, v0
	v_lshl_or_b32 v4, v4, 9, v5
	v_add_u32_e32 v7, 0, v4
	s_mov_b64 s[16:17], 0
	v_mov_b32_e32 v5, 0
.LBB28_8:                               ; =>This Inner Loop Header: Depth=1
	v_mov_b32_e32 v4, v2
	v_lshl_add_u64 v[8:9], v[4:5], 2, s[6:7]
	v_mov_b32_e32 v4, v3
	v_lshl_add_u64 v[10:11], v[4:5], 2, s[6:7]
	global_load_dword v4, v[8:9], off
	global_load_dword v12, v[10:11], off
	v_add_u32_e32 v1, -1, v1
	v_cmp_eq_u32_e32 vcc, 0, v1
	v_add_u32_e32 v2, 0x100, v2
	v_add_u32_e32 v3, 0x100, v3
	s_or_b64 s[16:17], vcc, s[16:17]
	s_waitcnt vmcnt(0)
	ds_write2st64_b32 v7, v4, v12 offset1:2
	v_add_u32_e32 v7, 0x400, v7
	s_andn2_b64 exec, exec, s[16:17]
	s_cbranch_execnz .LBB28_8
.LBB28_9:
	s_or_b64 exec, exec, s[12:13]
	v_add_u32_e32 v1, 1, v6
	v_and_b32_e32 v3, 0x3fffffe, v1
	v_cmp_ne_u32_e32 vcc, v1, v3
	v_lshl_or_b32 v2, v3, 7, v0
	s_orn2_b64 s[6:7], vcc, exec
.LBB28_10:
	s_or_b64 exec, exec, s[4:5]
	s_and_b64 exec, exec, s[6:7]
	s_cbranch_execz .LBB28_13
; %bb.11:
	s_lshl_b64 s[4:5], s[2:3], 3
	s_add_u32 s4, s10, s4
	v_mov_b32_e32 v3, 0
	s_addc_u32 s5, s11, s5
	v_lshl_add_u64 v[4:5], v[2:3], 2, s[4:5]
	v_lshl_add_u32 v1, v2, 2, 0
	s_mov_b64 s[4:5], 0
	s_mov_b64 s[6:7], 0x200
.LBB28_12:                              ; =>This Inner Loop Header: Depth=1
	global_load_dword v3, v[4:5], off
	v_add_u32_e32 v2, 0x80, v2
	v_cmp_le_i32_e32 vcc, s20, v2
	v_lshl_add_u64 v[4:5], v[4:5], 0, s[6:7]
	s_or_b64 s[4:5], vcc, s[4:5]
	s_waitcnt vmcnt(0)
	ds_write_b32 v1, v3
	v_add_u32_e32 v1, 0x200, v1
	s_andn2_b64 exec, exec, s[4:5]
	s_cbranch_execnz .LBB28_12
.LBB28_13:
	s_or_b64 exec, exec, s[0:1]
	v_mov_b32_e32 v1, 0
	s_waitcnt lgkmcnt(0)
	s_barrier
	ds_read_b32 v1, v1
	s_cmp_lt_i32 s19, 2
	s_cbranch_scc1 .LBB28_21
; %bb.14:
	s_cmp_eq_u32 s19, 2
	s_cbranch_scc1 .LBB28_18
; %bb.15:
	s_add_i32 s3, s19, -1
	s_and_b32 s4, s3, -2
	s_add_i32 s6, 0, 8
	s_mov_b32 s5, 2
	s_waitcnt lgkmcnt(0)
	v_mov_b32_e32 v4, v1
.LBB28_16:                              ; =>This Inner Loop Header: Depth=1
	v_mov_b32_e32 v2, v1
	v_mov_b32_e32 v1, s6
	;; [unrolled: 1-line block ×3, first 2 shown]
	ds_read2_b32 v[4:5], v1 offset1:2
	s_cmp_lg_u32 s4, s5
	s_cselect_b64 s[10:11], -1, 0
	v_max_f32_e32 v1, v3, v3
	v_max_f32_e32 v6, v2, v2
	s_waitcnt lgkmcnt(0)
	v_cmp_u_f32_e32 vcc, v5, v5
	v_max_f32_e32 v7, v5, v5
	v_max_f32_e32 v8, v4, v4
	v_cndmask_b32_e64 v5, 0, 1, vcc
	v_cmp_u_f32_e32 vcc, v4, v4
	v_readfirstlane_b32 s0, v5
	s_lshl_b32 s0, s0, 1
	v_cndmask_b32_e64 v9, 0, 1, vcc
	v_max_f32_e32 v4, v1, v7
	v_readfirstlane_b32 s1, v9
	s_or_b32 s0, s1, s0
	s_and_b32 s7, s0, 3
	s_cmp_lg_u32 s7, 0
	s_cselect_b64 s[0:1], -1, 0
	s_cmp_eq_u32 s7, 0
	s_cselect_b64 s[12:13], -1, 0
	s_and_b64 s[10:11], s[12:13], s[10:11]
	v_max_f32_e32 v1, v6, v8
	s_add_i32 s5, s5, 2
	s_add_i32 s6, s6, 16
	s_and_b64 vcc, exec, s[10:11]
	s_cbranch_vccnz .LBB28_16
; %bb.17:
	s_add_i32 s5, s5, -4
	s_and_b64 s[6:7], s[0:1], exec
	s_cselect_b32 s5, s5, s3
	s_or_b32 s5, s5, 1
	v_cndmask_b32_e64 v1, v1, v2, s[0:1]
	v_cndmask_b32_e64 v2, v4, v3, s[0:1]
	s_cmp_lg_u32 s3, s4
	v_max_f32_e32 v2, v2, v2
	v_max_f32_e32 v1, v1, v1
	s_cselect_b64 s[6:7], -1, 0
	v_max_f32_e32 v1, v1, v2
	s_or_b64 s[0:1], s[6:7], s[0:1]
	s_and_b64 vcc, exec, s[0:1]
	s_cbranch_vccnz .LBB28_19
	s_branch .LBB28_21
.LBB28_18:
	s_mov_b32 s5, 1
	s_cbranch_execz .LBB28_21
.LBB28_19:
	s_lshl_b32 s1, s5, 3
	s_sub_i32 s0, s19, s5
	s_add_i32 s1, s1, 0
.LBB28_20:                              ; =>This Inner Loop Header: Depth=1
	v_mov_b32_e32 v2, s1
	ds_read_b32 v2, v2
	s_waitcnt lgkmcnt(1)
	v_max_f32_e32 v1, v1, v1
	s_add_i32 s0, s0, -1
	s_add_i32 s1, s1, 8
	s_cmp_eq_u32 s0, 0
	s_waitcnt lgkmcnt(0)
	v_max_f32_e32 v2, v2, v2
	v_max_f32_e32 v1, v1, v2
	s_cbranch_scc0 .LBB28_20
.LBB28_21:
	s_cmp_lt_i32 s19, 1
	s_cbranch_scc1 .LBB28_26
; %bb.22:
	s_lshl_b32 s0, s2, 7
	s_ashr_i32 s1, s0, 31
	s_lshl_b64 s[0:1], s[0:1], 2
	s_add_u32 s16, s8, s0
	s_addc_u32 s17, s9, s1
	s_cmp_lt_u32 s19, 8
	s_cbranch_scc1 .LBB28_27
; %bb.23:
	v_mov_b32_e32 v7, 0
	s_and_b32 s20, s19, 0x7ffffff8
	v_or_b32_e32 v4, 0x380, v0
	s_mov_b32 s21, 0
	s_mov_b32 s22, 0x3fb8aa3b
	;; [unrolled: 1-line block ×4, first 2 shown]
	v_mov_b32_e32 v8, 0x7f800000
	s_mov_b32 s25, 0
	v_mov_b32_e32 v2, v7
	v_mov_b32_e32 v3, v7
.LBB28_24:                              ; =>This Inner Loop Header: Depth=1
	v_add_u32_e32 v6, 0xfffffc80, v4
	v_lshl_add_u64 v[26:27], v[6:7], 2, s[16:17]
	v_add_u32_e32 v6, 0xfffffd00, v4
	v_mov_b32_e32 v9, s21
	v_lshl_add_u64 v[30:31], v[6:7], 2, s[16:17]
	v_add_u32_e32 v6, 0xfffffd80, v4
	ds_read2_b64 v[10:13], v9 offset1:1
	ds_read2_b64 v[14:17], v9 offset0:2 offset1:3
	ds_read2_b64 v[18:21], v9 offset0:4 offset1:5
	;; [unrolled: 1-line block ×3, first 2 shown]
	global_load_dword v33, v[26:27], off
	global_load_dword v35, v[30:31], off
	v_lshl_add_u64 v[26:27], v[6:7], 2, s[16:17]
	v_add_u32_e32 v6, 0xfffffe00, v4
	v_lshl_add_u64 v[30:31], v[6:7], 2, s[16:17]
	v_add_u32_e32 v6, 0xfffffe80, v4
	global_load_dword v37, v[26:27], off
	global_load_dword v39, v[30:31], off
	v_lshl_add_u64 v[26:27], v[6:7], 2, s[16:17]
	v_add_u32_e32 v6, 0xffffff00, v4
	s_waitcnt lgkmcnt(3)
	v_mov_b32_e32 v32, v11
	v_sub_f32_e32 v9, v12, v1
	v_mov_b32_e32 v34, v13
	global_load_dword v11, v[26:27], off
	v_lshl_add_u64 v[12:13], v[6:7], 2, s[16:17]
	s_waitcnt lgkmcnt(2)
	v_mov_b32_e32 v36, v15
	v_add_u32_e32 v6, 0xffffff80, v4
	global_load_dword v15, v[12:13], off
	v_mov_b32_e32 v5, v7
	v_lshl_add_u64 v[12:13], v[6:7], 2, s[16:17]
	v_lshl_add_u64 v[28:29], v[4:5], 2, s[16:17]
	v_sub_f32_e32 v5, v10, v1
	v_mov_b32_e32 v38, v17
	s_waitcnt lgkmcnt(1)
	v_mov_b32_e32 v10, v19
	global_load_dword v17, v[12:13], off
	global_load_dword v19, v[28:29], off
	v_sub_f32_e32 v30, v14, v1
	v_sub_f32_e32 v31, v16, v1
	;; [unrolled: 1-line block ×3, first 2 shown]
	v_mov_b32_e32 v14, v21
	s_waitcnt lgkmcnt(0)
	v_sub_f32_e32 v21, v22, v1
	v_mov_b32_e32 v16, v23
	v_sub_f32_e32 v22, v24, v1
	v_mul_f32_e32 v23, 0x3fb8aa3b, v5
	v_mov_b32_e32 v18, v25
	v_mul_f32_e32 v24, 0x3fb8aa3b, v9
	v_mul_f32_e32 v25, 0x3fb8aa3b, v30
	;; [unrolled: 1-line block ×5, first 2 shown]
	v_fma_f32 v43, v5, s22, -v23
	v_rndne_f32_e32 v44, v23
	v_sub_f32_e32 v20, v20, v1
	v_fma_f32 v45, v9, s22, -v24
	v_rndne_f32_e32 v46, v24
	v_fma_f32 v47, v30, s22, -v25
	v_rndne_f32_e32 v48, v25
	;; [unrolled: 2-line block ×5, first 2 shown]
	v_fmac_f32_e32 v43, 0x32a5705f, v5
	v_sub_f32_e32 v12, v23, v44
	v_mul_f32_e32 v26, 0x3fb8aa3b, v31
	v_mul_f32_e32 v41, 0x3fb8aa3b, v20
	v_fmac_f32_e32 v45, 0x32a5705f, v9
	v_sub_f32_e32 v23, v24, v46
	v_fmac_f32_e32 v47, 0x32a5705f, v30
	v_sub_f32_e32 v25, v25, v48
	;; [unrolled: 2-line block ×5, first 2 shown]
	v_add_f32_e32 v12, v12, v43
	v_fma_f32 v49, v31, s22, -v26
	v_rndne_f32_e32 v50, v26
	v_fma_f32 v53, v20, s22, -v41
	v_rndne_f32_e32 v54, v41
	v_cvt_i32_f32_e32 v13, v44
	v_add_f32_e32 v23, v23, v45
	v_add_f32_e32 v25, v25, v47
	;; [unrolled: 1-line block ×5, first 2 shown]
	v_exp_f32_e32 v12, v12
	v_cvt_i32_f32_e32 v24, v46
	v_cvt_i32_f32_e32 v28, v48
	v_fmac_f32_e32 v49, 0x32a5705f, v31
	v_sub_f32_e32 v26, v26, v50
	v_cvt_i32_f32_e32 v29, v50
	v_cvt_i32_f32_e32 v44, v52
	v_fmac_f32_e32 v53, 0x32a5705f, v20
	v_sub_f32_e32 v41, v41, v54
	v_cvt_i32_f32_e32 v48, v56
	v_cvt_i32_f32_e32 v50, v58
	v_exp_f32_e32 v23, v23
	v_exp_f32_e32 v25, v25
	;; [unrolled: 1-line block ×5, first 2 shown]
	v_add_f32_e32 v26, v26, v49
	v_add_f32_e32 v41, v41, v53
	v_cvt_i32_f32_e32 v46, v54
	v_exp_f32_e32 v26, v26
	v_exp_f32_e32 v41, v41
	v_ldexp_f32 v12, v12, v13
	v_cmp_ngt_f32_e64 s[12:13], s23, v5
	v_ldexp_f32 v13, v23, v24
	v_cmp_ngt_f32_e32 vcc, s23, v9
	v_ldexp_f32 v23, v25, v28
	v_ldexp_f32 v25, v27, v44
	;; [unrolled: 1-line block ×3, first 2 shown]
	v_cmp_ngt_f32_e64 s[8:9], s23, v21
	v_ldexp_f32 v6, v6, v50
	v_cmp_ngt_f32_e64 s[10:11], s23, v22
	v_cndmask_b32_e64 v12, 0, v12, s[12:13]
	v_cmp_nlt_f32_e64 s[12:13], s24, v5
	v_cmp_ngt_f32_e64 s[0:1], s23, v30
	v_cndmask_b32_e32 v13, 0, v13, vcc
	v_cmp_nlt_f32_e32 vcc, s24, v9
	v_cndmask_b32_e64 v27, 0, v27, s[8:9]
	v_cmp_nlt_f32_e64 s[8:9], s24, v21
	v_cndmask_b32_e64 v21, 0, v6, s[10:11]
	v_cndmask_b32_e64 v6, v8, v12, s[12:13]
	v_ldexp_f32 v24, v26, v29
	v_cmp_ngt_f32_e64 s[2:3], s23, v31
	v_cmp_ngt_f32_e64 s[4:5], s23, v40
	v_ldexp_f32 v26, v41, v46
	v_cmp_ngt_f32_e64 s[6:7], s23, v20
	v_cndmask_b32_e64 v9, 0, v23, s[0:1]
	v_cmp_nlt_f32_e64 s[0:1], s24, v30
	v_cndmask_b32_e32 v12, v8, v13, vcc
	s_waitcnt vmcnt(7)
	v_pk_fma_f32 v[2:3], v[6:7], v[32:33], v[2:3] op_sel_hi:[0,1,1]
	v_cndmask_b32_e64 v23, 0, v24, s[2:3]
	v_cmp_nlt_f32_e64 s[2:3], s24, v31
	v_cndmask_b32_e64 v24, 0, v25, s[4:5]
	v_cndmask_b32_e64 v25, 0, v26, s[6:7]
	v_cmp_nlt_f32_e64 s[6:7], s24, v20
	v_cndmask_b32_e64 v20, v8, v9, s[0:1]
	s_waitcnt vmcnt(6)
	v_pk_fma_f32 v[2:3], v[12:13], v[34:35], v[2:3] op_sel_hi:[0,1,1]
	v_cmp_nlt_f32_e64 s[4:5], s24, v40
	v_cmp_nlt_f32_e64 s[10:11], s24, v22
	v_cndmask_b32_e64 v22, v8, v23, s[2:3]
	s_waitcnt vmcnt(5)
	v_pk_fma_f32 v[2:3], v[20:21], v[36:37], v[2:3] op_sel_hi:[0,1,1]
	v_cndmask_b32_e64 v24, v8, v24, s[4:5]
	s_waitcnt vmcnt(4)
	v_pk_fma_f32 v[2:3], v[22:23], v[38:39], v[2:3] op_sel_hi:[0,1,1]
	;; [unrolled: 3-line block ×4, first 2 shown]
	s_add_i32 s25, s25, 8
	s_add_i32 s21, s21, 64
	v_cndmask_b32_e64 v30, v8, v21, s[10:11]
	s_waitcnt vmcnt(1)
	v_pk_fma_f32 v[2:3], v[28:29], v[16:17], v[2:3] op_sel_hi:[0,1,1]
	s_cmp_eq_u32 s20, s25
	v_add_u32_e32 v4, 0x400, v4
	s_waitcnt vmcnt(0)
	v_pk_fma_f32 v[2:3], v[30:31], v[18:19], v[2:3] op_sel_hi:[0,1,1]
	s_cbranch_scc0 .LBB28_24
; %bb.25:
	s_and_b32 s0, s19, 7
	s_cmp_eq_u32 s0, 0
	s_cbranch_scc0 .LBB28_28
	s_branch .LBB28_30
.LBB28_26:
	s_waitcnt lgkmcnt(0)
	v_mov_b32_e32 v1, 0x7fc00000
	s_branch .LBB28_31
.LBB28_27:
	v_mov_b32_e32 v2, 0
	s_mov_b32 s20, 0
	v_mov_b32_e32 v3, v2
	s_and_b32 s0, s19, 7
	s_cmp_eq_u32 s0, 0
	s_cbranch_scc1 .LBB28_30
.LBB28_28:
	s_lshl_b32 s1, s20, 3
	v_lshl_or_b32 v4, s20, 7, v0
	s_add_i32 s1, s1, 0
	s_mov_b32 s2, 0x3fb8aa3b
	s_mov_b32 s3, 0xc2ce8ed0
	;; [unrolled: 1-line block ×3, first 2 shown]
	v_mov_b32_e32 v6, 0x7f800000
	v_mov_b32_e32 v5, 0
.LBB28_29:                              ; =>This Inner Loop Header: Depth=1
	v_lshl_add_u64 v[8:9], v[4:5], 2, s[16:17]
	global_load_dword v9, v[8:9], off
	v_mov_b32_e32 v7, s1
	ds_read_b64 v[10:11], v7
	s_add_i32 s1, s1, 8
	s_add_i32 s0, s0, -1
	v_add_u32_e32 v4, 0x80, v4
	s_cmp_lg_u32 s0, 0
	s_waitcnt lgkmcnt(0)
	v_sub_f32_e32 v7, v10, v1
	v_mul_f32_e32 v8, 0x3fb8aa3b, v7
	v_fma_f32 v10, v7, s2, -v8
	v_rndne_f32_e32 v12, v8
	v_fmac_f32_e32 v10, 0x32a5705f, v7
	v_sub_f32_e32 v8, v8, v12
	v_add_f32_e32 v8, v8, v10
	v_cvt_i32_f32_e32 v12, v12
	v_exp_f32_e32 v10, v8
	v_cmp_ngt_f32_e32 vcc, s3, v7
	v_mov_b32_e32 v8, v11
	v_ldexp_f32 v10, v10, v12
	v_cndmask_b32_e32 v10, 0, v10, vcc
	v_cmp_nlt_f32_e32 vcc, s4, v7
	s_nop 1
	v_cndmask_b32_e32 v10, v6, v10, vcc
	s_waitcnt vmcnt(0)
	v_pk_fma_f32 v[2:3], v[10:11], v[8:9], v[2:3] op_sel_hi:[0,1,1]
	s_cbranch_scc1 .LBB28_29
.LBB28_30:
	s_waitcnt lgkmcnt(0)
	v_div_scale_f32 v1, s[0:1], v2, v2, v3
	v_rcp_f32_e32 v4, v1
	v_div_scale_f32 v5, vcc, v3, v2, v3
	v_fma_f32 v6, -v1, v4, 1.0
	v_fmac_f32_e32 v4, v6, v4
	v_mul_f32_e32 v6, v5, v4
	v_fma_f32 v7, -v1, v6, v5
	v_fmac_f32_e32 v6, v7, v4
	v_fma_f32 v1, -v1, v6, v5
	v_div_fmas_f32 v1, v1, v4, v6
	v_div_fixup_f32 v1, v1, v2, v3
.LBB28_31:
	s_lshl_b32 s0, s18, 7
	s_ashr_i32 s1, s0, 31
	s_lshl_b64 s[0:1], s[0:1], 2
	s_add_u32 s0, s14, s0
	s_addc_u32 s1, s15, s1
	v_lshlrev_b32_e32 v0, 2, v0
	global_store_dword v0, v1, s[0:1]
	s_endpgm
	.section	.rodata,"a",@progbits
	.p2align	6, 0x0
	.amdhsa_kernel _ZL26flash_attn_combine_resultsILi128EEvPKfPK15HIP_vector_typeIfLj2EEPfi
		.amdhsa_group_segment_fixed_size 0
		.amdhsa_private_segment_fixed_size 0
		.amdhsa_kernarg_size 288
		.amdhsa_user_sgpr_count 2
		.amdhsa_user_sgpr_dispatch_ptr 0
		.amdhsa_user_sgpr_queue_ptr 0
		.amdhsa_user_sgpr_kernarg_segment_ptr 1
		.amdhsa_user_sgpr_dispatch_id 0
		.amdhsa_user_sgpr_kernarg_preload_length 0
		.amdhsa_user_sgpr_kernarg_preload_offset 0
		.amdhsa_user_sgpr_private_segment_size 0
		.amdhsa_uses_dynamic_stack 0
		.amdhsa_enable_private_segment 0
		.amdhsa_system_sgpr_workgroup_id_x 1
		.amdhsa_system_sgpr_workgroup_id_y 1
		.amdhsa_system_sgpr_workgroup_id_z 1
		.amdhsa_system_sgpr_workgroup_info 0
		.amdhsa_system_vgpr_workitem_id 0
		.amdhsa_next_free_vgpr 59
		.amdhsa_next_free_sgpr 26
		.amdhsa_accum_offset 60
		.amdhsa_reserve_vcc 1
		.amdhsa_float_round_mode_32 0
		.amdhsa_float_round_mode_16_64 0
		.amdhsa_float_denorm_mode_32 3
		.amdhsa_float_denorm_mode_16_64 3
		.amdhsa_dx10_clamp 1
		.amdhsa_ieee_mode 1
		.amdhsa_fp16_overflow 0
		.amdhsa_tg_split 0
		.amdhsa_exception_fp_ieee_invalid_op 0
		.amdhsa_exception_fp_denorm_src 0
		.amdhsa_exception_fp_ieee_div_zero 0
		.amdhsa_exception_fp_ieee_overflow 0
		.amdhsa_exception_fp_ieee_underflow 0
		.amdhsa_exception_fp_ieee_inexact 0
		.amdhsa_exception_int_div_zero 0
	.end_amdhsa_kernel
	.section	.text._ZL26flash_attn_combine_resultsILi128EEvPKfPK15HIP_vector_typeIfLj2EEPfi,"axG",@progbits,_ZL26flash_attn_combine_resultsILi128EEvPKfPK15HIP_vector_typeIfLj2EEPfi,comdat
.Lfunc_end28:
	.size	_ZL26flash_attn_combine_resultsILi128EEvPKfPK15HIP_vector_typeIfLj2EEPfi, .Lfunc_end28-_ZL26flash_attn_combine_resultsILi128EEvPKfPK15HIP_vector_typeIfLj2EEPfi
                                        ; -- End function
	.set _ZL26flash_attn_combine_resultsILi128EEvPKfPK15HIP_vector_typeIfLj2EEPfi.num_vgpr, 59
	.set _ZL26flash_attn_combine_resultsILi128EEvPKfPK15HIP_vector_typeIfLj2EEPfi.num_agpr, 0
	.set _ZL26flash_attn_combine_resultsILi128EEvPKfPK15HIP_vector_typeIfLj2EEPfi.numbered_sgpr, 26
	.set _ZL26flash_attn_combine_resultsILi128EEvPKfPK15HIP_vector_typeIfLj2EEPfi.num_named_barrier, 0
	.set _ZL26flash_attn_combine_resultsILi128EEvPKfPK15HIP_vector_typeIfLj2EEPfi.private_seg_size, 0
	.set _ZL26flash_attn_combine_resultsILi128EEvPKfPK15HIP_vector_typeIfLj2EEPfi.uses_vcc, 1
	.set _ZL26flash_attn_combine_resultsILi128EEvPKfPK15HIP_vector_typeIfLj2EEPfi.uses_flat_scratch, 0
	.set _ZL26flash_attn_combine_resultsILi128EEvPKfPK15HIP_vector_typeIfLj2EEPfi.has_dyn_sized_stack, 0
	.set _ZL26flash_attn_combine_resultsILi128EEvPKfPK15HIP_vector_typeIfLj2EEPfi.has_recursion, 0
	.set _ZL26flash_attn_combine_resultsILi128EEvPKfPK15HIP_vector_typeIfLj2EEPfi.has_indirect_call, 0
	.section	.AMDGPU.csdata,"",@progbits
; Kernel info:
; codeLenInByte = 2924
; TotalNumSgprs: 32
; NumVgprs: 59
; NumAgprs: 0
; TotalNumVgprs: 59
; ScratchSize: 0
; MemoryBound: 0
; FloatMode: 240
; IeeeMode: 1
; LDSByteSize: 0 bytes/workgroup (compile time only)
; SGPRBlocks: 3
; VGPRBlocks: 7
; NumSGPRsForWavesPerEU: 32
; NumVGPRsForWavesPerEU: 59
; AccumOffset: 60
; Occupancy: 8
; WaveLimiterHint : 0
; COMPUTE_PGM_RSRC2:SCRATCH_EN: 0
; COMPUTE_PGM_RSRC2:USER_SGPR: 2
; COMPUTE_PGM_RSRC2:TRAP_HANDLER: 0
; COMPUTE_PGM_RSRC2:TGID_X_EN: 1
; COMPUTE_PGM_RSRC2:TGID_Y_EN: 1
; COMPUTE_PGM_RSRC2:TGID_Z_EN: 1
; COMPUTE_PGM_RSRC2:TIDIG_COMP_CNT: 0
; COMPUTE_PGM_RSRC3_GFX90A:ACCUM_OFFSET: 14
; COMPUTE_PGM_RSRC3_GFX90A:TG_SPLIT: 0
	.section	.text._ZL18flash_attn_ext_f16ILi192ELi128ELi4ELi8ELb0ELb0EEvPKcS1_S1_S1_S1_PKiPfP15HIP_vector_typeIfLj2EEffffjfiS5_IjLj3EEiiiiiiiiiiiliiliiiiil,"axG",@progbits,_ZL18flash_attn_ext_f16ILi192ELi128ELi4ELi8ELb0ELb0EEvPKcS1_S1_S1_S1_PKiPfP15HIP_vector_typeIfLj2EEffffjfiS5_IjLj3EEiiiiiiiiiiiliiliiiiil,comdat
	.globl	_ZL18flash_attn_ext_f16ILi192ELi128ELi4ELi8ELb0ELb0EEvPKcS1_S1_S1_S1_PKiPfP15HIP_vector_typeIfLj2EEffffjfiS5_IjLj3EEiiiiiiiiiiiliiliiiiil ; -- Begin function _ZL18flash_attn_ext_f16ILi192ELi128ELi4ELi8ELb0ELb0EEvPKcS1_S1_S1_S1_PKiPfP15HIP_vector_typeIfLj2EEffffjfiS5_IjLj3EEiiiiiiiiiiiliiliiiiil
	.p2align	8
	.type	_ZL18flash_attn_ext_f16ILi192ELi128ELi4ELi8ELb0ELb0EEvPKcS1_S1_S1_S1_PKiPfP15HIP_vector_typeIfLj2EEffffjfiS5_IjLj3EEiiiiiiiiiiiliiliiiiil,@function
_ZL18flash_attn_ext_f16ILi192ELi128ELi4ELi8ELb0ELb0EEvPKcS1_S1_S1_S1_PKiPfP15HIP_vector_typeIfLj2EEffffjfiS5_IjLj3EEiiiiiiiiiiiliiliiiiil: ; @_ZL18flash_attn_ext_f16ILi192ELi128ELi4ELi8ELb0ELb0EEvPKcS1_S1_S1_S1_PKiPfP15HIP_vector_typeIfLj2EEffffjfiS5_IjLj3EEiiiiiiiiiiiliiliiiiil
; %bb.0:
	s_load_dwordx2 s[4:5], s[0:1], 0x80
	s_load_dwordx4 s[36:39], s[0:1], 0x64
	s_load_dword s33, s[0:1], 0xd0
	s_mov_b32 s6, 0
	s_waitcnt lgkmcnt(0)
	s_abs_i32 s3, s5
	v_cvt_f32_u32_e32 v1, s3
	s_sub_i32 s9, 0, s3
	s_abs_i32 s8, s37
	s_xor_b32 s7, s37, s5
	v_rcp_iflag_f32_e32 v1, v1
	s_ashr_i32 s7, s7, 31
	v_mul_f32_e32 v1, 0x4f7ffffe, v1
	v_cvt_u32_f32_e32 v1, v1
	s_nop 0
	v_readfirstlane_b32 s10, v1
	s_mul_i32 s9, s9, s10
	s_mul_hi_u32 s9, s10, s9
	s_add_i32 s10, s10, s9
	s_mul_hi_u32 s9, s8, s10
	s_mul_i32 s10, s9, s3
	s_sub_i32 s8, s8, s10
	s_add_i32 s11, s9, 1
	s_sub_i32 s10, s8, s3
	s_cmp_ge_u32 s8, s3
	s_cselect_b32 s9, s11, s9
	s_cselect_b32 s8, s10, s8
	s_add_i32 s10, s9, 1
	s_cmp_ge_u32 s8, s3
	s_cselect_b32 s3, s10, s9
	s_add_i32 s4, s4, 63
	s_xor_b32 s3, s3, s7
	s_ashr_i32 s8, s4, 31
	s_sub_i32 s3, s3, s7
	s_lshr_b32 s7, s8, 26
	s_add_i32 s4, s4, s7
	s_ashr_i32 s84, s4, 6
	s_add_i32 s4, s36, 3
	s_lshr_b32 s80, s4, 2
	s_add_i32 s4, s3, 7
	s_ashr_i32 s7, s4, 31
	s_lshr_b32 s7, s7, 29
	s_add_i32 s4, s4, s7
	s_ashr_i32 s4, s4, 3
	s_mul_i32 s81, s80, s84
	s_mul_i32 s82, s81, s4
	;; [unrolled: 1-line block ×4, first 2 shown]
	s_ashr_i32 s11, s10, 31
	s_mul_i32 s4, s11, s2
	s_mul_hi_u32 s5, s10, s2
	s_add_i32 s7, s5, s4
	s_cmp_lg_u64 s[6:7], 0
	s_mul_i32 s6, s10, s2
	s_cbranch_scc0 .LBB29_361
; %bb.1:
	s_add_u32 s4, s33, 0
	s_addc_u32 s5, 0, 0
	s_xor_b64 s[8:9], s[4:5], 0
	v_cvt_f32_u32_e32 v1, s8
	v_cvt_f32_u32_e32 v2, s9
	s_sub_u32 s14, 0, s8
	s_subb_u32 s15, 0, s9
	v_fmamk_f32 v1, v2, 0x4f800000, v1
	v_rcp_f32_e32 v1, v1
	s_nop 0
	v_mul_f32_e32 v1, 0x5f7ffffc, v1
	v_mul_f32_e32 v2, 0x2f800000, v1
	v_trunc_f32_e32 v2, v2
	v_fmamk_f32 v1, v2, 0xcf800000, v1
	v_cvt_u32_f32_e32 v2, v2
	v_cvt_u32_f32_e32 v1, v1
	v_readfirstlane_b32 s16, v2
	v_readfirstlane_b32 s12, v1
	s_mul_i32 s13, s14, s16
	s_mul_hi_u32 s18, s14, s12
	s_mul_i32 s17, s15, s12
	s_add_i32 s13, s18, s13
	s_add_i32 s13, s13, s17
	s_mul_i32 s19, s14, s12
	s_mul_i32 s18, s12, s13
	s_mul_hi_u32 s20, s12, s19
	s_mul_hi_u32 s17, s12, s13
	s_add_u32 s18, s20, s18
	s_addc_u32 s17, 0, s17
	s_mul_hi_u32 s21, s16, s19
	s_mul_i32 s19, s16, s19
	s_add_u32 s18, s18, s19
	s_mul_hi_u32 s20, s16, s13
	s_addc_u32 s17, s17, s21
	s_addc_u32 s18, s20, 0
	s_mul_i32 s13, s16, s13
	s_add_u32 s13, s17, s13
	s_addc_u32 s17, 0, s18
	s_add_u32 s18, s12, s13
	s_cselect_b64 s[12:13], -1, 0
	s_cmp_lg_u64 s[12:13], 0
	s_addc_u32 s16, s16, s17
	s_mul_i32 s12, s14, s16
	s_mul_hi_u32 s13, s14, s18
	s_add_i32 s12, s13, s12
	s_mul_i32 s15, s15, s18
	s_add_i32 s12, s12, s15
	s_mul_i32 s14, s14, s18
	s_mul_hi_u32 s15, s16, s14
	s_mul_i32 s17, s16, s14
	s_mul_i32 s20, s18, s12
	s_mul_hi_u32 s14, s18, s14
	s_mul_hi_u32 s19, s18, s12
	s_add_u32 s14, s14, s20
	s_addc_u32 s19, 0, s19
	s_add_u32 s14, s14, s17
	s_mul_hi_u32 s13, s16, s12
	s_addc_u32 s14, s19, s15
	s_addc_u32 s13, s13, 0
	s_mul_i32 s12, s16, s12
	s_add_u32 s12, s14, s12
	s_addc_u32 s14, 0, s13
	s_add_u32 s17, s18, s12
	s_cselect_b64 s[12:13], -1, 0
	s_cmp_lg_u64 s[12:13], 0
	s_addc_u32 s16, s16, s14
	s_ashr_i32 s12, s7, 31
	s_add_u32 s14, s6, s12
	s_mov_b32 s13, s12
	s_addc_u32 s15, s7, s12
	s_xor_b64 s[14:15], s[14:15], s[12:13]
	s_mul_i32 s18, s14, s16
	s_mul_hi_u32 s19, s14, s17
	s_mul_hi_u32 s7, s14, s16
	s_add_u32 s18, s19, s18
	s_addc_u32 s7, 0, s7
	s_mul_hi_u32 s20, s15, s17
	s_mul_i32 s17, s15, s17
	s_add_u32 s17, s18, s17
	s_mul_hi_u32 s19, s15, s16
	s_addc_u32 s7, s7, s20
	s_addc_u32 s17, s19, 0
	s_mul_i32 s16, s15, s16
	s_add_u32 s7, s7, s16
	s_addc_u32 s20, 0, s17
	s_mul_i32 s16, s8, s20
	s_mul_hi_u32 s17, s8, s7
	s_add_i32 s16, s17, s16
	s_mul_i32 s17, s9, s7
	s_add_i32 s21, s16, s17
	s_sub_i32 s18, s15, s21
	s_mul_i32 s16, s8, s7
	s_sub_u32 s14, s14, s16
	s_cselect_b64 s[16:17], -1, 0
	s_cmp_lg_u64 s[16:17], 0
	s_subb_u32 s22, s18, s9
	s_sub_u32 s23, s14, s8
	s_cselect_b64 s[18:19], -1, 0
	s_cmp_lg_u64 s[18:19], 0
	s_subb_u32 s18, s22, 0
	s_cmp_ge_u32 s18, s9
	s_cselect_b32 s19, -1, 0
	s_cmp_ge_u32 s23, s8
	s_cselect_b32 s22, -1, 0
	s_cmp_eq_u32 s18, s9
	s_cselect_b32 s18, s22, s19
	s_add_u32 s19, s7, 1
	s_addc_u32 s22, s20, 0
	s_add_u32 s23, s7, 2
	s_addc_u32 s24, s20, 0
	s_cmp_lg_u32 s18, 0
	s_cselect_b32 s18, s23, s19
	s_cselect_b32 s19, s24, s22
	s_cmp_lg_u64 s[16:17], 0
	s_subb_u32 s15, s15, s21
	s_cmp_ge_u32 s15, s9
	s_cselect_b32 s16, -1, 0
	s_cmp_ge_u32 s14, s8
	s_cselect_b32 s8, -1, 0
	s_cmp_eq_u32 s15, s9
	s_cselect_b32 s8, s8, s16
	s_cmp_lg_u32 s8, 0
	s_cselect_b32 s9, s19, s20
	s_cselect_b32 s8, s18, s7
	s_xor_b64 s[12:13], s[12:13], 0
	s_xor_b64 s[8:9], s[8:9], s[12:13]
	s_sub_u32 s56, s8, s12
	s_load_dwordx2 s[54:55], s[0:1], 0x74
	v_cvt_f32_u32_e32 v1, s33
	s_cbranch_execnz .LBB29_3
.LBB29_2:
	v_rcp_iflag_f32_e32 v2, v1
	s_sub_i32 s4, 0, s33
	v_mul_f32_e32 v2, 0x4f7ffffe, v2
	v_cvt_u32_f32_e32 v2, v2
	s_nop 0
	v_readfirstlane_b32 s5, v2
	s_mul_i32 s4, s4, s5
	s_mul_hi_u32 s4, s5, s4
	s_add_i32 s5, s5, s4
	s_mul_hi_u32 s4, s6, s5
	s_mul_i32 s7, s4, s33
	s_sub_i32 s6, s6, s7
	s_add_i32 s5, s4, 1
	s_sub_i32 s7, s6, s33
	s_cmp_ge_u32 s6, s33
	s_cselect_b32 s4, s5, s4
	s_cselect_b32 s6, s7, s6
	s_add_i32 s5, s4, 1
	s_cmp_ge_u32 s6, s33
	s_cselect_b32 s56, s5, s4
.LBB29_3:
	s_add_i32 s4, s2, 1
	s_mul_i32 s5, s11, s4
	s_mul_hi_u32 s6, s10, s4
	s_add_i32 s9, s6, s5
	s_mov_b32 s8, 0
	s_cmp_lg_u64 s[8:9], 0
	s_mul_i32 s8, s10, s4
	s_cbranch_scc0 .LBB29_362
; %bb.4:
	s_add_u32 s4, s33, 0
	s_addc_u32 s5, 0, 0
	s_xor_b64 s[6:7], s[4:5], 0
	v_cvt_f32_u32_e32 v2, s6
	v_cvt_f32_u32_e32 v3, s7
	s_sub_u32 s12, 0, s6
	s_subb_u32 s13, 0, s7
	v_fmamk_f32 v2, v3, 0x4f800000, v2
	v_rcp_f32_e32 v2, v2
	s_nop 0
	v_mul_f32_e32 v2, 0x5f7ffffc, v2
	v_mul_f32_e32 v3, 0x2f800000, v2
	v_trunc_f32_e32 v3, v3
	v_fmamk_f32 v2, v3, 0xcf800000, v2
	v_cvt_u32_f32_e32 v3, v3
	v_cvt_u32_f32_e32 v2, v2
	v_readfirstlane_b32 s14, v3
	v_readfirstlane_b32 s10, v2
	s_mul_i32 s11, s12, s14
	s_mul_hi_u32 s16, s12, s10
	s_mul_i32 s15, s13, s10
	s_add_i32 s11, s16, s11
	s_add_i32 s11, s11, s15
	s_mul_i32 s17, s12, s10
	s_mul_i32 s16, s10, s11
	s_mul_hi_u32 s18, s10, s17
	s_mul_hi_u32 s15, s10, s11
	s_add_u32 s16, s18, s16
	s_addc_u32 s15, 0, s15
	s_mul_hi_u32 s19, s14, s17
	s_mul_i32 s17, s14, s17
	s_add_u32 s16, s16, s17
	s_mul_hi_u32 s18, s14, s11
	s_addc_u32 s15, s15, s19
	s_addc_u32 s16, s18, 0
	s_mul_i32 s11, s14, s11
	s_add_u32 s11, s15, s11
	s_addc_u32 s15, 0, s16
	s_add_u32 s16, s10, s11
	s_cselect_b64 s[10:11], -1, 0
	s_cmp_lg_u64 s[10:11], 0
	s_addc_u32 s14, s14, s15
	s_mul_i32 s10, s12, s14
	s_mul_hi_u32 s11, s12, s16
	s_add_i32 s10, s11, s10
	s_mul_i32 s13, s13, s16
	s_add_i32 s10, s10, s13
	s_mul_i32 s12, s12, s16
	s_mul_hi_u32 s13, s14, s12
	s_mul_i32 s15, s14, s12
	s_mul_i32 s18, s16, s10
	s_mul_hi_u32 s12, s16, s12
	s_mul_hi_u32 s17, s16, s10
	s_add_u32 s12, s12, s18
	s_addc_u32 s17, 0, s17
	s_add_u32 s12, s12, s15
	s_mul_hi_u32 s11, s14, s10
	s_addc_u32 s12, s17, s13
	s_addc_u32 s11, s11, 0
	s_mul_i32 s10, s14, s10
	s_add_u32 s10, s12, s10
	s_addc_u32 s12, 0, s11
	s_add_u32 s15, s16, s10
	s_cselect_b64 s[10:11], -1, 0
	s_cmp_lg_u64 s[10:11], 0
	s_addc_u32 s14, s14, s12
	s_ashr_i32 s10, s9, 31
	s_add_u32 s12, s8, s10
	s_mov_b32 s11, s10
	s_addc_u32 s13, s9, s10
	s_xor_b64 s[12:13], s[12:13], s[10:11]
	s_mul_i32 s16, s12, s14
	s_mul_hi_u32 s17, s12, s15
	s_mul_hi_u32 s9, s12, s14
	s_add_u32 s16, s17, s16
	s_addc_u32 s9, 0, s9
	s_mul_hi_u32 s18, s13, s15
	s_mul_i32 s15, s13, s15
	s_add_u32 s15, s16, s15
	s_mul_hi_u32 s17, s13, s14
	s_addc_u32 s9, s9, s18
	s_addc_u32 s15, s17, 0
	s_mul_i32 s14, s13, s14
	s_add_u32 s9, s9, s14
	s_addc_u32 s18, 0, s15
	s_mul_i32 s14, s6, s18
	s_mul_hi_u32 s15, s6, s9
	s_add_i32 s14, s15, s14
	s_mul_i32 s15, s7, s9
	s_add_i32 s19, s14, s15
	s_sub_i32 s16, s13, s19
	s_mul_i32 s14, s6, s9
	s_sub_u32 s12, s12, s14
	s_cselect_b64 s[14:15], -1, 0
	s_cmp_lg_u64 s[14:15], 0
	s_subb_u32 s20, s16, s7
	s_sub_u32 s21, s12, s6
	s_cselect_b64 s[16:17], -1, 0
	s_cmp_lg_u64 s[16:17], 0
	s_subb_u32 s16, s20, 0
	s_cmp_ge_u32 s16, s7
	s_cselect_b32 s17, -1, 0
	s_cmp_ge_u32 s21, s6
	s_cselect_b32 s20, -1, 0
	s_cmp_eq_u32 s16, s7
	s_cselect_b32 s16, s20, s17
	s_add_u32 s17, s9, 1
	s_addc_u32 s20, s18, 0
	s_add_u32 s21, s9, 2
	s_addc_u32 s22, s18, 0
	s_cmp_lg_u32 s16, 0
	s_cselect_b32 s16, s21, s17
	s_cselect_b32 s17, s22, s20
	s_cmp_lg_u64 s[14:15], 0
	s_subb_u32 s13, s13, s19
	s_cmp_ge_u32 s13, s7
	s_cselect_b32 s14, -1, 0
	s_cmp_ge_u32 s12, s6
	s_cselect_b32 s6, -1, 0
	s_cmp_eq_u32 s13, s7
	s_cselect_b32 s6, s6, s14
	s_cmp_lg_u32 s6, 0
	s_cselect_b32 s7, s17, s18
	s_cselect_b32 s6, s16, s9
	s_xor_b64 s[10:11], s[10:11], 0
	s_xor_b64 s[6:7], s[6:7], s[10:11]
	s_sub_u32 s60, s6, s10
	s_load_dwordx2 s[44:45], s[0:1], 0x5c
	s_cbranch_execnz .LBB29_6
.LBB29_5:
	v_rcp_iflag_f32_e32 v1, v1
	s_sub_i32 s4, 0, s33
	v_mul_f32_e32 v1, 0x4f7ffffe, v1
	v_cvt_u32_f32_e32 v1, v1
	s_nop 0
	v_readfirstlane_b32 s5, v1
	s_mul_i32 s4, s4, s5
	s_mul_hi_u32 s4, s5, s4
	s_add_i32 s5, s5, s4
	s_mul_hi_u32 s4, s8, s5
	s_mul_i32 s6, s4, s33
	s_sub_i32 s6, s8, s6
	s_add_i32 s5, s4, 1
	s_sub_i32 s7, s6, s33
	s_cmp_ge_u32 s6, s33
	s_cselect_b32 s4, s5, s4
	s_cselect_b32 s6, s7, s6
	s_add_i32 s5, s4, 1
	s_cmp_ge_u32 s6, s33
	s_cselect_b32 s60, s5, s4
.LBB29_6:
	s_abs_i32 s85, s84
	v_cvt_f32_u32_e32 v1, s85
	s_load_dwordx16 s[16:31], s[0:1], 0x0
	s_load_dword s6, s[0:1], 0x40
	s_load_dwordx2 s[52:53], s[0:1], 0x8c
	s_load_dwordx4 s[40:43], s[0:1], 0x98
	s_load_dwordx2 s[48:49], s[0:1], 0xa8
	s_load_dwordx2 s[58:59], s[0:1], 0xb8
	;; [unrolled: 1-line block ×3, first 2 shown]
	s_waitcnt lgkmcnt(0)
	s_ashr_i32 s38, s52, 2
	s_sub_i32 s4, 0, s85
	v_rcp_iflag_f32_e32 v1, v1
	s_abs_i32 s1, s56
	s_ashr_i32 s57, s39, 3
	s_ashr_i32 s61, s54, 3
	v_mul_f32_e32 v1, 0x4f7ffffe, v1
	v_cvt_u32_f32_e32 v1, v1
	s_ashr_i32 s46, s59, 1
	s_ashr_i32 s34, s42, 2
	;; [unrolled: 1-line block ×3, first 2 shown]
	v_readfirstlane_b32 s52, v1
	s_mul_i32 s4, s4, s52
	s_mul_hi_u32 s4, s52, s4
	s_add_i32 s52, s52, s4
	s_mul_hi_u32 s4, s1, s52
	s_mul_i32 s4, s4, s85
	s_sub_i32 s1, s1, s4
	s_ashr_i32 s42, s84, 31
	s_sub_i32 s4, s1, s85
	s_cmp_ge_u32 s1, s85
	s_cselect_b32 s1, s4, s1
	s_sub_i32 s4, s1, s85
	s_cmp_ge_u32 s1, s85
	s_cselect_b32 s1, s4, s1
	s_xor_b32 s1, s1, s0
	s_sub_i32 s76, s1, s0
	s_sub_i32 s0, s60, s56
	s_add_i32 s4, s0, s76
	s_min_i32 s98, s84, s4
	s_cmp_gt_i32 s60, s56
	s_cselect_b64 s[10:11], -1, 0
	s_cmp_le_i32 s60, s56
	s_cselect_b64 s[0:1], -1, 0
	s_cmp_gt_i32 s84, s4
	v_cvt_f16_f32_e32 v83, s6
	s_cselect_b64 s[4:5], -1, 0
	s_or_b64 s[0:1], s[4:5], s[0:1]
	v_bfe_u32 v61, v0, 10, 10
	s_mov_b32 s63, 0
	s_and_b64 vcc, exec, s[0:1]
	v_bfe_u32 v33, v0, 10, 3
	v_lshlrev_b32_e32 v71, 3, v61
	v_lshlrev_b32_e32 v65, 4, v61
	v_lshrrev_b32_e32 v85, 10, v0
	v_add_u32_e32 v81, 4, v61
	v_add_u32_e32 v79, 8, v61
	;; [unrolled: 1-line block ×7, first 2 shown]
	v_mbcnt_lo_u32_b32 v73, -1, 0
	s_cbranch_vccnz .LBB29_305
; %bb.7:
	v_bfe_u32 v3, v0, 5, 5
	v_lshl_add_u32 v87, v61, 1, v3
	v_and_b32_e32 v3, 0x7f0, v71
	s_movk_i32 s14, 0x190
	v_and_b32_e32 v5, 15, v0
	v_lshrrev_b32_e32 v8, 1, v0
	v_and_b32_e32 v30, 0x3ff, v0
	v_mad_u32_u24 v4, v3, s14, 0
	v_mul_u32_u24_e32 v6, 0x190, v5
	v_and_b32_e32 v8, 0x78, v8
	v_bfe_u32 v7, v0, 3, 7
	v_add3_u32 v89, v4, v6, v8
	v_lshlrev_b32_e32 v6, 1, v30
	v_lshlrev_b32_e32 v2, 2, v30
	v_and_b32_e32 v32, 62, v6
	v_add_u32_e32 v7, v71, v7
	v_mul_u32_u24_e32 v4, 0x90, v87
	v_lshlrev_b32_e32 v6, 1, v32
	v_add_u32_e32 v9, 32, v7
	v_and_b32_e32 v34, 28, v2
	v_add3_u32 v91, 0, v4, v6
	v_and_b32_e32 v4, 16, v65
	v_mul_u32_u24_e32 v10, 0x110, v9
	v_lshlrev_b32_e32 v12, 2, v34
	v_mul_u32_u24_e32 v6, 0x110, v5
	v_add3_u32 v95, 0, v10, v12
	v_mul_u32_u24_e32 v10, 0x110, v4
	v_add_u32_e32 v107, 0, v8
	v_add3_u32 v154, v107, v6, v10
	v_bfe_u32 v6, v0, 2, 8
	v_and_b32_e32 v8, 60, v6
	v_and_or_b32 v3, v0, 8, v3
	s_movk_i32 s0, 0x90
	v_add_u32_e32 v10, v8, v4
	v_lshrrev_b32_e32 v3, 3, v3
	v_add_u16_e32 v4, v8, v4
	v_mad_u32_u24 v3, v3, s0, 0
	v_lshrrev_b16_e32 v4, 1, v4
	v_lshl_add_u32 v155, v4, 2, v3
	v_and_b32_e32 v4, 8, v71
	v_or_b32_e32 v6, 3, v6
	s_movk_i32 s0, 0x220
	v_lshl_add_u32 v3, v10, 1, v3
	v_mul_u32_u24_e32 v8, 0x110, v8
	v_mul_u32_u24_e32 v6, 0x110, v6
	v_mad_u32_u24 v4, v4, s0, 0
	v_lshlrev_b32_e32 v10, 1, v5
	v_add3_u32 v156, v4, v8, v10
	v_add3_u32 v157, v4, v6, v10
	v_bfe_u32 v4, v0, 10, 1
	v_cmp_eq_u32_e64 s[0:1], 0, v4
	v_and_b32_e32 v4, 0x400, v0
	v_cmp_ne_u32_e64 s[12:13], 0, v4
	v_bfe_u32 v4, v85, 1, 9
	v_add_u32_e32 v6, 2, v4
	v_lshlrev_b32_e32 v8, 1, v6
	v_and_b32_e32 v10, 15, v6
	s_movk_i32 s15, 0x1e0
	v_mul_u32_u24_e32 v11, 0x110, v7
	v_and_or_b32 v8, v8, s15, v10
	v_add_u32_e32 v10, 4, v4
	v_add3_u32 v93, 0, v11, v12
	v_lshlrev_b32_e32 v11, 1, v10
	v_and_b32_e32 v12, 15, v10
	v_and_or_b32 v11, v11, s15, v12
	v_add_u32_e32 v12, 6, v4
	v_lshlrev_b32_e32 v13, 1, v12
	v_and_b32_e32 v14, 15, v12
	v_and_or_b32 v13, v13, s15, v14
	v_add_u32_e32 v14, 8, v4
	;; [unrolled: 4-line block ×7, first 2 shown]
	v_lshlrev_b32_e32 v25, 1, v24
	v_and_b32_e32 v26, 15, v24
	s_cmp_eq_u64 s[24:25], 0
	v_and_or_b32 v25, v25, s15, v26
	v_add_u32_e32 v26, 22, v4
	s_cselect_b64 s[64:65], -1, 0
	s_cmp_lg_u64 s[26:27], 0
	v_lshlrev_b32_e32 v27, 1, v26
	v_and_b32_e32 v28, 15, v26
	s_cselect_b64 s[66:67], -1, 0
	s_lshl_b32 s62, s2, 5
	v_and_or_b32 v27, v27, s15, v28
	v_add_u32_e32 v28, 24, v4
	s_ashr_i32 s47, s46, 31
	s_ashr_i32 s39, s38, 31
	s_lshl_b32 s6, s38, 4
	s_ashr_i32 s35, s34, 31
	s_lshl_b32 s7, s34, 4
	s_lshl_b64 s[4:5], s[62:63], 3
	v_lshlrev_b32_e32 v29, 1, v28
	v_and_b32_e32 v36, 15, v28
	v_add_u32_e32 v90, 26, v4
	s_add_u32 s10, s30, s4
	v_and_or_b32 v29, v29, s15, v36
	v_lshlrev_b32_e32 v36, 1, v90
	v_and_b32_e32 v37, 15, v90
	s_addc_u32 s11, s31, s5
	s_abs_i32 s59, s83
	v_and_or_b32 v51, v36, s15, v37
	v_cvt_f32_u32_e32 v36, s59
	s_abs_i32 s86, s82
	v_cvt_f32_u32_e32 v39, s86
	v_add_u32_e32 v94, 28, v4
	v_rcp_iflag_f32_e32 v36, v36
	v_lshlrev_b32_e32 v37, 1, v94
	v_and_b32_e32 v38, 15, v94
	v_add_u32_e32 v96, 30, v4
	v_mul_f32_e32 v36, 0x4f7ffffe, v36
	v_cvt_u32_f32_e32 v36, v36
	v_and_or_b32 v60, v37, s15, v38
	v_lshlrev_b32_e32 v37, 1, v96
	v_and_b32_e32 v38, 15, v96
	v_and_or_b32 v62, v37, s15, v38
	v_rcp_iflag_f32_e32 v37, v39
	s_sub_i32 s4, 0, s59
	v_mul_lo_u32 v38, s4, v36
	v_mul_hi_u32 v38, v36, v38
	v_add_u32_e32 v158, v36, v38
	v_mul_f32_e32 v36, 0x4f7ffffe, v37
	v_cvt_u32_f32_e32 v36, v36
	s_abs_i32 s88, s58
	v_cvt_f32_u32_e32 v39, s88
	s_sub_i32 s4, 0, s86
	v_mul_lo_u32 v38, s4, v36
	v_mul_hi_u32 v38, v36, v38
	v_add_u32_e32 v159, v36, v38
	v_rcp_iflag_f32_e32 v36, v39
	s_abs_i32 s87, s81
	v_add_u32_e32 v161, 0, v2
	v_or_b32_e32 v2, v71, v30
	v_mul_f32_e32 v36, 0x4f7ffffe, v36
	v_cvt_u32_f32_e32 v36, v36
	v_cvt_f32_u32_e32 v37, s87
	v_mul_lo_u32 v48, s38, v7
	v_add_u32_e32 v163, 64, v3
	v_readfirstlane_b32 s62, v36
	v_lshlrev_b32_e32 v36, 3, v2
	v_bfe_u32 v2, v0, 4, 6
	v_lshl_add_u32 v2, v61, 2, v2
	v_mul_lo_u32 v40, s38, v2
	v_mul_u32_u24_e32 v7, 0x110, v2
	v_mul_lo_u32 v52, s34, v2
	v_add_u32_e32 v2, v65, v30
	v_mul_u32_u24_e32 v165, 0x110, v2
	v_and_b32_e32 v2, 31, v0
	v_rcp_iflag_f32_e32 v37, v37
	v_add_u32_e32 v164, 0x44, v3
	v_add_u32_e32 v3, v65, v2
	v_mul_u32_u24_e32 v166, 0x110, v3
	v_or_b32_e32 v3, v65, v5
	v_mul_u32_u24_e32 v167, 0x110, v3
	v_add_u32_e32 v3, 8, v87
	v_lshrrev_b32_e32 v168, 3, v3
	v_add_u32_e32 v3, 16, v87
	v_mul_f32_e32 v37, 0x4f7ffffe, v37
	v_lshrrev_b32_e32 v169, 3, v3
	v_add_u32_e32 v3, 24, v87
	v_cvt_u32_f32_e32 v37, v37
	v_lshlrev_b32_e32 v50, 4, v5
	v_lshrrev_b32_e32 v170, 3, v3
	v_add_u32_e32 v3, 16, v4
	v_add3_u32 v162, 0, v7, v50
	v_lshlrev_b32_e32 v7, 1, v3
	v_lshrrev_b32_e32 v180, 3, v3
	v_lshrrev_b32_e32 v3, 3, v28
	v_accvgpr_write_b32 a8, v3
	v_mul_u32_u24_e32 v3, 0x110, v29
	s_sub_i32 s4, 0, s87
	v_accvgpr_write_b32 a9, v3
	v_mul_u32_u24_e32 v3, 0x110, v51
	v_mul_lo_u32 v38, s4, v37
	v_accvgpr_write_b32 a10, v3
	v_mul_u32_u24_e32 v3, 0x110, v60
	v_mul_hi_u32 v38, v37, v38
	v_accvgpr_write_b32 a11, v3
	v_mul_u32_u24_e32 v3, 0x110, v62
	v_and_b32_e32 v190, 7, v87
	v_add_u32_e32 v160, v37, v38
	v_mov_b32_e32 v37, 0
	v_accvgpr_write_b32 a12, v3
	v_mul_lo_u32 v3, v190, s61
	v_and_b32_e32 v64, 7, v0
	v_add3_u32 v60, v3, v2, 64
	v_lshlrev_b32_e32 v2, 2, v2
	v_mov_b32_e32 v3, v37
	v_lshl_add_u64 v[66:67], s[10:11], 0, v[36:37]
	v_lshlrev_b32_e32 v36, 4, v64
	v_add_u32_e32 v191, 0, v2
	v_lshl_add_u64 v[62:63], s[22:23], 0, v[2:3]
	s_mov_b64 s[10:11], 0x100
	v_lshl_add_u64 v[2:3], s[18:19], 0, v[36:37]
	v_lshl_add_u64 v[68:69], v[2:3], 0, s[10:11]
	v_lshrrev_b32_e32 v2, 3, v90
	v_add_u32_e32 v42, s6, v40
	v_add_u32_e32 v54, s7, v52
	v_bfe_u32 v4, v61, 1, 4
	v_accvgpr_write_b32 a13, v2
	v_lshrrev_b32_e32 v2, 3, v94
	v_add_u32_e32 v44, s6, v42
	v_add_u32_e32 v56, s7, v54
	v_and_or_b32 v7, v7, s15, v4
	s_sub_i32 s15, 0, s88
	v_accvgpr_write_b32 a14, v2
	v_and_b32_e32 v2, 7, v94
	v_add_u32_e32 v46, s6, v44
	v_add_u32_e32 v58, s7, v56
	s_movk_i32 s68, 0xe0
	s_mul_i32 s15, s15, s62
	v_accvgpr_write_b32 a16, v2
	v_lshrrev_b32_e32 v2, 3, v96
	s_mov_b32 s77, 0x10001
	v_mul_lo_u32 v38, s38, v9
	v_ashrrev_i32_e32 v41, 31, v40
	v_ashrrev_i32_e32 v43, 31, v42
	;; [unrolled: 1-line block ×8, first 2 shown]
	v_and_or_b32 v4, v85, s68, v4
	s_mul_hi_u32 s15, s62, s15
	s_lshl_b64 s[68:69], s[46:47], 1
	v_and_b32_e32 v198, 7, v81
	v_and_b32_e32 v201, 7, v77
	;; [unrolled: 1-line block ×4, first 2 shown]
	v_mad_u32_u24 v210, v87, s14, v191
	v_accvgpr_write_b32 a15, v2
	v_and_b32_e32 v2, 7, v96
	s_mul_i32 s89, s36, s37
	v_cmp_gt_u32_e64 s[4:5], 4, v87
	v_ashrrev_i32_e32 v39, 31, v38
	v_ashrrev_i32_e32 v49, 31, v48
	v_cmp_gt_u32_e64 s[6:7], 16, v30
	v_cmp_gt_u32_e64 s[8:9], 32, v30
	v_mul_u32_u24_e32 v171, 0x110, v4
	v_mul_u32_u24_e32 v172, 0x110, v8
	;; [unrolled: 1-line block ×4, first 2 shown]
	v_lshrrev_b32_e32 v175, 3, v14
	v_mul_u32_u24_e32 v176, 0x110, v15
	v_mul_u32_u24_e32 v177, 0x110, v17
	;; [unrolled: 1-line block ×8, first 2 shown]
	s_ashr_i32 s90, s83, 31
	s_ashr_i32 s91, s82, 31
	;; [unrolled: 1-line block ×3, first 2 shown]
	s_add_i32 s93, s62, s15
	v_mov_b32_e32 v51, v37
	s_lshl_b64 s[70:71], s[34:35], 8
	s_lshl_b64 s[72:73], s[38:39], 8
	s_mov_b32 s47, 0x3fb8aa3b
	s_mov_b32 s69, 0xc2ce8ed0
	;; [unrolled: 1-line block ×5, first 2 shown]
	s_movk_i32 s97, 0x47
	s_mov_b64 s[74:75], 0x80
	v_mul_lo_u32 v192, v83, s77
	v_lshlrev_b32_e32 v70, 2, v5
	v_add_u32_e32 v193, 0x1100, v162
	v_add_u32_e32 v194, 0x2200, v162
	;; [unrolled: 1-line block ×3, first 2 shown]
	v_mul_u32_u24_e32 v196, 0x190, v61
	v_lshrrev_b32_e32 v197, 3, v81
	v_lshrrev_b32_e32 v199, 3, v79
	;; [unrolled: 1-line block ×8, first 2 shown]
	v_mul_u32_u24_e32 v209, 0x190, v87
	v_add_u32_e32 v211, 0xc80, v210
	v_add_u32_e32 v212, 0x1900, v210
	;; [unrolled: 1-line block ×3, first 2 shown]
	v_bfe_u32 v214, v85, 4, 6
	v_lshrrev_b32_e32 v215, 3, v6
	v_and_b32_e32 v72, 7, v6
	v_lshrrev_b32_e32 v216, 3, v10
	v_and_b32_e32 v74, 7, v10
	;; [unrolled: 2-line block ×9, first 2 shown]
	v_and_b32_e32 v90, 7, v90
	v_accvgpr_write_b32 a18, v2
	v_mbcnt_hi_u32_b32 v227, -1, v73
	v_mov_b32_e32 v228, 0x7f800000
	v_mad_u64_u32 v[96:97], s[10:11], v33, s61, v[30:31]
	v_mad_u64_u32 v[98:99], s[10:11], v198, s61, v[30:31]
	;; [unrolled: 1-line block ×5, first 2 shown]
	v_bfe_u32 v106, v61, 1, 3
	v_lshl_add_u64 v[108:109], v[52:53], 2, s[20:21]
	v_lshl_add_u64 v[110:111], v[54:55], 2, s[20:21]
	;; [unrolled: 1-line block ×8, first 2 shown]
	s_branch .LBB29_10
.LBB29_8:                               ;   in Loop: Header=BB29_10 Depth=1
	s_or_b64 exec, exec, s[76:77]
	s_barrier
.LBB29_9:                               ;   in Loop: Header=BB29_10 Depth=1
	s_add_i32 s10, s56, s84
	s_abs_i32 s14, s10
	s_mul_hi_u32 s15, s14, s52
	s_mul_i32 s15, s15, s85
	s_sub_i32 s14, s14, s15
	s_ashr_i32 s11, s10, 31
	s_sub_i32 s15, s14, s85
	s_cmp_ge_u32 s14, s85
	s_cselect_b32 s14, s15, s14
	s_sub_i32 s15, s14, s85
	s_cmp_ge_u32 s14, s85
	s_cselect_b32 s14, s15, s14
	s_xor_b32 s14, s14, s11
	s_sub_i32 s11, s11, s14
	s_add_i32 s56, s10, s11
	s_sub_i32 s14, s60, s56
	s_min_i32 s98, s84, s14
	s_cmp_gt_i32 s60, s56
	s_cselect_b64 s[10:11], -1, 0
	s_cmp_le_i32 s84, s14
	s_cselect_b64 s[14:15], -1, 0
	s_and_b64 s[14:15], s[14:15], s[10:11]
	s_mov_b32 s76, 0
	s_and_b64 vcc, exec, s[14:15]
	s_cbranch_vccz .LBB29_305
.LBB29_10:                              ; =>This Loop Header: Depth=1
                                        ;     Child Loop BB29_212 Depth 2
                                        ;     Child Loop BB29_64 Depth 2
	s_abs_i32 s11, s56
	v_mul_hi_u32 v2, s11, v158
	v_mul_lo_u32 v3, v2, s59
	v_sub_u32_e32 v3, s11, v3
	v_add_u32_e32 v4, 1, v2
	v_subrev_u32_e32 v5, s59, v3
	v_cmp_le_u32_e32 vcc, s59, v3
	s_ashr_i32 s10, s56, 31
	s_xor_b32 s10, s10, s90
	v_cndmask_b32_e32 v2, v2, v4, vcc
	v_cndmask_b32_e32 v3, v3, v5, vcc
	v_add_u32_e32 v4, 1, v2
	v_cmp_le_u32_e32 vcc, s59, v3
	s_nop 1
	v_cndmask_b32_e32 v2, v2, v4, vcc
	v_xor_b32_e32 v2, s10, v2
	v_subrev_u32_e32 v2, s10, v2
	v_mul_lo_u32 v3, v2, s83
	v_sub_u32_e32 v4, s56, v3
	v_sub_u32_e32 v5, 0, v4
	v_max_i32_e32 v5, v4, v5
	v_mul_hi_u32 v6, v5, v159
	v_mul_lo_u32 v7, v6, s86
	v_sub_u32_e32 v5, v5, v7
	v_add_u32_e32 v7, 1, v6
	v_subrev_u32_e32 v8, s86, v5
	v_cmp_le_u32_e32 vcc, s86, v5
	v_ashrrev_i32_e32 v3, 31, v4
	v_xor_b32_e32 v3, s91, v3
	v_cndmask_b32_e32 v6, v6, v7, vcc
	v_cndmask_b32_e32 v5, v5, v8, vcc
	v_add_u32_e32 v7, 1, v6
	v_cmp_le_u32_e32 vcc, s86, v5
	s_nop 1
	v_cndmask_b32_e32 v5, v6, v7, vcc
	v_xor_b32_e32 v5, v5, v3
	v_sub_u32_e32 v3, v5, v3
	v_mul_lo_u32 v5, v3, s82
	v_sub_u32_e32 v4, v4, v5
	v_sub_u32_e32 v6, 0, v4
	v_max_i32_e32 v6, v4, v6
	v_mul_hi_u32 v7, v6, v160
	v_mul_lo_u32 v8, v7, s87
	v_sub_u32_e32 v6, v6, v8
	v_add_u32_e32 v8, 1, v7
	v_subrev_u32_e32 v9, s87, v6
	v_cmp_le_u32_e32 vcc, s87, v6
	v_ashrrev_i32_e32 v5, 31, v4
	v_xor_b32_e32 v5, s92, v5
	v_cndmask_b32_e32 v7, v7, v8, vcc
	v_cndmask_b32_e32 v6, v6, v9, vcc
	v_add_u32_e32 v8, 1, v7
	v_cmp_le_u32_e32 vcc, s87, v6
	s_nop 1
	v_cndmask_b32_e32 v6, v7, v8, vcc
	v_xor_b32_e32 v6, v6, v5
	v_sub_u32_e32 v5, v6, v5
	v_mul_lo_u32 v6, v5, s81
	v_sub_u32_e32 v4, v4, v6
	v_sub_u32_e32 v7, 0, v4
	v_ashrrev_i32_e32 v6, 31, v4
	v_max_i32_e32 v4, v4, v7
	v_mul_hi_u32 v7, v4, s52
	v_mul_lo_u32 v8, v7, s85
	v_sub_u32_e32 v4, v4, v8
	v_add_u32_e32 v8, 1, v7
	v_subrev_u32_e32 v9, s85, v4
	v_cmp_le_u32_e32 vcc, s85, v4
	v_xor_b32_e32 v6, s42, v6
	s_nop 0
	v_cndmask_b32_e32 v7, v7, v8, vcc
	v_cndmask_b32_e32 v4, v4, v9, vcc
	v_add_u32_e32 v8, 1, v7
	v_cmp_le_u32_e32 vcc, s85, v4
	s_nop 1
	v_cndmask_b32_e32 v4, v7, v8, vcc
	v_xor_b32_e32 v4, v4, v6
	s_andn2_b64 vcc, exec, s[66:67]
	v_sub_u32_e32 v4, v4, v6
	s_cbranch_vccnz .LBB29_12
; %bb.11:                               ;   in Loop: Header=BB29_10 Depth=1
	v_mul_lo_u32 v6, v2, s80
	v_add_u32_e32 v6, v4, v6
	v_ashrrev_i32_e32 v7, 31, v6
	v_lshlrev_b64 v[6:7], 2, v[6:7]
	v_lshl_add_u64 v[6:7], s[26:27], 0, v[6:7]
	global_load_dword v6, v[6:7], off
	s_waitcnt vmcnt(0)
	v_readfirstlane_b32 s10, v6
	s_ashr_i32 s11, s10, 31
	s_lshr_b32 s11, s11, 26
	s_add_i32 s10, s10, s11
	s_ashr_i32 s10, s10, 6
	s_min_i32 s98, s98, s10
.LBB29_12:                              ;   in Loop: Header=BB29_10 Depth=1
	v_mul_lo_u32 v6, v3, s3
	v_lshlrev_b32_e32 v97, 3, v5
	v_add_u32_e32 v6, v97, v6
	v_mul_lo_u32 v8, v2, s55
	v_ashrrev_i32_e32 v9, 31, v8
	v_mul_lo_u32 v10, v6, s54
	v_lshl_add_u64 v[8:9], s[16:17], 0, v[8:9]
	v_ashrrev_i32_e32 v11, 31, v10
	v_ashrrev_i32_e32 v5, 31, v2
	v_lshl_add_u64 v[140:141], v[8:9], 0, v[10:11]
	v_mul_hi_u32 v7, s40, v2
	v_mul_lo_u32 v8, s40, v5
	v_add_u32_e32 v7, v7, v8
	v_mul_lo_u32 v8, s41, v2
	v_add_u32_e32 v135, v7, v8
	v_mul_lo_u32 v134, s40, v2
	v_mul_lo_u32 v136, v3, s53
	v_sub_u32_e32 v7, 0, v2
	v_lshl_add_u64 v[8:9], s[18:19], 0, v[134:135]
	v_ashrrev_i32_e32 v137, 31, v136
	v_max_i32_e32 v7, v2, v7
	v_lshl_add_u64 v[130:131], v[8:9], 0, v[136:137]
	v_mul_hi_u32 v8, v7, s93
	v_mul_lo_u32 v8, v8, s88
	v_sub_u32_e32 v7, v7, v8
	v_subrev_u32_e32 v8, s88, v7
	v_cmp_le_u32_e32 vcc, s88, v7
	v_mul_lo_u32 v142, s48, v2
	v_mul_lo_u32 v144, v3, s43
	v_cndmask_b32_e32 v7, v7, v8, vcc
	v_subrev_u32_e32 v8, s88, v7
	v_cmp_le_u32_e32 vcc, s88, v7
	v_ashrrev_i32_e32 v145, 31, v144
	v_lshlrev_b32_e32 v99, 2, v4
	v_cndmask_b32_e32 v7, v7, v8, vcc
	v_xor_b32_e32 v7, v7, v5
	v_sub_u32_e32 v7, v7, v5
	v_ashrrev_i32_e32 v8, 31, v7
	v_mul_lo_u32 v8, s50, v8
	v_mul_hi_u32 v9, s50, v7
	v_add_u32_e32 v8, v9, v8
	v_mul_lo_u32 v9, s51, v7
	v_mul_lo_u32 v138, s50, v7
	v_mul_lo_u32 v7, s89, v2
	v_add_u32_e32 v7, v6, v7
	v_lshlrev_b32_e32 v36, 6, v7
	v_mul_hi_u32 v7, s48, v2
	v_mul_lo_u32 v5, s48, v5
	v_add_u32_e32 v5, v7, v5
	v_mul_lo_u32 v7, s49, v2
	v_add_u32_e32 v143, v5, v7
	v_ashrrev_i32_e32 v7, 31, v6
	v_lshlrev_b64 v[2:3], 2, v[6:7]
	v_add_u32_e32 v139, v8, v9
	v_lshlrev_b64 v[8:9], 3, v[36:37]
	v_lshl_add_u64 v[2:3], s[24:25], 0, v[2:3]
	v_lshl_add_u64 v[124:125], s[28:29], 0, v[8:9]
	;; [unrolled: 1-line block ×3, first 2 shown]
	v_cndmask_b32_e64 v126, v2, 0, s[64:65]
	v_bfe_u32 v2, v85, 3, 7
	v_lshl_add_u64 v[132:133], s[22:23], 0, v[138:139]
	v_lshl_add_u64 v[128:129], v[8:9], 0, v[144:145]
	v_cndmask_b32_e64 v127, v3, 0, s[64:65]
	s_cmp_lg_u32 s76, 0
	v_add_u32_e32 v101, v2, v99
	v_or_b32_e32 v103, v33, v97
	s_cbranch_scc0 .LBB29_66
; %bb.13:                               ;   in Loop: Header=BB29_10 Depth=1
	v_cmp_le_i32_e64 s[10:11], s36, v101
	v_cmp_le_i32_e64 s[14:15], s3, v103
	v_cmp_gt_i32_e32 vcc, s3, v103
	s_or_b64 s[10:11], s[10:11], s[14:15]
	s_and_saveexec_b64 s[14:15], s[10:11]
	s_xor_b64 s[10:11], exec, s[14:15]
; %bb.14:                               ;   in Loop: Header=BB29_10 Depth=1
	v_add_u32_e32 v2, v161, v196
	ds_write_b32 v2, v37
; %bb.15:                               ;   in Loop: Header=BB29_10 Depth=1
	s_andn2_saveexec_b64 s[10:11], s[10:11]
	s_cbranch_execz .LBB29_17
; %bb.16:                               ;   in Loop: Header=BB29_10 Depth=1
	v_mad_u64_u32 v[2:3], s[14:15], v101, s57, v[96:97]
	v_ashrrev_i32_e32 v3, 31, v2
	v_lshl_add_u64 v[2:3], v[2:3], 3, v[140:141]
	global_load_dwordx2 v[2:3], v[2:3], off
	s_waitcnt vmcnt(0)
	v_cvt_pk_f16_f32 v2, v2, v3
	v_pk_mul_f16 v2, v2, v192
	v_add_u32_e32 v3, v161, v196
	ds_write_b32 v3, v2
.LBB29_17:                              ;   in Loop: Header=BB29_10 Depth=1
	s_or_b64 exec, exec, s[10:11]
	v_add_u32_e32 v2, v197, v99
	v_or_b32_e32 v3, v198, v97
	v_cmp_le_i32_e64 s[10:11], s36, v2
	v_cmp_le_i32_e64 s[14:15], s3, v3
	s_or_b64 s[10:11], s[10:11], s[14:15]
	s_and_saveexec_b64 s[14:15], s[10:11]
	s_xor_b64 s[10:11], exec, s[14:15]
; %bb.18:                               ;   in Loop: Header=BB29_10 Depth=1
	v_add_u32_e32 v2, v161, v196
	ds_write_b32 v2, v37 offset:1600
                                        ; implicit-def: $vgpr2
; %bb.19:                               ;   in Loop: Header=BB29_10 Depth=1
	s_andn2_saveexec_b64 s[10:11], s[10:11]
	s_cbranch_execz .LBB29_21
; %bb.20:                               ;   in Loop: Header=BB29_10 Depth=1
	v_mad_u64_u32 v[2:3], s[14:15], v2, s57, v[98:99]
	v_ashrrev_i32_e32 v3, 31, v2
	v_lshl_add_u64 v[2:3], v[2:3], 3, v[140:141]
	global_load_dwordx2 v[2:3], v[2:3], off
	s_waitcnt vmcnt(0)
	v_cvt_pk_f16_f32 v2, v2, v3
	v_pk_mul_f16 v2, v2, v192
	v_add_u32_e32 v3, v161, v196
	ds_write_b32 v3, v2 offset:1600
.LBB29_21:                              ;   in Loop: Header=BB29_10 Depth=1
	s_or_b64 exec, exec, s[10:11]
	v_add_u32_e32 v2, v199, v99
	v_cmp_le_i32_e64 s[10:11], s36, v2
	s_xor_b64 s[14:15], vcc, -1
	s_or_b64 s[10:11], s[10:11], s[14:15]
	s_and_saveexec_b64 s[78:79], s[10:11]
	s_xor_b64 s[10:11], exec, s[78:79]
; %bb.22:                               ;   in Loop: Header=BB29_10 Depth=1
	v_add_u32_e32 v2, v161, v196
	ds_write_b32 v2, v37 offset:3200
                                        ; implicit-def: $vgpr2
; %bb.23:                               ;   in Loop: Header=BB29_10 Depth=1
	s_andn2_saveexec_b64 s[10:11], s[10:11]
	s_cbranch_execz .LBB29_25
; %bb.24:                               ;   in Loop: Header=BB29_10 Depth=1
	v_mad_u64_u32 v[2:3], s[78:79], v2, s57, v[96:97]
	v_ashrrev_i32_e32 v3, 31, v2
	v_lshl_add_u64 v[2:3], v[2:3], 3, v[140:141]
	global_load_dwordx2 v[2:3], v[2:3], off
	s_waitcnt vmcnt(0)
	v_cvt_pk_f16_f32 v2, v2, v3
	v_pk_mul_f16 v2, v2, v192
	v_add_u32_e32 v3, v161, v196
	ds_write_b32 v3, v2 offset:3200
.LBB29_25:                              ;   in Loop: Header=BB29_10 Depth=1
	s_or_b64 exec, exec, s[10:11]
	v_add_u32_e32 v2, v200, v99
	v_or_b32_e32 v3, v201, v97
	v_cmp_le_i32_e32 vcc, s36, v2
	v_cmp_le_i32_e64 s[10:11], s3, v3
	s_or_b64 s[10:11], vcc, s[10:11]
	s_and_saveexec_b64 s[78:79], s[10:11]
	s_xor_b64 s[10:11], exec, s[78:79]
; %bb.26:                               ;   in Loop: Header=BB29_10 Depth=1
	v_add_u32_e32 v2, v161, v196
	ds_write_b32 v2, v37 offset:4800
                                        ; implicit-def: $vgpr2
; %bb.27:                               ;   in Loop: Header=BB29_10 Depth=1
	s_andn2_saveexec_b64 s[10:11], s[10:11]
	s_cbranch_execz .LBB29_29
; %bb.28:                               ;   in Loop: Header=BB29_10 Depth=1
	v_mad_u64_u32 v[2:3], s[78:79], v2, s57, v[100:101]
	v_ashrrev_i32_e32 v3, 31, v2
	v_lshl_add_u64 v[2:3], v[2:3], 3, v[140:141]
	global_load_dwordx2 v[2:3], v[2:3], off
	s_waitcnt vmcnt(0)
	v_cvt_pk_f16_f32 v2, v2, v3
	v_pk_mul_f16 v2, v2, v192
	v_add_u32_e32 v3, v161, v196
	ds_write_b32 v3, v2 offset:4800
.LBB29_29:                              ;   in Loop: Header=BB29_10 Depth=1
	s_or_b64 exec, exec, s[10:11]
	v_add_u32_e32 v2, v202, v99
	v_cmp_le_i32_e32 vcc, s36, v2
	s_or_b64 s[10:11], vcc, s[14:15]
	s_and_saveexec_b64 s[78:79], s[10:11]
	s_xor_b64 s[10:11], exec, s[78:79]
; %bb.30:                               ;   in Loop: Header=BB29_10 Depth=1
	v_add_u32_e32 v2, v161, v196
	ds_write_b32 v2, v37 offset:6400
                                        ; implicit-def: $vgpr2
; %bb.31:                               ;   in Loop: Header=BB29_10 Depth=1
	s_andn2_saveexec_b64 s[10:11], s[10:11]
	s_cbranch_execz .LBB29_33
; %bb.32:                               ;   in Loop: Header=BB29_10 Depth=1
	v_mad_u64_u32 v[2:3], s[78:79], v2, s57, v[96:97]
	v_ashrrev_i32_e32 v3, 31, v2
	v_lshl_add_u64 v[2:3], v[2:3], 3, v[140:141]
	global_load_dwordx2 v[2:3], v[2:3], off
	s_waitcnt vmcnt(0)
	v_cvt_pk_f16_f32 v2, v2, v3
	v_pk_mul_f16 v2, v2, v192
	v_add_u32_e32 v3, v161, v196
	ds_write_b32 v3, v2 offset:6400
.LBB29_33:                              ;   in Loop: Header=BB29_10 Depth=1
	s_or_b64 exec, exec, s[10:11]
	v_add_u32_e32 v2, v203, v99
	v_or_b32_e32 v3, v204, v97
	v_cmp_le_i32_e32 vcc, s36, v2
	v_cmp_le_i32_e64 s[10:11], s3, v3
	s_or_b64 s[10:11], vcc, s[10:11]
	s_and_saveexec_b64 s[78:79], s[10:11]
	s_xor_b64 s[10:11], exec, s[78:79]
; %bb.34:                               ;   in Loop: Header=BB29_10 Depth=1
	v_add_u32_e32 v2, v161, v196
	ds_write_b32 v2, v37 offset:8000
                                        ; implicit-def: $vgpr2
; %bb.35:                               ;   in Loop: Header=BB29_10 Depth=1
	s_andn2_saveexec_b64 s[10:11], s[10:11]
	s_cbranch_execz .LBB29_37
; %bb.36:                               ;   in Loop: Header=BB29_10 Depth=1
	v_mad_u64_u32 v[2:3], s[78:79], v2, s57, v[102:103]
	v_ashrrev_i32_e32 v3, 31, v2
	v_lshl_add_u64 v[2:3], v[2:3], 3, v[140:141]
	global_load_dwordx2 v[2:3], v[2:3], off
	s_waitcnt vmcnt(0)
	v_cvt_pk_f16_f32 v2, v2, v3
	v_pk_mul_f16 v2, v2, v192
	v_add_u32_e32 v3, v161, v196
	ds_write_b32 v3, v2 offset:8000
.LBB29_37:                              ;   in Loop: Header=BB29_10 Depth=1
	s_or_b64 exec, exec, s[10:11]
	v_add_u32_e32 v2, v205, v99
	v_cmp_le_i32_e32 vcc, s36, v2
	s_or_b64 s[10:11], vcc, s[14:15]
	s_and_saveexec_b64 s[14:15], s[10:11]
	s_xor_b64 s[10:11], exec, s[14:15]
; %bb.38:                               ;   in Loop: Header=BB29_10 Depth=1
	v_add_u32_e32 v2, v161, v196
	ds_write_b32 v2, v37 offset:9600
                                        ; implicit-def: $vgpr2
; %bb.39:                               ;   in Loop: Header=BB29_10 Depth=1
	s_andn2_saveexec_b64 s[10:11], s[10:11]
	s_cbranch_execz .LBB29_41
; %bb.40:                               ;   in Loop: Header=BB29_10 Depth=1
	v_mad_u64_u32 v[2:3], s[14:15], v2, s57, v[96:97]
	v_ashrrev_i32_e32 v3, 31, v2
	v_lshl_add_u64 v[2:3], v[2:3], 3, v[140:141]
	global_load_dwordx2 v[2:3], v[2:3], off
	s_waitcnt vmcnt(0)
	v_cvt_pk_f16_f32 v2, v2, v3
	v_pk_mul_f16 v2, v2, v192
	v_add_u32_e32 v3, v161, v196
	ds_write_b32 v3, v2 offset:9600
.LBB29_41:                              ;   in Loop: Header=BB29_10 Depth=1
	s_or_b64 exec, exec, s[10:11]
	v_add_u32_e32 v2, v206, v99
	v_or_b32_e32 v3, v207, v97
	v_cmp_le_i32_e32 vcc, s36, v2
	v_cmp_le_i32_e64 s[10:11], s3, v3
	s_or_b64 s[10:11], vcc, s[10:11]
	s_and_saveexec_b64 s[14:15], s[10:11]
	s_xor_b64 s[10:11], exec, s[14:15]
; %bb.42:                               ;   in Loop: Header=BB29_10 Depth=1
	v_add_u32_e32 v2, v161, v196
	ds_write_b32 v2, v37 offset:11200
                                        ; implicit-def: $vgpr2
; %bb.43:                               ;   in Loop: Header=BB29_10 Depth=1
	s_andn2_saveexec_b64 s[10:11], s[10:11]
	s_cbranch_execz .LBB29_45
; %bb.44:                               ;   in Loop: Header=BB29_10 Depth=1
	v_mad_u64_u32 v[2:3], s[14:15], v2, s57, v[104:105]
	v_ashrrev_i32_e32 v3, 31, v2
	v_lshl_add_u64 v[2:3], v[2:3], 3, v[140:141]
	global_load_dwordx2 v[2:3], v[2:3], off
	s_waitcnt vmcnt(0)
	v_cvt_pk_f16_f32 v2, v2, v3
	v_pk_mul_f16 v2, v2, v192
	v_add_u32_e32 v3, v161, v196
	ds_write_b32 v3, v2 offset:11200
.LBB29_45:                              ;   in Loop: Header=BB29_10 Depth=1
	s_or_b64 exec, exec, s[10:11]
	v_add_u32_e32 v2, v208, v99
	v_or_b32_e32 v3, v190, v97
	v_cmp_le_i32_e64 s[10:11], s36, v2
	v_cmp_le_i32_e64 s[14:15], s3, v3
	v_cmp_gt_i32_e32 vcc, s3, v3
	s_or_b64 s[10:11], s[10:11], s[14:15]
	s_and_saveexec_b64 s[14:15], s[10:11]
	s_xor_b64 s[10:11], exec, s[14:15]
; %bb.46:                               ;   in Loop: Header=BB29_10 Depth=1
	ds_write_b32 v210, v37 offset:256
                                        ; implicit-def: $vgpr2
; %bb.47:                               ;   in Loop: Header=BB29_10 Depth=1
	s_andn2_saveexec_b64 s[10:11], s[10:11]
	s_cbranch_execz .LBB29_49
; %bb.48:                               ;   in Loop: Header=BB29_10 Depth=1
	v_mad_u64_u32 v[2:3], s[14:15], v2, s57, v[60:61]
	v_ashrrev_i32_e32 v3, 31, v2
	v_lshl_add_u64 v[2:3], v[2:3], 3, v[140:141]
	global_load_dwordx2 v[2:3], v[2:3], off
	s_waitcnt vmcnt(0)
	v_cvt_pk_f16_f32 v2, v2, v3
	v_pk_mul_f16 v2, v2, v192
	v_add_u32_e32 v3, v191, v209
	ds_write_b32 v3, v2 offset:256
.LBB29_49:                              ;   in Loop: Header=BB29_10 Depth=1
	s_or_b64 exec, exec, s[10:11]
	v_add_u32_e32 v2, v168, v99
	v_cmp_le_i32_e64 s[10:11], s36, v2
	s_xor_b64 s[14:15], vcc, -1
	s_or_b64 s[10:11], s[10:11], s[14:15]
	s_and_saveexec_b64 s[78:79], s[10:11]
	s_xor_b64 s[10:11], exec, s[78:79]
; %bb.50:                               ;   in Loop: Header=BB29_10 Depth=1
	ds_write_b32 v211, v37 offset:256
                                        ; implicit-def: $vgpr2
; %bb.51:                               ;   in Loop: Header=BB29_10 Depth=1
	s_andn2_saveexec_b64 s[10:11], s[10:11]
	s_cbranch_execz .LBB29_53
; %bb.52:                               ;   in Loop: Header=BB29_10 Depth=1
	v_mad_u64_u32 v[2:3], s[78:79], v2, s57, v[60:61]
	v_ashrrev_i32_e32 v3, 31, v2
	v_lshl_add_u64 v[2:3], v[2:3], 3, v[140:141]
	global_load_dwordx2 v[2:3], v[2:3], off
	s_waitcnt vmcnt(0)
	v_cvt_pk_f16_f32 v2, v2, v3
	v_pk_mul_f16 v2, v2, v192
	v_add_u32_e32 v3, v191, v209
	ds_write_b32 v3, v2 offset:3456
.LBB29_53:                              ;   in Loop: Header=BB29_10 Depth=1
	s_or_b64 exec, exec, s[10:11]
	v_add_u32_e32 v2, v169, v99
	v_cmp_le_i32_e32 vcc, s36, v2
	s_or_b64 s[10:11], vcc, s[14:15]
	s_and_saveexec_b64 s[78:79], s[10:11]
	s_xor_b64 s[10:11], exec, s[78:79]
; %bb.54:                               ;   in Loop: Header=BB29_10 Depth=1
	ds_write_b32 v212, v37 offset:256
                                        ; implicit-def: $vgpr2
; %bb.55:                               ;   in Loop: Header=BB29_10 Depth=1
	s_andn2_saveexec_b64 s[10:11], s[10:11]
	s_cbranch_execz .LBB29_57
; %bb.56:                               ;   in Loop: Header=BB29_10 Depth=1
	v_mad_u64_u32 v[2:3], s[78:79], v2, s57, v[60:61]
	v_ashrrev_i32_e32 v3, 31, v2
	v_lshl_add_u64 v[2:3], v[2:3], 3, v[140:141]
	global_load_dwordx2 v[2:3], v[2:3], off
	s_waitcnt vmcnt(0)
	v_cvt_pk_f16_f32 v2, v2, v3
	v_pk_mul_f16 v2, v2, v192
	v_add_u32_e32 v3, v191, v209
	ds_write_b32 v3, v2 offset:6656
.LBB29_57:                              ;   in Loop: Header=BB29_10 Depth=1
	s_or_b64 exec, exec, s[10:11]
	v_add_u32_e32 v2, v170, v99
	v_cmp_le_i32_e32 vcc, s36, v2
	s_or_b64 s[10:11], vcc, s[14:15]
	s_and_saveexec_b64 s[14:15], s[10:11]
	s_xor_b64 s[10:11], exec, s[14:15]
; %bb.58:                               ;   in Loop: Header=BB29_10 Depth=1
	ds_write_b32 v213, v37 offset:256
                                        ; implicit-def: $vgpr2
; %bb.59:                               ;   in Loop: Header=BB29_10 Depth=1
	s_andn2_saveexec_b64 s[10:11], s[10:11]
	s_cbranch_execz .LBB29_61
; %bb.60:                               ;   in Loop: Header=BB29_10 Depth=1
	v_mad_u64_u32 v[2:3], s[14:15], v2, s57, v[60:61]
	v_ashrrev_i32_e32 v3, 31, v2
	v_lshl_add_u64 v[2:3], v[2:3], 3, v[140:141]
	global_load_dwordx2 v[2:3], v[2:3], off
	s_waitcnt vmcnt(0)
	v_cvt_pk_f16_f32 v2, v2, v3
	v_pk_mul_f16 v2, v2, v192
	v_add_u32_e32 v3, v191, v209
	ds_write_b32 v3, v2 offset:9856
.LBB29_61:                              ;   in Loop: Header=BB29_10 Depth=1
	s_or_b64 exec, exec, s[10:11]
	s_waitcnt lgkmcnt(0)
	s_barrier
	ds_read2_b64 v[14:17], v89 offset1:4
	ds_read2_b64 v[10:13], v89 offset0:8 offset1:12
	ds_read2_b64 v[6:9], v89 offset0:16 offset1:20
	ds_read2_b64 v[2:5], v89 offset0:24 offset1:28
	ds_read2_b64 v[22:25], v89 offset0:32 offset1:36
	ds_read2_b64 v[18:21], v89 offset0:40 offset1:44
	s_add_i32 s62, s98, -1
	s_cmp_ge_i32 s76, s62
	s_waitcnt lgkmcnt(0)
	s_barrier
	s_cbranch_scc1 .LBB29_67
; %bb.62:                               ;   in Loop: Header=BB29_10 Depth=1
	v_add_u32_e32 v26, v99, v87
	v_mul_hi_u32 v27, s44, v26
	v_add_u32_e32 v27, v26, v27
	v_lshrrev_b32_e32 v27, s45, v27
	v_mul_lo_u32 v27, v27, s36
	v_sub_u32_e32 v26, v26, v27
	v_mad_i64_i32 v[26:27], s[10:11], v26, s46, 0
	v_lshl_add_u64 v[26:27], v[26:27], 1, v[132:133]
	v_lshlrev_b32_e32 v36, 1, v32
	v_lshl_add_u64 v[146:147], v[26:27], 0, v[36:37]
	v_and_b32_e32 v26, 64, v227
	v_add_u32_e32 v26, 64, v26
	v_xor_b32_e32 v27, 32, v227
	v_cmp_lt_i32_e32 vcc, v27, v26
	s_lshl_b32 s10, s76, 6
	v_mov_b32_e32 v151, 0
	v_cndmask_b32_e32 v27, v227, v27, vcc
	v_lshlrev_b32_e32 v149, 2, v27
	v_xor_b32_e32 v27, 16, v227
	v_cmp_lt_i32_e32 vcc, v27, v26
	v_mov_b32_e32 v250, 0
	v_mov_b32_e32 v153, 0
	v_cndmask_b32_e32 v26, v227, v27, vcc
	v_lshlrev_b32_e32 v150, 2, v26
	v_mov_b32_e32 v27, 0xfeffffff
	v_mov_b32_e32 v26, 0
	;; [unrolled: 1-line block ×15, first 2 shown]
	s_ashr_i32 s11, s10, 31
	s_and_saveexec_b64 s[14:15], s[4:5]
	s_cbranch_execz .LBB29_64
.LBB29_63:                              ;   in Loop: Header=BB29_10 Depth=1
	v_lshl_add_u64 v[186:187], s[10:11], 1, v[146:147]
	global_load_dword v28, v[186:187], off
	s_waitcnt vmcnt(0)
	ds_write_b32 v91, v28 offset:17408
.LBB29_64:                              ;   Parent Loop BB29_10 Depth=1
                                        ; =>  This Inner Loop Header: Depth=2
	s_or_b64 exec, exec, s[14:15]
	s_mul_hi_i32 s15, s10, s38
	s_mul_i32 s14, s10, s38
	s_lshl_b64 s[14:15], s[14:15], 2
	v_lshl_add_u64 v[224:225], v[130:131], 0, s[14:15]
	v_lshl_add_u64 v[186:187], v[48:49], 2, v[224:225]
	v_lshlrev_b32_e32 v36, 2, v34
	v_lshl_add_u64 v[186:187], v[186:187], 0, v[36:37]
	global_load_dwordx4 v[186:189], v[186:187], off offset:256
	v_add_u32_e32 v28, 0x2000, v154
	s_mul_hi_i32 s15, s10, s34
	s_mul_i32 s14, s10, s34
	s_lshl_b64 s[14:15], s[14:15], 2
	s_add_i32 s76, s76, 1
	s_add_i32 s10, s10, 64
	s_cmp_lt_i32 s76, s62
	s_waitcnt vmcnt(0)
	ds_write_b128 v93, v[186:189]
	v_lshl_add_u64 v[186:187], v[38:39], 2, v[224:225]
	v_lshl_add_u64 v[186:187], v[186:187], 0, v[36:37]
	global_load_dwordx4 v[186:189], v[186:187], off offset:256
	v_lshlrev_b32_e32 v36, 2, v70
	s_waitcnt vmcnt(0)
	ds_write_b128 v95, v[186:189]
	s_waitcnt lgkmcnt(0)
	s_barrier
	ds_read2_b64 v[186:189], v154 offset1:4
	s_waitcnt lgkmcnt(0)
	v_mfma_f32_16x16x16_f16 a[0:3], v[186:187], v[22:23], 0
	v_mfma_f32_16x16x16_f16 a[0:3], v[188:189], v[24:25], a[0:3]
	ds_read2_b64 v[186:189], v154 offset0:8 offset1:12
	s_waitcnt lgkmcnt(0)
	v_mfma_f32_16x16x16_f16 a[0:3], v[186:187], v[18:19], a[0:3]
	v_mfma_f32_16x16x16_f16 a[0:3], v[188:189], v[20:21], a[0:3]
	ds_read2_b64 v[186:189], v28 offset0:64 offset1:68
	;; [unrolled: 4-line block ×3, first 2 shown]
	s_waitcnt lgkmcnt(0)
	s_barrier
	v_mfma_f32_16x16x16_f16 a[4:7], v[186:187], v[18:19], a[4:7]
	v_lshl_add_u64 v[186:187], v[40:41], 2, v[224:225]
	v_lshl_add_u64 v[186:187], v[186:187], 0, v[36:37]
	v_mfma_f32_16x16x16_f16 a[4:7], v[188:189], v[20:21], a[4:7]
	global_load_dwordx4 v[186:189], v[186:187], off
	s_waitcnt vmcnt(0)
	ds_write_b128 v162, v[186:189]
	v_lshl_add_u64 v[186:187], v[42:43], 2, v[224:225]
	v_lshl_add_u64 v[186:187], v[186:187], 0, v[36:37]
	global_load_dwordx4 v[186:189], v[186:187], off
	s_waitcnt vmcnt(0)
	ds_write_b128 v193, v[186:189]
	v_lshl_add_u64 v[186:187], v[44:45], 2, v[224:225]
	v_lshl_add_u64 v[186:187], v[186:187], 0, v[36:37]
	;; [unrolled: 5-line block ×3, first 2 shown]
	global_load_dwordx4 v[186:189], v[186:187], off
	s_waitcnt vmcnt(0)
	ds_write_b128 v195, v[186:189]
	s_waitcnt lgkmcnt(0)
	s_barrier
	ds_read2_b64 v[186:189], v154 offset1:4
	s_waitcnt lgkmcnt(0)
	v_mfma_f32_16x16x16_f16 a[0:3], v[186:187], v[14:15], a[0:3]
	v_mfma_f32_16x16x16_f16 a[0:3], v[188:189], v[16:17], a[0:3]
	ds_read2_b64 v[186:189], v154 offset0:8 offset1:12
	s_waitcnt lgkmcnt(0)
	v_mfma_f32_16x16x16_f16 a[0:3], v[186:187], v[10:11], a[0:3]
	v_mfma_f32_16x16x16_f16 a[0:3], v[188:189], v[12:13], a[0:3]
	ds_read2_b64 v[186:189], v154 offset0:16 offset1:20
	;; [unrolled: 4-line block ×4, first 2 shown]
	s_waitcnt lgkmcnt(0)
	v_mfma_f32_16x16x16_f16 a[4:7], v[186:187], v[14:15], a[4:7]
	s_nop 4
	v_accvgpr_read_b32 v94, a0
	v_accvgpr_read_b32 v148, a2
	v_mfma_f32_16x16x16_f16 a[4:7], v[188:189], v[16:17], a[4:7]
	ds_read2_b64 v[186:189], v28 offset0:72 offset1:76
	s_waitcnt lgkmcnt(0)
	v_mfma_f32_16x16x16_f16 a[4:7], v[186:187], v[10:11], a[4:7]
	v_mfma_f32_16x16x16_f16 a[4:7], v[188:189], v[12:13], a[4:7]
	ds_read2_b64 v[186:189], v28 offset0:80 offset1:84
	s_waitcnt lgkmcnt(0)
	v_mfma_f32_16x16x16_f16 a[4:7], v[186:187], v[6:7], a[4:7]
	v_mfma_f32_16x16x16_f16 a[4:7], v[188:189], v[8:9], a[4:7]
	ds_read2_b64 v[186:189], v28 offset0:88 offset1:92
	v_add_u32_e32 v28, 0x4400, v155
	s_waitcnt lgkmcnt(0)
	v_mfma_f32_16x16x16_f16 a[4:7], v[186:187], v[2:3], a[4:7]
	s_barrier
	ds_read2_b32 v[186:187], v28 offset1:1
	v_mfma_f32_16x16x16_f16 a[4:7], v[188:189], v[4:5], a[4:7]
	s_waitcnt lgkmcnt(0)
	v_cvt_f32_f16_e32 v28, v186
	v_cvt_f32_f16_sdwa v92, v186 dst_sel:DWORD dst_unused:UNUSED_PAD src0_sel:WORD_1
	v_cvt_f32_f16_sdwa v105, v187 dst_sel:DWORD dst_unused:UNUSED_PAD src0_sel:WORD_1
	v_add_f32_e32 v28, v94, v28
	v_accvgpr_read_b32 v94, a1
	v_add_f32_e32 v92, v94, v92
	v_cvt_f32_f16_e32 v94, v187
	v_accvgpr_read_b32 v186, a4
	v_accvgpr_read_b32 v188, a6
	v_add_f32_e32 v189, 0x40051340, v92
	v_add_f32_e32 v94, v148, v94
	v_accvgpr_read_b32 v148, a3
	v_add_f32_e32 v148, v148, v105
	ds_read_b32 v105, v163 offset:17408
	v_add_f32_e32 v224, 0x40051340, v148
	s_waitcnt lgkmcnt(0)
	v_cvt_f32_f16_e32 v185, v105
	v_cvt_f32_f16_sdwa v105, v105 dst_sel:DWORD dst_unused:UNUSED_PAD src0_sel:WORD_1
	v_add_f32_e32 v185, v186, v185
	v_accvgpr_read_b32 v186, a5
	v_add_f32_e32 v186, v186, v105
	ds_read_b32 v105, v164 offset:17408
	s_waitcnt lgkmcnt(0)
	v_cvt_f32_f16_e32 v187, v105
	v_cvt_f32_f16_sdwa v105, v105 dst_sel:DWORD dst_unused:UNUSED_PAD src0_sel:WORD_1
	v_add_f32_e32 v187, v188, v187
	v_accvgpr_read_b32 v188, a7
	v_add_f32_e32 v188, v188, v105
	v_add_f32_e32 v105, 0x40051340, v28
	v_max3_f32 v105, v27, v105, v189
	v_add_f32_e32 v189, 0x40051340, v94
	v_max3_f32 v105, v105, v189, v224
	v_add_f32_e32 v189, 0x40051340, v185
	v_add_f32_e32 v224, 0x40051340, v186
	v_max3_f32 v105, v105, v189, v224
	v_add_f32_e32 v189, 0x40051340, v187
	v_add_f32_e32 v224, 0x40051340, v188
	v_max3_f32 v105, v105, v189, v224
	ds_bpermute_b32 v189, v149, v105
	s_waitcnt lgkmcnt(0)
	v_max_f32_e32 v189, v189, v189
	v_max_f32_e32 v105, v105, v189
	ds_bpermute_b32 v189, v150, v105
	s_waitcnt lgkmcnt(0)
	v_max_f32_e32 v189, v189, v189
	v_max_f32_e32 v105, v105, v189
	v_sub_f32_e32 v28, v28, v105
	v_mul_f32_e32 v189, 0x3fb8aa3b, v28
	v_fma_f32 v224, v28, s47, -v189
	v_rndne_f32_e32 v225, v189
	v_fmac_f32_e32 v224, 0x32a5705f, v28
	v_sub_f32_e32 v189, v189, v225
	v_add_f32_e32 v189, v189, v224
	v_exp_f32_e32 v189, v189
	v_cvt_i32_f32_e32 v224, v225
	v_cmp_ngt_f32_e32 vcc, s69, v28
	v_sub_f32_e32 v27, v27, v105
	v_ldexp_f32 v189, v189, v224
	v_cndmask_b32_e32 v189, 0, v189, vcc
	v_cmp_nlt_f32_e32 vcc, s94, v28
	v_sub_f32_e32 v28, v92, v105
	v_mul_f32_e32 v92, 0x3fb8aa3b, v28
	v_cndmask_b32_e32 v236, v228, v189, vcc
	v_fma_f32 v189, v28, s47, -v92
	v_rndne_f32_e32 v224, v92
	v_fmac_f32_e32 v189, 0x32a5705f, v28
	v_sub_f32_e32 v92, v92, v224
	v_add_f32_e32 v92, v92, v189
	v_exp_f32_e32 v92, v92
	v_cvt_i32_f32_e32 v189, v224
	v_cmp_ngt_f32_e32 vcc, s69, v28
	v_ldexp_f32 v92, v92, v189
	s_nop 0
	v_cndmask_b32_e32 v92, 0, v92, vcc
	v_cmp_nlt_f32_e32 vcc, s94, v28
	s_nop 1
	v_cndmask_b32_e32 v237, v228, v92, vcc
	v_sub_f32_e32 v92, v94, v105
	v_mul_f32_e32 v94, 0x3fb8aa3b, v92
	v_fma_f32 v189, v92, s47, -v94
	v_rndne_f32_e32 v224, v94
	v_fmac_f32_e32 v189, 0x32a5705f, v92
	v_sub_f32_e32 v94, v94, v224
	v_add_f32_e32 v94, v94, v189
	v_exp_f32_e32 v94, v94
	v_cvt_i32_f32_e32 v189, v224
	v_cmp_ngt_f32_e32 vcc, s69, v92
	v_add_f32_e32 v28, v236, v237
	v_ldexp_f32 v94, v94, v189
	v_cndmask_b32_e32 v94, 0, v94, vcc
	v_cmp_nlt_f32_e32 vcc, s94, v92
	v_sub_f32_e32 v92, v148, v105
	s_nop 0
	v_cndmask_b32_e32 v238, v228, v94, vcc
	v_mul_f32_e32 v94, 0x3fb8aa3b, v92
	v_fma_f32 v148, v92, s47, -v94
	v_rndne_f32_e32 v189, v94
	v_fmac_f32_e32 v148, 0x32a5705f, v92
	v_sub_f32_e32 v94, v94, v189
	v_add_f32_e32 v94, v94, v148
	v_exp_f32_e32 v94, v94
	v_cvt_i32_f32_e32 v148, v189
	v_cmp_ngt_f32_e32 vcc, s69, v92
	v_add_f32_e32 v28, v238, v28
	v_ldexp_f32 v94, v94, v148
	v_cndmask_b32_e32 v94, 0, v94, vcc
	v_cmp_nlt_f32_e32 vcc, s94, v92
	v_sub_f32_e32 v92, v185, v105
	s_nop 0
	v_cndmask_b32_e32 v244, v228, v94, vcc
	;; [unrolled: 16-line block ×5, first 2 shown]
	v_mul_f32_e32 v94, 0x3fb8aa3b, v92
	v_fma_f32 v148, v92, s47, -v94
	v_rndne_f32_e32 v185, v94
	v_fmac_f32_e32 v148, 0x32a5705f, v92
	v_sub_f32_e32 v94, v94, v185
	v_add_f32_e32 v94, v94, v148
	v_exp_f32_e32 v94, v94
	v_cvt_i32_f32_e32 v148, v185
	v_cmp_ngt_f32_e32 vcc, s69, v92
	v_add_f32_e32 v28, v246, v28
	v_ldexp_f32 v94, v94, v148
	v_cndmask_b32_e32 v94, 0, v94, vcc
	v_cmp_nlt_f32_e32 vcc, s94, v92
	s_nop 1
	v_cndmask_b32_e32 v247, v228, v94, vcc
	v_add_f32_e32 v148, v247, v28
	v_mul_f32_e32 v28, 0x3fb8aa3b, v27
	v_fma_f32 v92, v27, s47, -v28
	v_rndne_f32_e32 v94, v28
	v_fmac_f32_e32 v92, 0x32a5705f, v27
	v_sub_f32_e32 v28, v28, v94
	v_add_f32_e32 v28, v28, v92
	v_exp_f32_e32 v28, v28
	v_cvt_i32_f32_e32 v92, v94
	v_cmp_ngt_f32_e32 vcc, s69, v27
	v_ldexp_f32 v28, v28, v92
	s_nop 0
	v_cndmask_b32_e32 v28, 0, v28, vcc
	v_cmp_nlt_f32_e32 vcc, s94, v27
	s_nop 1
	v_cndmask_b32_e32 v28, v228, v28, vcc
	v_cmp_le_f32_e32 vcc, s95, v27
	s_nop 1
	v_cndmask_b32_e32 v27, 0, v28, vcc
	v_fmac_f32_e32 v148, v26, v27
	v_cvt_f16_f32_e32 v26, v27
	v_mul_u32_u24_e32 v26, 0x10001, v26
	v_pk_mul_f16 v249, v242, v26
	v_pk_mul_f16 v248, v241, v26
	;; [unrolled: 1-line block ×16, first 2 shown]
	v_lshl_add_u64 v[26:27], v[128:129], 0, s[14:15]
	v_lshl_add_u64 v[28:29], v[52:53], 2, v[26:27]
	;; [unrolled: 1-line block ×7, first 2 shown]
	global_load_dwordx4 v[26:29], v[28:29], off
	v_lshl_add_u64 v[186:187], v[186:187], 0, v[36:37]
	v_lshl_add_u64 v[188:189], v[188:189], 0, v[36:37]
	v_cvt_f32_f16_e32 v36, v249
	v_cvt_f32_f16_sdwa v92, v249 dst_sel:DWORD dst_unused:UNUSED_PAD src0_sel:WORD_1
	v_cvt_f32_f16_e32 v94, v248
	v_cvt_f32_f16_sdwa v185, v248 dst_sel:DWORD dst_unused:UNUSED_PAD src0_sel:WORD_1
	v_accvgpr_write_b32 a0, v36
	v_accvgpr_write_b32 a1, v92
	;; [unrolled: 1-line block ×4, first 2 shown]
	v_cvt_f32_f16_sdwa v226, v241 dst_sel:DWORD dst_unused:UNUSED_PAD src0_sel:WORD_1
	s_waitcnt vmcnt(0)
	ds_write_b128 v162, v[26:29]
	global_load_dwordx4 v[26:29], v[186:187], off
	s_waitcnt vmcnt(0)
	ds_write_b128 v193, v[26:29]
	global_load_dwordx4 v[26:29], v[188:189], off
	;; [unrolled: 3-line block ×3, first 2 shown]
	s_waitcnt vmcnt(0)
	ds_write_b128 v195, v[26:29]
	s_waitcnt lgkmcnt(0)
	s_barrier
	ds_read_u16 v26, v156 offset:272
	ds_read_u16 v27, v156 offset:544
	ds_read_u16 v28, v157
	ds_read_u16 v188, v157 offset:32
	v_cvt_pk_f16_f32 v29, v238, v244
	s_waitcnt lgkmcnt(1)
	v_perm_b32 v27, v28, v27, s96
	ds_read_u16 v28, v156
	ds_read_u16 v189, v156 offset:32
	ds_read_u16 v94, v156 offset:8704
	;; [unrolled: 1-line block ×5, first 2 shown]
	s_waitcnt lgkmcnt(5)
	v_perm_b32 v26, v26, v28, s96
	v_cvt_pk_f16_f32 v28, v236, v237
	s_waitcnt lgkmcnt(0)
	v_perm_b32 v187, v187, v186, s96
	v_perm_b32 v186, v185, v94, s96
	v_mfma_f32_16x16x16_f16 a[0:3], v[26:27], v[28:29], a[0:3]
	v_cvt_f32_f16_e32 v185, v242
	s_nop 6
	v_accvgpr_read_b32 v92, a3
	v_cvt_f16_f32_e32 v92, v92
	v_accvgpr_read_b32 v26, a0
	v_accvgpr_read_b32 v27, a1
	;; [unrolled: 1-line block ×3, first 2 shown]
	v_cvt_f16_f32_e32 v26, v26
	v_cvt_f16_f32_e32 v27, v27
	;; [unrolled: 1-line block ×3, first 2 shown]
	v_cvt_f32_f16_e32 v92, v92
	v_cvt_f32_f16_e32 v224, v26
	;; [unrolled: 1-line block ×4, first 2 shown]
	v_accvgpr_write_b32 a3, v92
	ds_read_u16 v92, v156 offset:304
	ds_read_u16 v94, v156 offset:576
	v_cvt_pk_f16_f32 v27, v246, v247
	v_cvt_pk_f16_f32 v26, v243, v245
	v_accvgpr_write_b32 a0, v224
	v_accvgpr_write_b32 a1, v225
	;; [unrolled: 1-line block ×3, first 2 shown]
	v_cvt_f32_f16_sdwa v224, v242 dst_sel:DWORD dst_unused:UNUSED_PAD src0_sel:WORD_1
	v_cvt_f32_f16_e32 v225, v241
	v_mfma_f32_16x16x16_f16 a[0:3], v[186:187], v[26:27], a[0:3]
	s_waitcnt lgkmcnt(0)
	v_perm_b32 v187, v188, v94, s96
	v_perm_b32 v186, v92, v189, s96
	s_nop 4
	v_accvgpr_read_b32 v36, a0
	v_accvgpr_read_b32 v236, a1
	v_accvgpr_read_b32 v237, a2
	v_accvgpr_read_b32 v238, a3
	v_accvgpr_write_b32 a0, v185
	v_accvgpr_write_b32 a1, v224
	v_accvgpr_write_b32 a2, v225
	v_accvgpr_write_b32 a3, v226
	s_nop 1
	v_mfma_f32_16x16x16_f16 a[0:3], v[186:187], v[28:29], a[0:3]
	ds_read_u16 v188, v156 offset:8736
	ds_read_u16 v189, v156 offset:9008
	ds_read_u16 v187, v156 offset:9280
	ds_read_u16 v224, v157 offset:8736
	s_waitcnt lgkmcnt(0)
	v_perm_b32 v187, v224, v187, s96
	s_nop 1
	v_accvgpr_read_b32 v92, a0
	v_accvgpr_read_b32 v94, a1
	v_accvgpr_read_b32 v185, a2
	v_accvgpr_read_b32 v186, a3
	v_cvt_f16_f32_e32 v92, v92
	v_cvt_f16_f32_e32 v94, v94
	v_cvt_f16_f32_e32 v185, v185
	v_cvt_f16_f32_e32 v186, v186
	v_cvt_f32_f16_e32 v92, v92
	v_cvt_f32_f16_e32 v94, v94
	v_cvt_f32_f16_e32 v185, v185
	v_cvt_f32_f16_e32 v225, v186
	v_perm_b32 v186, v189, v188, s96
	v_accvgpr_write_b32 a0, v92
	v_accvgpr_write_b32 a1, v94
	v_accvgpr_write_b32 a2, v185
	v_accvgpr_write_b32 a3, v225
	v_cvt_f32_f16_e32 v188, v240
	v_cvt_f32_f16_sdwa v189, v240 dst_sel:DWORD dst_unused:UNUSED_PAD src0_sel:WORD_1
	v_mfma_f32_16x16x16_f16 a[0:3], v[186:187], v[26:27], a[0:3]
	ds_read_u16 v92, v156 offset:64
	ds_read_u16 v94, v156 offset:336
	ds_read_u16 v185, v156 offset:608
	ds_read_u16 v186, v157 offset:64
	v_cvt_f32_f16_e32 v224, v239
	v_cvt_f32_f16_sdwa v225, v239 dst_sel:DWORD dst_unused:UNUSED_PAD src0_sel:WORD_1
	s_waitcnt lgkmcnt(0)
	v_perm_b32 v187, v186, v185, s96
	v_perm_b32 v186, v94, v92, s96
	v_accvgpr_read_b32 v241, a0
	v_accvgpr_read_b32 v242, a1
	v_accvgpr_read_b32 v243, a2
	v_accvgpr_read_b32 v244, a3
	v_accvgpr_write_b32 a0, v188
	v_accvgpr_write_b32 a1, v189
	v_accvgpr_write_b32 a2, v224
	v_accvgpr_write_b32 a3, v225
	s_nop 1
	v_mfma_f32_16x16x16_f16 a[0:3], v[186:187], v[28:29], a[0:3]
	ds_read_u16 v188, v156 offset:8768
	ds_read_u16 v189, v156 offset:9040
	ds_read_u16 v187, v156 offset:9312
	ds_read_u16 v224, v157 offset:8768
	s_waitcnt lgkmcnt(0)
	v_perm_b32 v187, v224, v187, s96
	s_nop 1
	v_accvgpr_read_b32 v92, a0
	v_accvgpr_read_b32 v94, a1
	v_accvgpr_read_b32 v185, a2
	v_accvgpr_read_b32 v186, a3
	v_cvt_f16_f32_e32 v92, v92
	v_cvt_f16_f32_e32 v94, v94
	v_cvt_f16_f32_e32 v185, v185
	v_cvt_f16_f32_e32 v186, v186
	v_cvt_f32_f16_e32 v92, v92
	v_cvt_f32_f16_e32 v94, v94
	v_cvt_f32_f16_e32 v185, v185
	v_cvt_f32_f16_e32 v225, v186
	v_perm_b32 v186, v189, v188, s96
	v_accvgpr_write_b32 a0, v92
	v_accvgpr_write_b32 a1, v94
	v_accvgpr_write_b32 a2, v185
	v_accvgpr_write_b32 a3, v225
	v_cvt_f32_f16_e32 v188, v235
	v_cvt_f32_f16_sdwa v189, v235 dst_sel:DWORD dst_unused:UNUSED_PAD src0_sel:WORD_1
	v_mfma_f32_16x16x16_f16 a[0:3], v[186:187], v[26:27], a[0:3]
	ds_read_u16 v92, v156 offset:96
	ds_read_u16 v94, v156 offset:368
	ds_read_u16 v185, v156 offset:640
	ds_read_u16 v186, v157 offset:96
	v_cvt_f32_f16_e32 v224, v234
	v_cvt_f32_f16_sdwa v225, v234 dst_sel:DWORD dst_unused:UNUSED_PAD src0_sel:WORD_1
	s_waitcnt lgkmcnt(0)
	v_perm_b32 v187, v186, v185, s96
	v_perm_b32 v186, v94, v92, s96
	;; [unrolled: 46-line block ×4, first 2 shown]
	v_accvgpr_read_b32 v232, a0
	v_accvgpr_read_b32 v233, a1
	;; [unrolled: 1-line block ×4, first 2 shown]
	v_accvgpr_write_b32 a0, v188
	v_accvgpr_write_b32 a1, v189
	;; [unrolled: 1-line block ×4, first 2 shown]
	v_cvt_pk_f16_f32 v232, v232, v233
	v_cvt_pk_f16_f32 v233, v234, v235
	v_mfma_f32_16x16x16_f16 a[0:3], v[186:187], v[28:29], a[0:3]
	ds_read_u16 v188, v156 offset:8864
	ds_read_u16 v189, v156 offset:9136
	;; [unrolled: 1-line block ×4, first 2 shown]
	v_cvt_pk_f16_f32 v235, v239, v240
	v_cvt_pk_f16_f32 v234, v245, v246
	;; [unrolled: 1-line block ×4, first 2 shown]
	v_accvgpr_read_b32 v92, a0
	v_accvgpr_read_b32 v94, a1
	v_accvgpr_read_b32 v185, a2
	v_accvgpr_read_b32 v186, a3
	v_cvt_f16_f32_e32 v92, v92
	v_cvt_f16_f32_e32 v94, v94
	;; [unrolled: 1-line block ×4, first 2 shown]
	v_cvt_f32_f16_e32 v92, v92
	v_cvt_f32_f16_e32 v94, v94
	;; [unrolled: 1-line block ×4, first 2 shown]
	s_waitcnt lgkmcnt(0)
	v_perm_b32 v187, v224, v187, s96
	v_perm_b32 v186, v189, v188, s96
	v_accvgpr_write_b32 a0, v92
	v_accvgpr_write_b32 a1, v94
	;; [unrolled: 1-line block ×4, first 2 shown]
	v_cvt_f32_f16_e32 v188, v229
	v_cvt_f32_f16_sdwa v189, v229 dst_sel:DWORD dst_unused:UNUSED_PAD src0_sel:WORD_1
	v_mfma_f32_16x16x16_f16 a[0:3], v[186:187], v[26:27], a[0:3]
	ds_read_u16 v92, v156 offset:192
	ds_read_u16 v94, v156 offset:464
	ds_read_u16 v185, v156 offset:736
	ds_read_u16 v186, v157 offset:192
	v_cvt_f32_f16_e32 v224, v153
	v_cvt_f32_f16_sdwa v153, v153 dst_sel:DWORD dst_unused:UNUSED_PAD src0_sel:WORD_1
	v_cvt_pk_f16_f32 v242, v36, v236
	v_cvt_pk_f16_f32 v241, v237, v238
	s_waitcnt lgkmcnt(0)
	v_perm_b32 v187, v186, v185, s96
	v_perm_b32 v186, v94, v92, s96
	v_accvgpr_read_b32 v230, a0
	v_accvgpr_read_b32 v231, a1
	;; [unrolled: 1-line block ×4, first 2 shown]
	v_accvgpr_write_b32 a0, v188
	v_accvgpr_write_b32 a1, v189
	;; [unrolled: 1-line block ×4, first 2 shown]
	v_cvt_f32_f16_e32 v224, v151
	v_cvt_f32_f16_sdwa v151, v151 dst_sel:DWORD dst_unused:UNUSED_PAD src0_sel:WORD_1
	v_mfma_f32_16x16x16_f16 a[0:3], v[186:187], v[28:29], a[0:3]
	ds_read_u16 v186, v156 offset:8896
	ds_read_u16 v188, v156 offset:9168
	;; [unrolled: 1-line block ×4, first 2 shown]
	v_cvt_pk_f16_f32 v230, v230, v231
	v_cvt_pk_f16_f32 v231, v249, v251
	s_waitcnt lgkmcnt(2)
	v_perm_b32 v186, v188, v186, s96
	v_cvt_f32_f16_e32 v188, v152
	v_accvgpr_read_b32 v92, a0
	v_accvgpr_read_b32 v94, a1
	;; [unrolled: 1-line block ×4, first 2 shown]
	v_cvt_f16_f32_e32 v92, v92
	v_cvt_f16_f32_e32 v94, v94
	;; [unrolled: 1-line block ×4, first 2 shown]
	v_cvt_f32_f16_e32 v92, v92
	v_cvt_f32_f16_e32 v94, v94
	;; [unrolled: 1-line block ×4, first 2 shown]
	s_waitcnt lgkmcnt(0)
	v_perm_b32 v187, v189, v187, s96
	v_accvgpr_write_b32 a0, v92
	v_accvgpr_write_b32 a1, v94
	;; [unrolled: 1-line block ×4, first 2 shown]
	v_cvt_f32_f16_sdwa v152, v152 dst_sel:DWORD dst_unused:UNUSED_PAD src0_sel:WORD_1
	s_nop 0
	v_mfma_f32_16x16x16_f16 a[0:3], v[186:187], v[26:27], a[0:3]
	ds_read_u16 v92, v156 offset:224
	ds_read_u16 v94, v156 offset:496
	;; [unrolled: 1-line block ×4, first 2 shown]
	s_waitcnt lgkmcnt(0)
	v_perm_b32 v187, v186, v185, s96
	v_perm_b32 v186, v94, v92, s96
	s_nop 0
	v_accvgpr_read_b32 v153, a0
	v_accvgpr_read_b32 v189, a1
	;; [unrolled: 1-line block ×4, first 2 shown]
	v_accvgpr_write_b32 a0, v188
	v_accvgpr_write_b32 a1, v152
	;; [unrolled: 1-line block ×4, first 2 shown]
	v_cvt_pk_f16_f32 v153, v153, v189
	s_nop 0
	v_mfma_f32_16x16x16_f16 a[0:3], v[186:187], v[28:29], a[0:3]
	ds_read_u16 v152, v156 offset:8928
	ds_read_u16 v188, v156 offset:9200
	;; [unrolled: 1-line block ×4, first 2 shown]
	s_waitcnt lgkmcnt(0)
	s_barrier
	s_nop 1
	v_accvgpr_read_b32 v92, a2
	v_accvgpr_read_b32 v28, a0
	;; [unrolled: 1-line block ×3, first 2 shown]
	v_cvt_f16_f32_e32 v151, v92
	v_accvgpr_read_b32 v92, a3
	v_cvt_f16_f32_e32 v28, v28
	v_cvt_f16_f32_e32 v29, v29
	;; [unrolled: 1-line block ×3, first 2 shown]
	v_cvt_f32_f16_e32 v151, v151
	v_cvt_f32_f16_e32 v92, v28
	;; [unrolled: 1-line block ×4, first 2 shown]
	v_perm_b32 v29, v186, v185, s96
	v_perm_b32 v28, v188, v152, s96
	v_accvgpr_write_b32 a0, v92
	v_accvgpr_write_b32 a1, v94
	;; [unrolled: 1-line block ×4, first 2 shown]
	v_cvt_pk_f16_f32 v152, v229, v254
	v_cvt_pk_f16_f32 v229, v252, v253
	v_mfma_f32_16x16x16_f16 a[0:3], v[28:29], v[26:27], a[0:3]
	s_nop 7
	v_accvgpr_read_b32 v26, a0
	v_accvgpr_read_b32 v27, a1
	;; [unrolled: 1-line block ×4, first 2 shown]
	v_cvt_pk_f16_f32 v151, v26, v27
	v_cvt_pk_f16_f32 v250, v28, v29
	v_cvt_pk_f16_f32 v29, v247, v248
	s_cbranch_scc0 .LBB29_68
; %bb.65:                               ;   in Loop: Header=BB29_64 Depth=2
	v_mov_b32_e32 v26, v148
	v_mov_b32_e32 v27, v105
	s_ashr_i32 s11, s10, 31
	s_and_saveexec_b64 s[14:15], s[4:5]
	s_cbranch_execnz .LBB29_63
	s_branch .LBB29_64
.LBB29_66:                              ;   in Loop: Header=BB29_10 Depth=1
	s_cbranch_execz .LBB29_9
	s_branch .LBB29_161
.LBB29_67:                              ;   in Loop: Header=BB29_10 Depth=1
	v_mov_b32_e32 v105, 0xfeffffff
	v_mov_b32_e32 v148, 0
	;; [unrolled: 1-line block ×18, first 2 shown]
.LBB29_68:                              ;   in Loop: Header=BB29_10 Depth=1
	s_lshl_b32 s10, s76, 6
	s_ashr_i32 s11, s10, 31
	s_and_saveexec_b64 s[14:15], s[4:5]
	s_cbranch_execz .LBB29_70
; %bb.69:                               ;   in Loop: Header=BB29_10 Depth=1
	v_or_b32_e32 v28, v99, v87
	v_mul_hi_u32 v36, s44, v28
	v_add_u32_e32 v36, v28, v36
	v_lshrrev_b32_e32 v36, s45, v36
	v_mul_lo_u32 v36, v36, s36
	s_lshl_b64 s[76:77], s[10:11], 1
	v_sub_u32_e32 v28, v28, v36
	v_lshl_add_u64 v[26:27], v[132:133], 0, s[76:77]
	v_mad_i64_i32 v[146:147], s[76:77], v28, s46, 0
	v_lshl_add_u64 v[26:27], v[146:147], 1, v[26:27]
	v_lshlrev_b32_e32 v36, 1, v32
	v_lshl_add_u64 v[26:27], v[26:27], 0, v[36:37]
	global_load_dword v26, v[26:27], off
	s_waitcnt vmcnt(0)
	ds_write_b32 v91, v26 offset:17408
.LBB29_70:                              ;   in Loop: Header=BB29_10 Depth=1
	s_or_b64 exec, exec, s[14:15]
	s_mul_hi_i32 s15, s10, s38
	s_mul_i32 s14, s10, s38
	s_lshl_b64 s[14:15], s[14:15], 2
	v_lshl_add_u64 v[26:27], v[130:131], 0, s[14:15]
	v_lshl_add_u64 v[146:147], v[48:49], 2, v[26:27]
	v_lshlrev_b32_e32 v36, 2, v34
	v_lshl_add_u64 v[146:147], v[146:147], 0, v[36:37]
	global_load_dwordx4 v[186:189], v[146:147], off offset:256
	v_lshl_add_u64 v[146:147], v[38:39], 2, v[26:27]
	v_lshl_add_u64 v[146:147], v[146:147], 0, v[36:37]
	v_add_u32_e32 v28, 0x2000, v154
	v_lshlrev_b32_e32 v36, 2, v70
	s_mul_hi_i32 s11, s10, s34
	s_mul_i32 s10, s10, s34
	s_lshl_b64 s[10:11], s[10:11], 2
	s_waitcnt vmcnt(0)
	ds_write_b128 v93, v[186:189]
	global_load_dwordx4 v[186:189], v[146:147], off offset:256
	s_waitcnt vmcnt(0)
	ds_write_b128 v95, v[186:189]
	s_waitcnt lgkmcnt(0)
	s_barrier
	ds_read2_b64 v[186:189], v154 offset1:4
	s_waitcnt lgkmcnt(0)
	v_mfma_f32_16x16x16_f16 a[0:3], v[186:187], v[22:23], 0
	v_mfma_f32_16x16x16_f16 a[0:3], v[188:189], v[24:25], a[0:3]
	ds_read2_b64 v[186:189], v154 offset0:8 offset1:12
	s_waitcnt lgkmcnt(0)
	v_mfma_f32_16x16x16_f16 a[0:3], v[186:187], v[18:19], a[0:3]
	v_mfma_f32_16x16x16_f16 a[0:3], v[188:189], v[20:21], a[0:3]
	ds_read2_b64 v[186:189], v28 offset0:64 offset1:68
	;; [unrolled: 4-line block ×3, first 2 shown]
	s_waitcnt lgkmcnt(0)
	s_barrier
	v_mfma_f32_16x16x16_f16 a[4:7], v[22:23], v[18:19], a[4:7]
	v_lshl_add_u64 v[18:19], v[40:41], 2, v[26:27]
	v_lshl_add_u64 v[18:19], v[18:19], 0, v[36:37]
	v_mfma_f32_16x16x16_f16 a[4:7], v[24:25], v[20:21], a[4:7]
	global_load_dwordx4 v[18:21], v[18:19], off
	s_waitcnt vmcnt(0)
	ds_write_b128 v162, v[18:21]
	v_lshl_add_u64 v[18:19], v[42:43], 2, v[26:27]
	v_lshl_add_u64 v[18:19], v[18:19], 0, v[36:37]
	global_load_dwordx4 v[18:21], v[18:19], off
	s_waitcnt vmcnt(0)
	ds_write_b128 v193, v[18:21]
	v_lshl_add_u64 v[18:19], v[44:45], 2, v[26:27]
	v_lshl_add_u64 v[18:19], v[18:19], 0, v[36:37]
	;; [unrolled: 5-line block ×3, first 2 shown]
	global_load_dwordx4 v[18:21], v[18:19], off
	s_waitcnt vmcnt(0)
	ds_write_b128 v195, v[18:21]
	s_waitcnt lgkmcnt(0)
	s_barrier
	ds_read2_b64 v[18:21], v154 offset1:4
	s_waitcnt lgkmcnt(0)
	v_mfma_f32_16x16x16_f16 a[0:3], v[18:19], v[14:15], a[0:3]
	v_mfma_f32_16x16x16_f16 a[0:3], v[20:21], v[16:17], a[0:3]
	ds_read2_b64 v[18:21], v154 offset0:8 offset1:12
	s_waitcnt lgkmcnt(0)
	v_mfma_f32_16x16x16_f16 a[0:3], v[18:19], v[10:11], a[0:3]
	v_mfma_f32_16x16x16_f16 a[0:3], v[20:21], v[12:13], a[0:3]
	ds_read2_b64 v[18:21], v154 offset0:16 offset1:20
	;; [unrolled: 4-line block ×7, first 2 shown]
	s_waitcnt lgkmcnt(0)
	s_barrier
	v_mfma_f32_16x16x16_f16 a[4:7], v[6:7], v[2:3], a[4:7]
	v_add_u32_e32 v2, 0x4400, v155
	ds_read2_b32 v[2:3], v2 offset1:1
	v_mfma_f32_16x16x16_f16 a[4:7], v[8:9], v[4:5], a[4:7]
	v_accvgpr_read_b32 v5, a0
	v_accvgpr_read_b32 v6, a2
	s_waitcnt lgkmcnt(0)
	v_cvt_f32_f16_e32 v4, v2
	v_cvt_f32_f16_sdwa v2, v2 dst_sel:DWORD dst_unused:UNUSED_PAD src0_sel:WORD_1
	v_add_f32_e32 v4, v5, v4
	v_accvgpr_read_b32 v5, a1
	v_add_f32_e32 v2, v5, v2
	v_cvt_f32_f16_e32 v5, v3
	v_cvt_f32_f16_sdwa v3, v3 dst_sel:DWORD dst_unused:UNUSED_PAD src0_sel:WORD_1
	v_accvgpr_read_b32 v8, a4
	v_add_f32_e32 v5, v6, v5
	v_accvgpr_read_b32 v6, a3
	v_add_f32_e32 v3, v6, v3
	ds_read_b32 v6, v163 offset:17408
	s_waitcnt lgkmcnt(0)
	v_cvt_f32_f16_e32 v7, v6
	v_cvt_f32_f16_sdwa v6, v6 dst_sel:DWORD dst_unused:UNUSED_PAD src0_sel:WORD_1
	v_add_f32_e32 v9, v8, v7
	v_accvgpr_read_b32 v7, a5
	v_add_f32_e32 v10, v7, v6
	ds_read_b32 v6, v164 offset:17408
	v_accvgpr_read_b32 v8, a6
	s_waitcnt lgkmcnt(0)
	v_cvt_f32_f16_e32 v7, v6
	v_cvt_f32_f16_sdwa v6, v6 dst_sel:DWORD dst_unused:UNUSED_PAD src0_sel:WORD_1
	v_add_f32_e32 v11, v8, v7
	v_accvgpr_read_b32 v7, a7
	v_add_f32_e32 v13, v7, v6
	v_add_f32_e32 v6, 0x40051340, v4
	;; [unrolled: 1-line block ×3, first 2 shown]
	v_max3_f32 v6, v105, v6, v7
	v_add_f32_e32 v7, 0x40051340, v5
	v_add_f32_e32 v8, 0x40051340, v3
	v_max3_f32 v6, v6, v7, v8
	v_add_f32_e32 v7, 0x40051340, v9
	v_add_f32_e32 v8, 0x40051340, v10
	;; [unrolled: 3-line block ×3, first 2 shown]
	v_max3_f32 v6, v6, v7, v8
	v_and_b32_e32 v7, 64, v227
	v_add_u32_e32 v8, 64, v7
	v_xor_b32_e32 v7, 32, v227
	v_cmp_lt_i32_e32 vcc, v7, v8
	s_nop 1
	v_cndmask_b32_e32 v7, v227, v7, vcc
	v_lshlrev_b32_e32 v7, 2, v7
	ds_bpermute_b32 v12, v7, v6
	s_waitcnt lgkmcnt(0)
	v_max_f32_e32 v12, v12, v12
	v_max_f32_e32 v6, v6, v12
	v_xor_b32_e32 v12, 16, v227
	v_cmp_lt_i32_e32 vcc, v12, v8
	s_nop 1
	v_cndmask_b32_e32 v8, v227, v12, vcc
	v_lshlrev_b32_e32 v8, 2, v8
	ds_bpermute_b32 v12, v8, v6
	s_waitcnt lgkmcnt(0)
	v_max_f32_e32 v12, v12, v12
	v_max_f32_e32 v6, v6, v12
	v_sub_f32_e32 v4, v4, v6
	v_mul_f32_e32 v12, 0x3fb8aa3b, v4
	v_fma_f32 v14, v4, s47, -v12
	v_rndne_f32_e32 v15, v12
	v_fmac_f32_e32 v14, 0x32a5705f, v4
	v_sub_f32_e32 v12, v12, v15
	v_add_f32_e32 v12, v12, v14
	v_exp_f32_e32 v12, v12
	v_cvt_i32_f32_e32 v14, v15
	v_cmp_ngt_f32_e32 vcc, s69, v4
	v_sub_f32_e32 v2, v2, v6
	v_sub_f32_e32 v3, v3, v6
	v_ldexp_f32 v12, v12, v14
	v_cndmask_b32_e32 v12, 0, v12, vcc
	v_cmp_nlt_f32_e32 vcc, s94, v4
	v_mul_f32_e32 v4, 0x3fb8aa3b, v2
	v_fma_f32 v14, v2, s47, -v4
	v_rndne_f32_e32 v15, v4
	v_fmac_f32_e32 v14, 0x32a5705f, v2
	v_sub_f32_e32 v4, v4, v15
	v_add_f32_e32 v4, v4, v14
	v_exp_f32_e32 v4, v4
	v_cvt_i32_f32_e32 v14, v15
	v_cndmask_b32_e32 v12, v228, v12, vcc
	v_cmp_ngt_f32_e32 vcc, s69, v2
	v_ldexp_f32 v4, v4, v14
	s_nop 0
	v_cndmask_b32_e32 v4, 0, v4, vcc
	v_cmp_nlt_f32_e32 vcc, s94, v2
	s_nop 1
	v_cndmask_b32_e32 v18, v228, v4, vcc
	v_sub_f32_e32 v4, v5, v6
	v_mul_f32_e32 v5, 0x3fb8aa3b, v4
	v_fma_f32 v14, v4, s47, -v5
	v_rndne_f32_e32 v15, v5
	v_fmac_f32_e32 v14, 0x32a5705f, v4
	v_sub_f32_e32 v5, v5, v15
	v_add_f32_e32 v5, v5, v14
	v_exp_f32_e32 v5, v5
	v_cvt_i32_f32_e32 v14, v15
	v_cmp_ngt_f32_e32 vcc, s69, v4
	v_add_f32_e32 v2, v12, v18
	v_ldexp_f32 v5, v5, v14
	v_cndmask_b32_e32 v5, 0, v5, vcc
	v_cmp_nlt_f32_e32 vcc, s94, v4
	v_mul_f32_e32 v4, 0x3fb8aa3b, v3
	v_rndne_f32_e32 v14, v4
	v_cndmask_b32_e32 v19, v228, v5, vcc
	v_fma_f32 v5, v3, s47, -v4
	v_fmac_f32_e32 v5, 0x32a5705f, v3
	v_sub_f32_e32 v4, v4, v14
	v_add_f32_e32 v4, v4, v5
	v_exp_f32_e32 v4, v4
	v_cvt_i32_f32_e32 v5, v14
	v_cmp_ngt_f32_e32 vcc, s69, v3
	v_add_f32_e32 v2, v19, v2
	v_ldexp_f32 v4, v4, v5
	v_cndmask_b32_e32 v4, 0, v4, vcc
	v_cmp_nlt_f32_e32 vcc, s94, v3
	v_sub_f32_e32 v3, v9, v6
	s_nop 0
	v_cndmask_b32_e32 v21, v228, v4, vcc
	v_mul_f32_e32 v4, 0x3fb8aa3b, v3
	v_fma_f32 v5, v3, s47, -v4
	v_rndne_f32_e32 v9, v4
	v_fmac_f32_e32 v5, 0x32a5705f, v3
	v_sub_f32_e32 v4, v4, v9
	v_add_f32_e32 v4, v4, v5
	v_exp_f32_e32 v4, v4
	v_cvt_i32_f32_e32 v5, v9
	v_cmp_ngt_f32_e32 vcc, s69, v3
	v_add_f32_e32 v2, v21, v2
	v_ldexp_f32 v4, v4, v5
	v_cndmask_b32_e32 v4, 0, v4, vcc
	v_cmp_nlt_f32_e32 vcc, s94, v3
	v_sub_f32_e32 v3, v10, v6
	s_nop 0
	v_cndmask_b32_e32 v20, v228, v4, vcc
	v_mul_f32_e32 v4, 0x3fb8aa3b, v3
	v_fma_f32 v5, v3, s47, -v4
	v_rndne_f32_e32 v9, v4
	;; [unrolled: 16-line block ×4, first 2 shown]
	v_fmac_f32_e32 v5, 0x32a5705f, v3
	v_sub_f32_e32 v4, v4, v9
	v_add_f32_e32 v4, v4, v5
	v_exp_f32_e32 v4, v4
	v_cvt_i32_f32_e32 v5, v9
	v_cmp_ngt_f32_e32 vcc, s69, v3
	v_add_f32_e32 v2, v27, v2
	v_ldexp_f32 v4, v4, v5
	v_cndmask_b32_e32 v4, 0, v4, vcc
	v_cmp_nlt_f32_e32 vcc, s94, v3
	s_nop 1
	v_cndmask_b32_e32 v28, v228, v4, vcc
	v_add_f32_e32 v9, v28, v2
	v_sub_f32_e32 v2, v105, v6
	v_mul_f32_e32 v3, 0x3fb8aa3b, v2
	v_fma_f32 v4, v2, s47, -v3
	v_rndne_f32_e32 v5, v3
	v_fmac_f32_e32 v4, 0x32a5705f, v2
	v_sub_f32_e32 v3, v3, v5
	v_add_f32_e32 v3, v3, v4
	v_exp_f32_e32 v3, v3
	v_cvt_i32_f32_e32 v4, v5
	v_cmp_ngt_f32_e32 vcc, s69, v2
	v_ldexp_f32 v3, v3, v4
	s_nop 0
	v_cndmask_b32_e32 v3, 0, v3, vcc
	v_cmp_nlt_f32_e32 vcc, s94, v2
	s_nop 1
	v_cndmask_b32_e32 v3, v228, v3, vcc
	v_cmp_le_f32_e32 vcc, s95, v2
	s_nop 1
	v_cndmask_b32_e32 v2, 0, v3, vcc
	v_fmac_f32_e32 v9, v148, v2
	v_cvt_f16_f32_e32 v2, v2
	ds_bpermute_b32 v7, v7, v9
	v_cmp_ne_u64_e32 vcc, 0, v[126:127]
	s_and_b64 s[14:15], s[0:1], vcc
	v_mul_u32_u24_e32 v2, 0x10001, v2
	v_pk_mul_f16 v148, v242, v2
	v_pk_mul_f16 v147, v241, v2
	;; [unrolled: 1-line block ×16, first 2 shown]
	v_lshl_add_u64 v[2:3], v[128:129], 0, s[10:11]
	v_lshl_add_u64 v[4:5], v[52:53], 2, v[2:3]
	;; [unrolled: 1-line block ×7, first 2 shown]
	global_load_dwordx4 v[2:5], v[4:5], off
	v_lshl_add_u64 v[150:151], v[150:151], 0, v[36:37]
	v_lshl_add_u64 v[152:153], v[152:153], 0, v[36:37]
	v_cvt_f32_f16_e32 v36, v148
	v_cvt_f32_f16_sdwa v92, v148 dst_sel:DWORD dst_unused:UNUSED_PAD src0_sel:WORD_1
	v_cvt_f32_f16_e32 v94, v147
	v_cvt_f32_f16_sdwa v147, v147 dst_sel:DWORD dst_unused:UNUSED_PAD src0_sel:WORD_1
	v_accvgpr_write_b32 a0, v36
	v_accvgpr_write_b32 a1, v92
	;; [unrolled: 1-line block ×4, first 2 shown]
	v_cvt_f32_f16_e32 v185, v23
	v_cvt_f32_f16_sdwa v188, v22 dst_sel:DWORD dst_unused:UNUSED_PAD src0_sel:WORD_1
	v_cvt_f32_f16_e32 v189, v15
	v_cvt_f32_f16_sdwa v15, v15 dst_sel:DWORD dst_unused:UNUSED_PAD src0_sel:WORD_1
	v_cvt_f32_f16_sdwa v224, v10 dst_sel:DWORD dst_unused:UNUSED_PAD src0_sel:WORD_1
	s_waitcnt lgkmcnt(0)
	v_add_f32_e32 v7, v9, v7
	ds_bpermute_b32 v9, v8, v7
	s_waitcnt lgkmcnt(0)
	v_add_f32_e32 v7, v7, v9
	s_waitcnt vmcnt(0)
	ds_write_b128 v162, v[2:5]
	global_load_dwordx4 v[2:5], v[150:151], off
	s_waitcnt vmcnt(0)
	ds_write_b128 v193, v[2:5]
	global_load_dwordx4 v[2:5], v[152:153], off
	v_cvt_f32_f16_e32 v152, v105
	v_cvt_f32_f16_sdwa v105, v105 dst_sel:DWORD dst_unused:UNUSED_PAD src0_sel:WORD_1
	v_cvt_f32_f16_e32 v153, v29
	v_cvt_f32_f16_sdwa v29, v29 dst_sel:DWORD dst_unused:UNUSED_PAD src0_sel:WORD_1
	s_waitcnt vmcnt(0)
	ds_write_b128 v194, v[2:5]
	global_load_dwordx4 v[2:5], v[186:187], off
	v_cvt_f32_f16_sdwa v186, v23 dst_sel:DWORD dst_unused:UNUSED_PAD src0_sel:WORD_1
	v_cvt_f32_f16_e32 v187, v22
	s_waitcnt vmcnt(0)
	ds_write_b128 v195, v[2:5]
	s_waitcnt lgkmcnt(0)
	s_barrier
	ds_read_u16 v2, v156 offset:272
	ds_read_u16 v3, v156 offset:544
	ds_read_u16 v4, v157
	ds_read_u16 v148, v157 offset:32
	v_cvt_pk_f16_f32 v5, v19, v21
	s_waitcnt lgkmcnt(1)
	v_perm_b32 v3, v4, v3, s96
	ds_read_u16 v4, v156
	ds_read_u16 v149, v156 offset:32
	ds_read_u16 v21, v156 offset:8704
	;; [unrolled: 1-line block ×5, first 2 shown]
	s_waitcnt lgkmcnt(5)
	v_perm_b32 v2, v2, v4, s96
	v_cvt_pk_f16_f32 v4, v12, v18
	s_waitcnt lgkmcnt(0)
	v_perm_b32 v19, v92, v19, s96
	v_mfma_f32_16x16x16_f16 a[0:3], v[2:3], v[4:5], a[0:3]
	s_nop 7
	v_accvgpr_read_b32 v2, a0
	v_accvgpr_read_b32 v3, a1
	;; [unrolled: 1-line block ×4, first 2 shown]
	v_cvt_f16_f32_e32 v2, v2
	v_cvt_f16_f32_e32 v3, v3
	;; [unrolled: 1-line block ×4, first 2 shown]
	v_cvt_f32_f16_e32 v94, v2
	v_cvt_f32_f16_e32 v147, v3
	;; [unrolled: 1-line block ×4, first 2 shown]
	v_perm_b32 v18, v36, v21, s96
	v_cvt_pk_f16_f32 v3, v27, v28
	v_cvt_pk_f16_f32 v2, v20, v26
	v_accvgpr_write_b32 a0, v94
	v_accvgpr_write_b32 a1, v147
	;; [unrolled: 1-line block ×4, first 2 shown]
	v_cvt_f32_f16_e32 v28, v25
	v_cvt_f32_f16_sdwa v25, v25 dst_sel:DWORD dst_unused:UNUSED_PAD src0_sel:WORD_1
	v_mfma_f32_16x16x16_f16 a[0:3], v[18:19], v[2:3], a[0:3]
	v_cvt_f32_f16_e32 v36, v17
	v_cvt_f32_f16_sdwa v17, v17 dst_sel:DWORD dst_unused:UNUSED_PAD src0_sel:WORD_1
	v_cvt_f32_f16_e32 v150, v24
	v_cvt_f32_f16_sdwa v24, v24 dst_sel:DWORD dst_unused:UNUSED_PAD src0_sel:WORD_1
	s_nop 3
	v_accvgpr_read_b32 v12, a2
	v_accvgpr_read_b32 v26, a3
	v_cvt_f16_f32_e32 v12, v12
	v_cvt_f16_f32_e32 v26, v26
	v_accvgpr_read_b32 v18, a0
	v_accvgpr_read_b32 v19, a1
	v_accvgpr_write_b32 a0, v28
	v_perm_b32 v12, v26, v12, s96
	ds_read_u16 v26, v156 offset:304
	ds_read_u16 v27, v156 offset:576
	v_accvgpr_write_b32 a1, v25
	v_accvgpr_write_b32 a2, v36
	;; [unrolled: 1-line block ×3, first 2 shown]
	s_waitcnt lgkmcnt(1)
	v_perm_b32 v26, v26, v149, s96
	s_waitcnt lgkmcnt(0)
	v_perm_b32 v27, v148, v27, s96
	ds_read_u16 v28, v156 offset:8736
	ds_read_u16 v36, v156 offset:9008
	;; [unrolled: 1-line block ×4, first 2 shown]
	v_mfma_f32_16x16x16_f16 a[0:3], v[26:27], v[4:5], a[0:3]
	v_cvt_f32_f16_sdwa v149, v146 dst_sel:DWORD dst_unused:UNUSED_PAD src0_sel:WORD_1
	v_cvt_f16_f32_e32 v20, v18
	v_cvt_f16_f32_e32 v21, v19
	v_perm_b32 v20, v21, v20, s96
	s_nop 3
	v_accvgpr_read_b32 v17, a0
	v_accvgpr_read_b32 v25, a1
	;; [unrolled: 1-line block ×4, first 2 shown]
	v_cvt_f16_f32_e32 v17, v17
	v_cvt_f16_f32_e32 v25, v25
	;; [unrolled: 1-line block ×4, first 2 shown]
	v_cvt_f32_f16_e32 v17, v17
	v_cvt_f32_f16_e32 v25, v25
	;; [unrolled: 1-line block ×4, first 2 shown]
	s_waitcnt lgkmcnt(0)
	v_perm_b32 v27, v94, v92, s96
	v_perm_b32 v26, v36, v28, s96
	v_accvgpr_write_b32 a0, v17
	v_accvgpr_write_b32 a1, v25
	;; [unrolled: 1-line block ×4, first 2 shown]
	v_cvt_f32_f16_e32 v148, v146
	s_nop 0
	v_mfma_f32_16x16x16_f16 a[0:3], v[26:27], v[2:3], a[0:3]
	s_nop 7
	v_accvgpr_read_b32 v17, a2
	v_accvgpr_read_b32 v36, a3
	v_cvt_f16_f32_e32 v17, v17
	v_cvt_f16_f32_e32 v36, v36
	v_accvgpr_read_b32 v25, a0
	v_accvgpr_read_b32 v26, a1
	v_accvgpr_write_b32 a0, v148
	v_perm_b32 v17, v36, v17, s96
	ds_read_u16 v36, v156 offset:64
	ds_read_u16 v92, v156 offset:336
	;; [unrolled: 1-line block ×4, first 2 shown]
	v_accvgpr_write_b32 a1, v149
	v_accvgpr_write_b32 a2, v150
	s_waitcnt lgkmcnt(2)
	v_perm_b32 v146, v92, v36, s96
	v_accvgpr_write_b32 a3, v24
	s_waitcnt lgkmcnt(0)
	v_perm_b32 v147, v147, v94, s96
	v_cvt_f16_f32_e32 v27, v25
	v_cvt_f16_f32_e32 v28, v26
	v_mfma_f32_16x16x16_f16 a[0:3], v[146:147], v[4:5], a[0:3]
	ds_read_u16 v146, v156 offset:8768
	ds_read_u16 v148, v156 offset:9040
	ds_read_u16 v147, v156 offset:9312
	ds_read_u16 v149, v157 offset:8768
	v_perm_b32 v27, v28, v27, s96
	s_waitcnt lgkmcnt(2)
	v_perm_b32 v146, v148, v146, s96
	s_nop 0
	v_accvgpr_read_b32 v24, a0
	v_accvgpr_read_b32 v36, a1
	;; [unrolled: 1-line block ×4, first 2 shown]
	v_cvt_f16_f32_e32 v24, v24
	v_cvt_f16_f32_e32 v36, v36
	;; [unrolled: 1-line block ×4, first 2 shown]
	v_cvt_f32_f16_e32 v24, v24
	v_cvt_f32_f16_e32 v36, v36
	;; [unrolled: 1-line block ×4, first 2 shown]
	s_waitcnt lgkmcnt(0)
	v_perm_b32 v147, v149, v147, s96
	v_accvgpr_write_b32 a0, v24
	v_accvgpr_write_b32 a1, v36
	;; [unrolled: 1-line block ×4, first 2 shown]
	s_nop 1
	v_mfma_f32_16x16x16_f16 a[0:3], v[146:147], v[2:3], a[0:3]
	s_nop 7
	v_accvgpr_read_b32 v24, a2
	v_accvgpr_read_b32 v92, a3
	v_cvt_f16_f32_e32 v24, v24
	v_cvt_f16_f32_e32 v92, v92
	v_accvgpr_read_b32 v36, a0
	v_accvgpr_read_b32 v146, a1
	v_accvgpr_write_b32 a0, v152
	v_perm_b32 v24, v92, v24, s96
	ds_read_u16 v92, v156 offset:96
	ds_read_u16 v94, v156 offset:368
	;; [unrolled: 1-line block ×4, first 2 shown]
	v_accvgpr_write_b32 a1, v105
	v_accvgpr_write_b32 a2, v153
	;; [unrolled: 1-line block ×3, first 2 shown]
	v_cvt_f16_f32_e32 v147, v36
	s_waitcnt lgkmcnt(0)
	v_perm_b32 v151, v150, v149, s96
	v_perm_b32 v150, v94, v92, s96
	v_cvt_f16_f32_e32 v148, v146
	v_perm_b32 v147, v148, v147, s96
	v_mfma_f32_16x16x16_f16 a[0:3], v[150:151], v[4:5], a[0:3]
	ds_read_u16 v149, v156 offset:8800
	ds_read_u16 v150, v156 offset:9072
	;; [unrolled: 1-line block ×4, first 2 shown]
	s_waitcnt lgkmcnt(2)
	v_perm_b32 v150, v150, v149, s96
	s_waitcnt lgkmcnt(0)
	v_perm_b32 v151, v152, v151, s96
	v_accvgpr_read_b32 v29, a0
	v_accvgpr_read_b32 v92, a1
	;; [unrolled: 1-line block ×4, first 2 shown]
	v_cvt_f16_f32_e32 v29, v29
	v_cvt_f16_f32_e32 v92, v92
	v_cvt_f16_f32_e32 v94, v94
	v_cvt_f16_f32_e32 v105, v105
	v_cvt_f32_f16_e32 v29, v29
	v_cvt_f32_f16_e32 v92, v92
	v_cvt_f32_f16_e32 v94, v94
	v_cvt_f32_f16_e32 v105, v105
	v_accvgpr_write_b32 a0, v29
	v_accvgpr_write_b32 a1, v92
	;; [unrolled: 1-line block ×4, first 2 shown]
	s_nop 1
	v_mfma_f32_16x16x16_f16 a[0:3], v[150:151], v[2:3], a[0:3]
	s_nop 7
	v_accvgpr_read_b32 v29, a2
	v_accvgpr_read_b32 v92, a3
	v_cvt_f16_f32_e32 v29, v29
	v_cvt_f16_f32_e32 v92, v92
	v_accvgpr_read_b32 v105, a0
	v_accvgpr_read_b32 v149, a1
	v_accvgpr_write_b32 a0, v185
	v_perm_b32 v29, v92, v29, s96
	ds_read_u16 v92, v156 offset:128
	ds_read_u16 v94, v156 offset:400
	ds_read_u16 v152, v156 offset:672
	ds_read_u16 v153, v157 offset:128
	v_accvgpr_write_b32 a1, v186
	v_accvgpr_write_b32 a2, v187
	s_waitcnt lgkmcnt(2)
	v_perm_b32 v22, v94, v92, s96
	v_accvgpr_write_b32 a3, v188
	s_waitcnt lgkmcnt(0)
	v_perm_b32 v23, v153, v152, s96
	ds_read_u16 v152, v156 offset:8832
	ds_read_u16 v153, v156 offset:9104
	;; [unrolled: 1-line block ×4, first 2 shown]
	v_mfma_f32_16x16x16_f16 a[0:3], v[22:23], v[4:5], a[0:3]
	v_cvt_f16_f32_e32 v150, v105
	v_cvt_f16_f32_e32 v151, v149
	v_perm_b32 v150, v151, v150, s96
	s_nop 4
	v_accvgpr_read_b32 v22, a0
	v_accvgpr_read_b32 v23, a1
	;; [unrolled: 1-line block ×4, first 2 shown]
	v_cvt_f16_f32_e32 v22, v22
	v_cvt_f16_f32_e32 v23, v23
	v_cvt_f16_f32_e32 v92, v92
	v_cvt_f16_f32_e32 v94, v94
	v_cvt_f32_f16_e32 v187, v22
	v_cvt_f32_f16_e32 v188, v23
	;; [unrolled: 1-line block ×4, first 2 shown]
	s_waitcnt lgkmcnt(0)
	v_perm_b32 v23, v186, v185, s96
	v_perm_b32 v22, v153, v152, s96
	v_accvgpr_write_b32 a0, v187
	v_accvgpr_write_b32 a1, v188
	v_accvgpr_write_b32 a2, v92
	v_accvgpr_write_b32 a3, v94
	v_cvt_f32_f16_e32 v188, v16
	v_cvt_f32_f16_sdwa v16, v16 dst_sel:DWORD dst_unused:UNUSED_PAD src0_sel:WORD_1
	v_mfma_f32_16x16x16_f16 a[0:3], v[22:23], v[2:3], a[0:3]
	s_nop 7
	v_accvgpr_read_b32 v22, a2
	v_accvgpr_read_b32 v92, a3
	v_cvt_f16_f32_e32 v22, v22
	v_cvt_f16_f32_e32 v92, v92
	v_accvgpr_read_b32 v23, a0
	v_accvgpr_read_b32 v152, a1
	v_accvgpr_write_b32 a0, v188
	v_perm_b32 v22, v92, v22, s96
	ds_read_u16 v92, v156 offset:160
	ds_read_u16 v94, v156 offset:432
	;; [unrolled: 1-line block ×4, first 2 shown]
	v_accvgpr_write_b32 a1, v16
	v_accvgpr_write_b32 a2, v189
	;; [unrolled: 1-line block ×3, first 2 shown]
	v_cvt_f32_f16_e32 v189, v13
	s_waitcnt lgkmcnt(0)
	v_perm_b32 v187, v186, v185, s96
	v_perm_b32 v186, v94, v92, s96
	v_cvt_f32_f16_sdwa v13, v13 dst_sel:DWORD dst_unused:UNUSED_PAD src0_sel:WORD_1
	v_cvt_f16_f32_e32 v153, v23
	v_mfma_f32_16x16x16_f16 a[0:3], v[186:187], v[4:5], a[0:3]
	ds_read_u16 v185, v156 offset:8864
	ds_read_u16 v186, v156 offset:9136
	;; [unrolled: 1-line block ×4, first 2 shown]
	v_cvt_f16_f32_e32 v229, v152
	s_waitcnt lgkmcnt(2)
	v_perm_b32 v186, v186, v185, s96
	s_nop 0
	v_accvgpr_read_b32 v15, a0
	v_accvgpr_read_b32 v16, a1
	;; [unrolled: 1-line block ×4, first 2 shown]
	v_cvt_f16_f32_e32 v15, v15
	v_cvt_f16_f32_e32 v16, v16
	;; [unrolled: 1-line block ×4, first 2 shown]
	v_cvt_f32_f16_e32 v15, v15
	v_cvt_f32_f16_e32 v16, v16
	;; [unrolled: 1-line block ×4, first 2 shown]
	s_waitcnt lgkmcnt(0)
	v_perm_b32 v187, v188, v187, s96
	v_accvgpr_write_b32 a0, v15
	v_accvgpr_write_b32 a1, v16
	;; [unrolled: 1-line block ×4, first 2 shown]
	v_cvt_f32_f16_e32 v188, v14
	v_cvt_f32_f16_sdwa v14, v14 dst_sel:DWORD dst_unused:UNUSED_PAD src0_sel:WORD_1
	v_mfma_f32_16x16x16_f16 a[0:3], v[186:187], v[2:3], a[0:3]
	v_perm_b32 v153, v229, v153, s96
	s_nop 6
	v_accvgpr_read_b32 v15, a2
	v_accvgpr_read_b32 v92, a3
	v_cvt_f16_f32_e32 v15, v15
	v_cvt_f16_f32_e32 v92, v92
	v_accvgpr_read_b32 v16, a0
	v_accvgpr_read_b32 v230, a1
	v_accvgpr_write_b32 a0, v188
	v_perm_b32 v15, v92, v15, s96
	ds_read_u16 v92, v156 offset:192
	ds_read_u16 v94, v156 offset:464
	;; [unrolled: 1-line block ×4, first 2 shown]
	v_accvgpr_write_b32 a1, v14
	v_accvgpr_write_b32 a2, v189
	;; [unrolled: 1-line block ×3, first 2 shown]
	v_cvt_f32_f16_e32 v189, v10
	s_waitcnt lgkmcnt(0)
	v_perm_b32 v187, v186, v185, s96
	v_perm_b32 v186, v94, v92, s96
	v_cvt_f16_f32_e32 v231, v16
	v_cvt_f16_f32_e32 v232, v230
	v_mfma_f32_16x16x16_f16 a[0:3], v[186:187], v[4:5], a[0:3]
	ds_read_u16 v185, v156 offset:8896
	ds_read_u16 v186, v156 offset:9168
	;; [unrolled: 1-line block ×4, first 2 shown]
	s_waitcnt lgkmcnt(2)
	v_perm_b32 v186, v186, v185, s96
	s_nop 1
	v_accvgpr_read_b32 v13, a0
	v_accvgpr_read_b32 v14, a1
	;; [unrolled: 1-line block ×4, first 2 shown]
	v_cvt_f16_f32_e32 v13, v13
	v_cvt_f16_f32_e32 v14, v14
	v_cvt_f16_f32_e32 v92, v92
	v_cvt_f16_f32_e32 v94, v94
	v_cvt_f32_f16_e32 v13, v13
	v_cvt_f32_f16_e32 v14, v14
	;; [unrolled: 1-line block ×4, first 2 shown]
	s_waitcnt lgkmcnt(0)
	v_perm_b32 v187, v188, v187, s96
	v_accvgpr_write_b32 a0, v13
	v_accvgpr_write_b32 a1, v14
	;; [unrolled: 1-line block ×4, first 2 shown]
	v_cvt_f32_f16_sdwa v188, v11 dst_sel:DWORD dst_unused:UNUSED_PAD src0_sel:WORD_1
	s_nop 0
	v_mfma_f32_16x16x16_f16 a[0:3], v[186:187], v[2:3], a[0:3]
	v_cvt_f32_f16_e32 v187, v11
	s_nop 6
	v_accvgpr_read_b32 v13, a2
	v_accvgpr_read_b32 v92, a3
	v_cvt_f16_f32_e32 v13, v13
	v_cvt_f16_f32_e32 v92, v92
	v_accvgpr_read_b32 v14, a0
	v_accvgpr_read_b32 v233, a1
	v_accvgpr_write_b32 a0, v187
	v_perm_b32 v13, v92, v13, s96
	ds_read_u16 v92, v156 offset:224
	ds_read_u16 v94, v156 offset:496
	ds_read_u16 v185, v156 offset:768
	ds_read_u16 v186, v157 offset:224
	v_accvgpr_write_b32 a1, v188
	v_accvgpr_write_b32 a2, v189
	s_waitcnt lgkmcnt(2)
	v_perm_b32 v10, v94, v92, s96
	v_accvgpr_write_b32 a3, v224
	s_waitcnt lgkmcnt(0)
	v_perm_b32 v11, v186, v185, s96
	v_cvt_f16_f32_e32 v234, v14
	v_cvt_f16_f32_e32 v235, v233
	v_mfma_f32_16x16x16_f16 a[0:3], v[10:11], v[4:5], a[0:3]
	s_nop 7
	v_accvgpr_read_b32 v11, a3
	v_accvgpr_read_b32 v4, a0
	;; [unrolled: 1-line block ×4, first 2 shown]
	v_cvt_f16_f32_e32 v187, v11
	ds_read_u16 v11, v156 offset:8928
	ds_read_u16 v188, v156 offset:9200
	;; [unrolled: 1-line block ×4, first 2 shown]
	v_cvt_f16_f32_e32 v4, v4
	v_cvt_f16_f32_e32 v5, v5
	;; [unrolled: 1-line block ×3, first 2 shown]
	v_cvt_f32_f16_e32 v187, v187
	v_cvt_f32_f16_e32 v92, v4
	;; [unrolled: 1-line block ×4, first 2 shown]
	s_waitcnt lgkmcnt(0)
	v_perm_b32 v5, v186, v185, s96
	v_perm_b32 v4, v188, v11, s96
	v_accvgpr_write_b32 a0, v92
	v_accvgpr_write_b32 a1, v94
	;; [unrolled: 1-line block ×4, first 2 shown]
	v_perm_b32 v94, v232, v231, s96
	s_nop 0
	v_mfma_f32_16x16x16_f16 a[0:3], v[4:5], v[2:3], a[0:3]
	s_barrier
	s_nop 6
	v_accvgpr_read_b32 v2, a0
	v_accvgpr_read_b32 v3, a1
	;; [unrolled: 1-line block ×4, first 2 shown]
	v_cvt_f16_f32_e32 v4, v2
	v_cvt_f16_f32_e32 v5, v3
	;; [unrolled: 1-line block ×4, first 2 shown]
	v_perm_b32 v9, v5, v4, s96
	v_perm_b32 v10, v11, v10, s96
	v_perm_b32 v11, v235, v234, s96
	s_and_saveexec_b64 s[10:11], s[14:15]
	s_cbranch_execz .LBB29_72
; %bb.71:                               ;   in Loop: Header=BB29_10 Depth=1
	v_lshlrev_b32_e32 v4, 2, v64
	v_readfirstlane_b32 s14, v126
	v_readfirstlane_b32 s15, v127
	v_cvt_pk_f16_f32 v11, v25, v26
	v_cvt_pk_f16_f32 v21, v23, v152
	v_cvt_pk_f16_f32 v2, v2, v3
	v_cvt_pk_f16_f32 v9, v18, v19
	v_cvt_pk_f16_f32 v18, v36, v146
	global_load_dword v5, v4, s[14:15]
	v_max_f32_e32 v4, v6, v6
	v_cvt_pk_f16_f32 v19, v105, v149
	v_cvt_pk_f16_f32 v16, v16, v230
	v_cvt_pk_f16_f32 v14, v14, v233
	s_waitcnt vmcnt(0)
	v_max_f32_e32 v20, v5, v5
	v_max_f32_e32 v4, v4, v20
	v_sub_f32_e32 v6, v6, v4
	v_sub_f32_e32 v5, v5, v4
	v_mul_f32_e32 v20, 0x3fb8aa3b, v6
	v_mul_f32_e32 v23, 0x3fb8aa3b, v5
	v_fma_f32 v25, v6, s47, -v20
	v_rndne_f32_e32 v26, v20
	v_fma_f32 v27, v5, s47, -v23
	v_rndne_f32_e32 v28, v23
	v_fmac_f32_e32 v25, 0x32a5705f, v6
	v_sub_f32_e32 v20, v20, v26
	v_fmac_f32_e32 v27, 0x32a5705f, v5
	v_sub_f32_e32 v23, v23, v28
	v_add_f32_e32 v20, v20, v25
	v_cvt_i32_f32_e32 v26, v26
	v_add_f32_e32 v23, v23, v27
	v_exp_f32_e32 v20, v20
	v_cvt_i32_f32_e32 v28, v28
	v_exp_f32_e32 v23, v23
	v_cmp_ngt_f32_e32 vcc, s69, v6
	v_ldexp_f32 v3, v20, v26
	v_ldexp_f32 v20, v23, v28
	v_cndmask_b32_e32 v3, 0, v3, vcc
	v_cmp_ngt_f32_e32 vcc, s69, v5
	s_nop 1
	v_cndmask_b32_e32 v20, 0, v20, vcc
	v_cmp_nlt_f32_e32 vcc, s94, v6
	s_nop 1
	v_cndmask_b32_e32 v3, v228, v3, vcc
	v_cmp_le_f32_e32 vcc, s95, v6
	s_nop 1
	v_cndmask_b32_e32 v3, 0, v3, vcc
	v_cvt_f16_f32_e32 v6, v3
	v_cmp_nlt_f32_e32 vcc, s94, v5
	s_nop 1
	v_cndmask_b32_e32 v5, v228, v20, vcc
	v_fmac_f32_e32 v5, v7, v3
	v_mul_u32_u24_e32 v3, 0x10001, v6
	v_pk_mul_f16 v20, v9, v3
	v_pk_mul_f16 v12, v12, v3
	;; [unrolled: 1-line block ×16, first 2 shown]
	v_mov_b64_e32 v[6:7], v[4:5]
.LBB29_72:                              ;   in Loop: Header=BB29_10 Depth=1
	s_or_b64 exec, exec, s[10:11]
	s_and_saveexec_b64 s[10:11], s[6:7]
; %bb.73:                               ;   in Loop: Header=BB29_10 Depth=1
	v_add_u32_e32 v2, 0, v165
	ds_write2_b32 v2, v6, v7 offset0:64 offset1:65
; %bb.74:                               ;   in Loop: Header=BB29_10 Depth=1
	s_or_b64 exec, exec, s[10:11]
	s_waitcnt lgkmcnt(0)
	s_barrier
	s_and_saveexec_b64 s[10:11], s[12:13]
	s_xor_b64 s[10:11], exec, s[10:11]
	s_cbranch_execz .LBB29_76
; %bb.75:                               ;   in Loop: Header=BB29_10 Depth=1
	s_barrier
                                        ; implicit-def: $vgpr8
.LBB29_76:                              ;   in Loop: Header=BB29_10 Depth=1
	s_andn2_saveexec_b64 s[10:11], s[10:11]
	s_cbranch_execz .LBB29_82
; %bb.77:                               ;   in Loop: Header=BB29_10 Depth=1
	v_add_u32_e32 v3, 0, v166
	ds_read_b64 v[6:7], v3 offset:256
	s_waitcnt lgkmcnt(0)
	s_barrier
	ds_bpermute_b32 v2, v8, v6
	v_max_f32_e32 v4, v6, v6
	s_waitcnt lgkmcnt(0)
	v_max_f32_e32 v2, v2, v2
	v_max_f32_e32 v2, v4, v2
	v_sub_f32_e32 v4, v6, v2
	v_mul_f32_e32 v5, 0x3fb8aa3b, v4
	v_fma_f32 v6, v4, s47, -v5
	v_rndne_f32_e32 v14, v5
	v_fmac_f32_e32 v6, 0x32a5705f, v4
	v_sub_f32_e32 v5, v5, v14
	v_add_f32_e32 v5, v5, v6
	v_cvt_i32_f32_e32 v14, v14
	v_exp_f32_e32 v5, v5
	v_cmp_ngt_f32_e32 vcc, s69, v4
	v_ldexp_f32 v5, v5, v14
	s_nop 0
	v_cndmask_b32_e32 v5, 0, v5, vcc
	v_cmp_nlt_f32_e32 vcc, s94, v4
	s_nop 1
	v_cndmask_b32_e32 v4, v228, v5, vcc
	v_mul_f32_e32 v5, v7, v4
	ds_bpermute_b32 v5, v8, v5
	s_waitcnt lgkmcnt(0)
	v_fmac_f32_e32 v5, v7, v4
	s_and_saveexec_b64 s[14:15], s[8:9]
; %bb.78:                               ;   in Loop: Header=BB29_10 Depth=1
	ds_write_b64 v3, v[4:5] offset:256
; %bb.79:                               ;   in Loop: Header=BB29_10 Depth=1
	s_or_b64 exec, exec, s[14:15]
	s_and_saveexec_b64 s[14:15], s[6:7]
	s_cbranch_execz .LBB29_81
; %bb.80:                               ;   in Loop: Header=BB29_10 Depth=1
	v_mov_b32_e32 v3, v5
	global_store_dwordx2 v[66:67], v[2:3], off
.LBB29_81:                              ;   in Loop: Header=BB29_10 Depth=1
	s_or_b64 exec, exec, s[14:15]
.LBB29_82:                              ;   in Loop: Header=BB29_10 Depth=1
	s_or_b64 exec, exec, s[10:11]
	v_add_u32_e32 v2, v107, v167
	ds_write2_b32 v2, v20, v12 offset1:1
	ds_write2_b32 v2, v27, v17 offset0:8 offset1:9
	ds_write2_b32 v2, v147, v24 offset0:16 offset1:17
	ds_write2_b32 v2, v150, v29 offset0:24 offset1:25
	ds_write2_b32 v2, v153, v22 offset0:32 offset1:33
	ds_write2_b32 v2, v94, v15 offset0:40 offset1:41
	ds_write2_b32 v2, v11, v13 offset0:48 offset1:49
	ds_write2_b32 v2, v9, v10 offset0:56 offset1:57
	s_waitcnt lgkmcnt(0)
	s_barrier
	s_and_saveexec_b64 s[76:77], s[0:1]
	s_cbranch_execz .LBB29_160
; %bb.83:                               ;   in Loop: Header=BB29_10 Depth=1
	v_add_u32_e32 v3, v214, v99
	v_or_b32_e32 v2, v106, v97
	v_cmp_gt_i32_e64 s[10:11], s36, v3
	v_cmp_gt_i32_e32 vcc, s3, v2
	s_and_b64 s[14:15], s[10:11], vcc
	v_mov_b32_e32 v2, 0x47
	s_and_saveexec_b64 s[10:11], s[14:15]
	s_cbranch_execz .LBB29_85
; %bb.84:                               ;   in Loop: Header=BB29_10 Depth=1
	v_mad_u64_u32 v[2:3], s[14:15], v3, s37, v[106:107]
	v_add_u32_e32 v3, v161, v171
	ds_read2st64_b32 v[4:5], v3 offset1:17
	v_add_u32_e32 v3, 0, v171
	ds_read2st64_b32 v[6:7], v3 offset0:1 offset1:18
	v_lshl_add_u32 v2, v2, 6, v30
	v_ashrrev_i32_e32 v3, 31, v2
	s_waitcnt lgkmcnt(1)
	v_cvt_f32_f16_e32 v8, v4
	v_cvt_f32_f16_sdwa v9, v4 dst_sel:DWORD dst_unused:UNUSED_PAD src0_sel:WORD_1
	v_cvt_f32_f16_e32 v4, v5
	v_cvt_f32_f16_sdwa v5, v5 dst_sel:DWORD dst_unused:UNUSED_PAD src0_sel:WORD_1
	v_lshl_add_u64 v[2:3], v[2:3], 3, v[124:125]
	s_waitcnt lgkmcnt(0)
	v_pk_fma_f32 v[8:9], v[6:7], v[8:9], 0 op_sel_hi:[0,1,0]
	v_mov_b32_e32 v6, v7
	v_pk_fma_f32 v[4:5], v[6:7], v[4:5], v[8:9] op_sel_hi:[0,1,1]
	global_store_dwordx2 v[2:3], v[4:5], off
	v_mov_b32_e32 v2, 0
.LBB29_85:                              ;   in Loop: Header=BB29_10 Depth=1
	s_or_b64 exec, exec, s[10:11]
	v_cmp_gt_i32_e64 s[10:11], s97, v2
	s_mov_b64 s[14:15], -1
	s_and_saveexec_b64 s[78:79], s[10:11]
; %bb.86:                               ;   in Loop: Header=BB29_10 Depth=1
	v_cmp_eq_u32_e64 s[10:11], 0, v2
	s_orn2_b64 s[14:15], s[10:11], exec
; %bb.87:                               ;   in Loop: Header=BB29_10 Depth=1
	s_or_b64 exec, exec, s[78:79]
	s_and_b64 exec, exec, s[14:15]
	s_cbranch_execz .LBB29_160
; %bb.88:                               ;   in Loop: Header=BB29_10 Depth=1
	v_add_u32_e32 v3, v215, v99
	v_or_b32_e32 v2, v72, v97
	v_cmp_gt_i32_e64 s[10:11], s36, v3
	v_cmp_gt_i32_e64 s[14:15], s3, v2
	s_and_b64 s[14:15], s[10:11], s[14:15]
	v_mov_b32_e32 v2, 0x47
	s_and_saveexec_b64 s[10:11], s[14:15]
	s_cbranch_execz .LBB29_90
; %bb.89:                               ;   in Loop: Header=BB29_10 Depth=1
	v_mad_u64_u32 v[2:3], s[14:15], v3, s37, v[72:73]
	v_add_u32_e32 v3, v161, v172
	ds_read2st64_b32 v[4:5], v3 offset1:17
	v_add_u32_e32 v3, 0, v172
	ds_read2st64_b32 v[6:7], v3 offset0:1 offset1:18
	v_lshl_add_u32 v2, v2, 6, v30
	v_ashrrev_i32_e32 v3, 31, v2
	s_waitcnt lgkmcnt(1)
	v_cvt_f32_f16_e32 v8, v4
	v_cvt_f32_f16_sdwa v9, v4 dst_sel:DWORD dst_unused:UNUSED_PAD src0_sel:WORD_1
	v_cvt_f32_f16_e32 v4, v5
	v_cvt_f32_f16_sdwa v5, v5 dst_sel:DWORD dst_unused:UNUSED_PAD src0_sel:WORD_1
	v_lshl_add_u64 v[2:3], v[2:3], 3, v[124:125]
	s_waitcnt lgkmcnt(0)
	v_pk_fma_f32 v[8:9], v[6:7], v[8:9], 0 op_sel_hi:[0,1,0]
	v_mov_b32_e32 v6, v7
	v_pk_fma_f32 v[4:5], v[6:7], v[4:5], v[8:9] op_sel_hi:[0,1,1]
	global_store_dwordx2 v[2:3], v[4:5], off
	v_mov_b32_e32 v2, 0
.LBB29_90:                              ;   in Loop: Header=BB29_10 Depth=1
	s_or_b64 exec, exec, s[10:11]
	v_cmp_gt_i32_e64 s[10:11], s97, v2
	s_mov_b64 s[14:15], -1
	s_and_saveexec_b64 s[78:79], s[10:11]
; %bb.91:                               ;   in Loop: Header=BB29_10 Depth=1
	v_cmp_eq_u32_e64 s[10:11], 0, v2
	s_orn2_b64 s[14:15], s[10:11], exec
; %bb.92:                               ;   in Loop: Header=BB29_10 Depth=1
	s_or_b64 exec, exec, s[78:79]
	s_and_b64 exec, exec, s[14:15]
	s_cbranch_execz .LBB29_160
; %bb.93:                               ;   in Loop: Header=BB29_10 Depth=1
	v_add_u32_e32 v3, v216, v99
	v_or_b32_e32 v2, v74, v97
	v_cmp_gt_i32_e64 s[10:11], s36, v3
	v_cmp_gt_i32_e64 s[14:15], s3, v2
	s_and_b64 s[14:15], s[10:11], s[14:15]
	;; [unrolled: 41-line block ×3, first 2 shown]
	v_mov_b32_e32 v2, 0x47
	s_and_saveexec_b64 s[10:11], s[14:15]
	s_cbranch_execz .LBB29_100
; %bb.99:                               ;   in Loop: Header=BB29_10 Depth=1
	v_mad_u64_u32 v[2:3], s[14:15], v3, s37, v[76:77]
	v_add_u32_e32 v3, v161, v174
	ds_read2st64_b32 v[4:5], v3 offset1:17
	v_add_u32_e32 v3, 0, v174
	ds_read2st64_b32 v[6:7], v3 offset0:1 offset1:18
	v_lshl_add_u32 v2, v2, 6, v30
	v_ashrrev_i32_e32 v3, 31, v2
	s_waitcnt lgkmcnt(1)
	v_cvt_f32_f16_e32 v8, v4
	v_cvt_f32_f16_sdwa v9, v4 dst_sel:DWORD dst_unused:UNUSED_PAD src0_sel:WORD_1
	v_cvt_f32_f16_e32 v4, v5
	v_cvt_f32_f16_sdwa v5, v5 dst_sel:DWORD dst_unused:UNUSED_PAD src0_sel:WORD_1
	v_lshl_add_u64 v[2:3], v[2:3], 3, v[124:125]
	s_waitcnt lgkmcnt(0)
	v_pk_fma_f32 v[8:9], v[6:7], v[8:9], 0 op_sel_hi:[0,1,0]
	v_mov_b32_e32 v6, v7
	v_pk_fma_f32 v[4:5], v[6:7], v[4:5], v[8:9] op_sel_hi:[0,1,1]
	global_store_dwordx2 v[2:3], v[4:5], off
	v_mov_b32_e32 v2, 0
.LBB29_100:                             ;   in Loop: Header=BB29_10 Depth=1
	s_or_b64 exec, exec, s[10:11]
	v_cmp_gt_i32_e64 s[10:11], s97, v2
	s_mov_b64 s[14:15], -1
	s_and_saveexec_b64 s[78:79], s[10:11]
; %bb.101:                              ;   in Loop: Header=BB29_10 Depth=1
	v_cmp_eq_u32_e64 s[10:11], 0, v2
	s_orn2_b64 s[14:15], s[10:11], exec
; %bb.102:                              ;   in Loop: Header=BB29_10 Depth=1
	s_or_b64 exec, exec, s[78:79]
	s_and_b64 exec, exec, s[14:15]
	s_cbranch_execz .LBB29_160
; %bb.103:                              ;   in Loop: Header=BB29_10 Depth=1
	v_add_u32_e32 v3, v175, v99
	v_cmp_gt_i32_e64 s[10:11], s36, v3
	s_and_b64 s[14:15], s[10:11], vcc
	v_mov_b32_e32 v2, 0x47
	s_and_saveexec_b64 s[10:11], s[14:15]
	s_cbranch_execz .LBB29_105
; %bb.104:                              ;   in Loop: Header=BB29_10 Depth=1
	v_mad_u64_u32 v[2:3], s[14:15], v3, s37, v[106:107]
	v_add_u32_e32 v3, v161, v176
	ds_read2st64_b32 v[4:5], v3 offset1:17
	v_add_u32_e32 v3, 0, v176
	ds_read2st64_b32 v[6:7], v3 offset0:1 offset1:18
	v_lshl_add_u32 v2, v2, 6, v30
	v_ashrrev_i32_e32 v3, 31, v2
	s_waitcnt lgkmcnt(1)
	v_cvt_f32_f16_e32 v8, v4
	v_cvt_f32_f16_sdwa v9, v4 dst_sel:DWORD dst_unused:UNUSED_PAD src0_sel:WORD_1
	v_cvt_f32_f16_e32 v4, v5
	v_cvt_f32_f16_sdwa v5, v5 dst_sel:DWORD dst_unused:UNUSED_PAD src0_sel:WORD_1
	v_lshl_add_u64 v[2:3], v[2:3], 3, v[124:125]
	s_waitcnt lgkmcnt(0)
	v_pk_fma_f32 v[8:9], v[6:7], v[8:9], 0 op_sel_hi:[0,1,0]
	v_mov_b32_e32 v6, v7
	v_pk_fma_f32 v[4:5], v[6:7], v[4:5], v[8:9] op_sel_hi:[0,1,1]
	global_store_dwordx2 v[2:3], v[4:5], off
	v_mov_b32_e32 v2, 0
.LBB29_105:                             ;   in Loop: Header=BB29_10 Depth=1
	s_or_b64 exec, exec, s[10:11]
	v_cmp_gt_i32_e64 s[10:11], s97, v2
	s_mov_b64 s[14:15], -1
	s_and_saveexec_b64 s[78:79], s[10:11]
; %bb.106:                              ;   in Loop: Header=BB29_10 Depth=1
	v_cmp_eq_u32_e64 s[10:11], 0, v2
	s_orn2_b64 s[14:15], s[10:11], exec
; %bb.107:                              ;   in Loop: Header=BB29_10 Depth=1
	s_or_b64 exec, exec, s[78:79]
	s_and_b64 exec, exec, s[14:15]
	s_cbranch_execz .LBB29_160
; %bb.108:                              ;   in Loop: Header=BB29_10 Depth=1
	v_add_u32_e32 v3, v218, v99
	v_or_b32_e32 v2, v78, v97
	v_cmp_gt_i32_e64 s[10:11], s36, v3
	v_cmp_gt_i32_e64 s[14:15], s3, v2
	s_and_b64 s[14:15], s[10:11], s[14:15]
	v_mov_b32_e32 v2, 0x47
	s_and_saveexec_b64 s[10:11], s[14:15]
	s_cbranch_execz .LBB29_110
; %bb.109:                              ;   in Loop: Header=BB29_10 Depth=1
	v_mad_u64_u32 v[2:3], s[14:15], v3, s37, v[78:79]
	v_add_u32_e32 v3, v161, v177
	ds_read2st64_b32 v[4:5], v3 offset1:17
	v_add_u32_e32 v3, 0, v177
	ds_read2st64_b32 v[6:7], v3 offset0:1 offset1:18
	v_lshl_add_u32 v2, v2, 6, v30
	v_ashrrev_i32_e32 v3, 31, v2
	s_waitcnt lgkmcnt(1)
	v_cvt_f32_f16_e32 v8, v4
	v_cvt_f32_f16_sdwa v9, v4 dst_sel:DWORD dst_unused:UNUSED_PAD src0_sel:WORD_1
	v_cvt_f32_f16_e32 v4, v5
	v_cvt_f32_f16_sdwa v5, v5 dst_sel:DWORD dst_unused:UNUSED_PAD src0_sel:WORD_1
	v_lshl_add_u64 v[2:3], v[2:3], 3, v[124:125]
	s_waitcnt lgkmcnt(0)
	v_pk_fma_f32 v[8:9], v[6:7], v[8:9], 0 op_sel_hi:[0,1,0]
	v_mov_b32_e32 v6, v7
	v_pk_fma_f32 v[4:5], v[6:7], v[4:5], v[8:9] op_sel_hi:[0,1,1]
	global_store_dwordx2 v[2:3], v[4:5], off
	v_mov_b32_e32 v2, 0
.LBB29_110:                             ;   in Loop: Header=BB29_10 Depth=1
	s_or_b64 exec, exec, s[10:11]
	v_cmp_gt_i32_e64 s[10:11], s97, v2
	s_mov_b64 s[14:15], -1
	s_and_saveexec_b64 s[78:79], s[10:11]
; %bb.111:                              ;   in Loop: Header=BB29_10 Depth=1
	v_cmp_eq_u32_e64 s[10:11], 0, v2
	s_orn2_b64 s[14:15], s[10:11], exec
; %bb.112:                              ;   in Loop: Header=BB29_10 Depth=1
	s_or_b64 exec, exec, s[78:79]
	s_and_b64 exec, exec, s[14:15]
	s_cbranch_execz .LBB29_160
; %bb.113:                              ;   in Loop: Header=BB29_10 Depth=1
	v_add_u32_e32 v3, v219, v99
	v_or_b32_e32 v2, v80, v97
	v_cmp_gt_i32_e64 s[10:11], s36, v3
	v_cmp_gt_i32_e64 s[14:15], s3, v2
	s_and_b64 s[14:15], s[10:11], s[14:15]
	;; [unrolled: 41-line block ×3, first 2 shown]
	v_mov_b32_e32 v2, 0x47
	s_and_saveexec_b64 s[10:11], s[14:15]
	s_cbranch_execz .LBB29_120
; %bb.119:                              ;   in Loop: Header=BB29_10 Depth=1
	v_mad_u64_u32 v[2:3], s[14:15], v3, s37, v[82:83]
	v_add_u32_e32 v3, v161, v179
	ds_read2st64_b32 v[4:5], v3 offset1:17
	v_add_u32_e32 v3, 0, v179
	ds_read2st64_b32 v[6:7], v3 offset0:1 offset1:18
	v_lshl_add_u32 v2, v2, 6, v30
	v_ashrrev_i32_e32 v3, 31, v2
	s_waitcnt lgkmcnt(1)
	v_cvt_f32_f16_e32 v8, v4
	v_cvt_f32_f16_sdwa v9, v4 dst_sel:DWORD dst_unused:UNUSED_PAD src0_sel:WORD_1
	v_cvt_f32_f16_e32 v4, v5
	v_cvt_f32_f16_sdwa v5, v5 dst_sel:DWORD dst_unused:UNUSED_PAD src0_sel:WORD_1
	v_lshl_add_u64 v[2:3], v[2:3], 3, v[124:125]
	s_waitcnt lgkmcnt(0)
	v_pk_fma_f32 v[8:9], v[6:7], v[8:9], 0 op_sel_hi:[0,1,0]
	v_mov_b32_e32 v6, v7
	v_pk_fma_f32 v[4:5], v[6:7], v[4:5], v[8:9] op_sel_hi:[0,1,1]
	global_store_dwordx2 v[2:3], v[4:5], off
	v_mov_b32_e32 v2, 0
.LBB29_120:                             ;   in Loop: Header=BB29_10 Depth=1
	s_or_b64 exec, exec, s[10:11]
	v_cmp_gt_i32_e64 s[10:11], s97, v2
	s_mov_b64 s[14:15], -1
	s_and_saveexec_b64 s[78:79], s[10:11]
; %bb.121:                              ;   in Loop: Header=BB29_10 Depth=1
	v_cmp_eq_u32_e64 s[10:11], 0, v2
	s_orn2_b64 s[14:15], s[10:11], exec
; %bb.122:                              ;   in Loop: Header=BB29_10 Depth=1
	s_or_b64 exec, exec, s[78:79]
	s_and_b64 exec, exec, s[14:15]
	s_cbranch_execz .LBB29_160
; %bb.123:                              ;   in Loop: Header=BB29_10 Depth=1
	v_add_u32_e32 v3, v180, v99
	v_cmp_gt_i32_e64 s[10:11], s36, v3
	s_and_b64 s[14:15], s[10:11], vcc
	v_mov_b32_e32 v2, 0x47
	s_and_saveexec_b64 s[10:11], s[14:15]
	s_cbranch_execz .LBB29_125
; %bb.124:                              ;   in Loop: Header=BB29_10 Depth=1
	v_mad_u64_u32 v[2:3], s[14:15], v3, s37, v[106:107]
	v_add_u32_e32 v3, v161, v181
	ds_read2st64_b32 v[4:5], v3 offset1:17
	v_add_u32_e32 v3, 0, v181
	ds_read2st64_b32 v[6:7], v3 offset0:1 offset1:18
	v_lshl_add_u32 v2, v2, 6, v30
	v_ashrrev_i32_e32 v3, 31, v2
	s_waitcnt lgkmcnt(1)
	v_cvt_f32_f16_e32 v8, v4
	v_cvt_f32_f16_sdwa v9, v4 dst_sel:DWORD dst_unused:UNUSED_PAD src0_sel:WORD_1
	v_cvt_f32_f16_e32 v4, v5
	v_cvt_f32_f16_sdwa v5, v5 dst_sel:DWORD dst_unused:UNUSED_PAD src0_sel:WORD_1
	v_lshl_add_u64 v[2:3], v[2:3], 3, v[124:125]
	s_waitcnt lgkmcnt(0)
	v_pk_fma_f32 v[8:9], v[6:7], v[8:9], 0 op_sel_hi:[0,1,0]
	v_mov_b32_e32 v6, v7
	v_pk_fma_f32 v[4:5], v[6:7], v[4:5], v[8:9] op_sel_hi:[0,1,1]
	global_store_dwordx2 v[2:3], v[4:5], off
	v_mov_b32_e32 v2, 0
.LBB29_125:                             ;   in Loop: Header=BB29_10 Depth=1
	s_or_b64 exec, exec, s[10:11]
	v_cmp_gt_i32_e64 s[10:11], s97, v2
	s_mov_b64 s[14:15], -1
	s_and_saveexec_b64 s[78:79], s[10:11]
; %bb.126:                              ;   in Loop: Header=BB29_10 Depth=1
	v_cmp_eq_u32_e64 s[10:11], 0, v2
	s_orn2_b64 s[14:15], s[10:11], exec
; %bb.127:                              ;   in Loop: Header=BB29_10 Depth=1
	s_or_b64 exec, exec, s[78:79]
	s_and_b64 exec, exec, s[14:15]
	s_cbranch_execz .LBB29_160
; %bb.128:                              ;   in Loop: Header=BB29_10 Depth=1
	v_add_u32_e32 v3, v221, v99
	v_or_b32_e32 v2, v84, v97
	v_cmp_gt_i32_e64 s[10:11], s36, v3
	v_cmp_gt_i32_e64 s[14:15], s3, v2
	s_and_b64 s[14:15], s[10:11], s[14:15]
	v_mov_b32_e32 v2, 0x47
	s_and_saveexec_b64 s[10:11], s[14:15]
	s_cbranch_execz .LBB29_130
; %bb.129:                              ;   in Loop: Header=BB29_10 Depth=1
	v_mad_u64_u32 v[2:3], s[14:15], v3, s37, v[84:85]
	v_add_u32_e32 v3, v161, v182
	ds_read2st64_b32 v[4:5], v3 offset1:17
	v_add_u32_e32 v3, 0, v182
	ds_read2st64_b32 v[6:7], v3 offset0:1 offset1:18
	v_lshl_add_u32 v2, v2, 6, v30
	v_ashrrev_i32_e32 v3, 31, v2
	s_waitcnt lgkmcnt(1)
	v_cvt_f32_f16_e32 v8, v4
	v_cvt_f32_f16_sdwa v9, v4 dst_sel:DWORD dst_unused:UNUSED_PAD src0_sel:WORD_1
	v_cvt_f32_f16_e32 v4, v5
	v_cvt_f32_f16_sdwa v5, v5 dst_sel:DWORD dst_unused:UNUSED_PAD src0_sel:WORD_1
	v_lshl_add_u64 v[2:3], v[2:3], 3, v[124:125]
	s_waitcnt lgkmcnt(0)
	v_pk_fma_f32 v[8:9], v[6:7], v[8:9], 0 op_sel_hi:[0,1,0]
	v_mov_b32_e32 v6, v7
	v_pk_fma_f32 v[4:5], v[6:7], v[4:5], v[8:9] op_sel_hi:[0,1,1]
	global_store_dwordx2 v[2:3], v[4:5], off
	v_mov_b32_e32 v2, 0
.LBB29_130:                             ;   in Loop: Header=BB29_10 Depth=1
	s_or_b64 exec, exec, s[10:11]
	v_cmp_gt_i32_e64 s[10:11], s97, v2
	s_mov_b64 s[14:15], -1
	s_and_saveexec_b64 s[78:79], s[10:11]
; %bb.131:                              ;   in Loop: Header=BB29_10 Depth=1
	v_cmp_eq_u32_e64 s[10:11], 0, v2
	s_orn2_b64 s[14:15], s[10:11], exec
; %bb.132:                              ;   in Loop: Header=BB29_10 Depth=1
	s_or_b64 exec, exec, s[78:79]
	s_and_b64 exec, exec, s[14:15]
	s_cbranch_execz .LBB29_160
; %bb.133:                              ;   in Loop: Header=BB29_10 Depth=1
	v_add_u32_e32 v3, v222, v99
	v_or_b32_e32 v2, v86, v97
	v_cmp_gt_i32_e64 s[10:11], s36, v3
	v_cmp_gt_i32_e64 s[14:15], s3, v2
	s_and_b64 s[14:15], s[10:11], s[14:15]
	;; [unrolled: 41-line block ×3, first 2 shown]
	v_mov_b32_e32 v2, 0x47
	s_and_saveexec_b64 s[10:11], s[14:15]
	s_cbranch_execz .LBB29_140
; %bb.139:                              ;   in Loop: Header=BB29_10 Depth=1
	v_mad_u64_u32 v[2:3], s[14:15], v3, s37, v[88:89]
	v_add_u32_e32 v3, v161, v184
	ds_read2st64_b32 v[4:5], v3 offset1:17
	v_add_u32_e32 v3, 0, v184
	ds_read2st64_b32 v[6:7], v3 offset0:1 offset1:18
	v_lshl_add_u32 v2, v2, 6, v30
	v_ashrrev_i32_e32 v3, 31, v2
	s_waitcnt lgkmcnt(1)
	v_cvt_f32_f16_e32 v8, v4
	v_cvt_f32_f16_sdwa v9, v4 dst_sel:DWORD dst_unused:UNUSED_PAD src0_sel:WORD_1
	v_cvt_f32_f16_e32 v4, v5
	v_cvt_f32_f16_sdwa v5, v5 dst_sel:DWORD dst_unused:UNUSED_PAD src0_sel:WORD_1
	v_lshl_add_u64 v[2:3], v[2:3], 3, v[124:125]
	s_waitcnt lgkmcnt(0)
	v_pk_fma_f32 v[8:9], v[6:7], v[8:9], 0 op_sel_hi:[0,1,0]
	v_mov_b32_e32 v6, v7
	v_pk_fma_f32 v[4:5], v[6:7], v[4:5], v[8:9] op_sel_hi:[0,1,1]
	global_store_dwordx2 v[2:3], v[4:5], off
	v_mov_b32_e32 v2, 0
.LBB29_140:                             ;   in Loop: Header=BB29_10 Depth=1
	s_or_b64 exec, exec, s[10:11]
	v_cmp_gt_i32_e64 s[10:11], s97, v2
	s_mov_b64 s[14:15], -1
	s_and_saveexec_b64 s[78:79], s[10:11]
; %bb.141:                              ;   in Loop: Header=BB29_10 Depth=1
	v_cmp_eq_u32_e64 s[10:11], 0, v2
	s_orn2_b64 s[14:15], s[10:11], exec
; %bb.142:                              ;   in Loop: Header=BB29_10 Depth=1
	s_or_b64 exec, exec, s[78:79]
	s_and_b64 exec, exec, s[14:15]
	s_cbranch_execz .LBB29_160
; %bb.143:                              ;   in Loop: Header=BB29_10 Depth=1
	v_accvgpr_read_b32 v2, a8
	v_add_u32_e32 v3, v2, v99
	v_cmp_gt_i32_e64 s[10:11], s36, v3
	s_and_b64 s[14:15], s[10:11], vcc
	v_mov_b32_e32 v2, 0x47
	s_and_saveexec_b64 s[10:11], s[14:15]
	s_cbranch_execz .LBB29_145
; %bb.144:                              ;   in Loop: Header=BB29_10 Depth=1
	v_mad_u64_u32 v[2:3], s[14:15], v3, s37, v[106:107]
	v_accvgpr_read_b32 v6, a9
	v_add_u32_e32 v3, v161, v6
	ds_read2st64_b32 v[4:5], v3 offset1:17
	v_add_u32_e32 v3, 0, v6
	ds_read2st64_b32 v[6:7], v3 offset0:1 offset1:18
	v_lshl_add_u32 v2, v2, 6, v30
	v_ashrrev_i32_e32 v3, 31, v2
	s_waitcnt lgkmcnt(1)
	v_cvt_f32_f16_e32 v8, v4
	v_cvt_f32_f16_sdwa v9, v4 dst_sel:DWORD dst_unused:UNUSED_PAD src0_sel:WORD_1
	v_cvt_f32_f16_e32 v4, v5
	v_cvt_f32_f16_sdwa v5, v5 dst_sel:DWORD dst_unused:UNUSED_PAD src0_sel:WORD_1
	v_lshl_add_u64 v[2:3], v[2:3], 3, v[124:125]
	s_waitcnt lgkmcnt(0)
	v_pk_fma_f32 v[8:9], v[6:7], v[8:9], 0 op_sel_hi:[0,1,0]
	v_mov_b32_e32 v6, v7
	v_pk_fma_f32 v[4:5], v[6:7], v[4:5], v[8:9] op_sel_hi:[0,1,1]
	global_store_dwordx2 v[2:3], v[4:5], off
	v_mov_b32_e32 v2, 0
.LBB29_145:                             ;   in Loop: Header=BB29_10 Depth=1
	s_or_b64 exec, exec, s[10:11]
	v_cmp_gt_i32_e32 vcc, s97, v2
	s_mov_b64 s[10:11], -1
	s_and_saveexec_b64 s[14:15], vcc
; %bb.146:                              ;   in Loop: Header=BB29_10 Depth=1
	v_cmp_eq_u32_e32 vcc, 0, v2
	s_orn2_b64 s[10:11], vcc, exec
; %bb.147:                              ;   in Loop: Header=BB29_10 Depth=1
	s_or_b64 exec, exec, s[14:15]
	s_and_b64 exec, exec, s[10:11]
	s_cbranch_execz .LBB29_160
; %bb.148:                              ;   in Loop: Header=BB29_10 Depth=1
	v_accvgpr_read_b32 v2, a13
	v_add_u32_e32 v3, v2, v99
	v_or_b32_e32 v2, v90, v97
	v_cmp_gt_i32_e32 vcc, s36, v3
	v_cmp_gt_i32_e64 s[10:11], s3, v2
	s_and_b64 s[14:15], vcc, s[10:11]
	v_mov_b32_e32 v2, 0x47
	s_and_saveexec_b64 s[10:11], s[14:15]
	s_cbranch_execz .LBB29_150
; %bb.149:                              ;   in Loop: Header=BB29_10 Depth=1
	v_mad_u64_u32 v[2:3], s[14:15], v3, s37, v[90:91]
	v_accvgpr_read_b32 v6, a10
	v_add_u32_e32 v3, v161, v6
	ds_read2st64_b32 v[4:5], v3 offset1:17
	v_add_u32_e32 v3, 0, v6
	ds_read2st64_b32 v[6:7], v3 offset0:1 offset1:18
	v_lshl_add_u32 v2, v2, 6, v30
	v_ashrrev_i32_e32 v3, 31, v2
	s_waitcnt lgkmcnt(1)
	v_cvt_f32_f16_e32 v8, v4
	v_cvt_f32_f16_sdwa v9, v4 dst_sel:DWORD dst_unused:UNUSED_PAD src0_sel:WORD_1
	v_cvt_f32_f16_e32 v4, v5
	v_cvt_f32_f16_sdwa v5, v5 dst_sel:DWORD dst_unused:UNUSED_PAD src0_sel:WORD_1
	v_lshl_add_u64 v[2:3], v[2:3], 3, v[124:125]
	s_waitcnt lgkmcnt(0)
	v_pk_fma_f32 v[8:9], v[6:7], v[8:9], 0 op_sel_hi:[0,1,0]
	v_mov_b32_e32 v6, v7
	v_pk_fma_f32 v[4:5], v[6:7], v[4:5], v[8:9] op_sel_hi:[0,1,1]
	global_store_dwordx2 v[2:3], v[4:5], off
	v_mov_b32_e32 v2, 0
.LBB29_150:                             ;   in Loop: Header=BB29_10 Depth=1
	s_or_b64 exec, exec, s[10:11]
	v_cmp_gt_i32_e32 vcc, s97, v2
	s_mov_b64 s[10:11], -1
	s_and_saveexec_b64 s[14:15], vcc
; %bb.151:                              ;   in Loop: Header=BB29_10 Depth=1
	v_cmp_eq_u32_e32 vcc, 0, v2
	s_orn2_b64 s[10:11], vcc, exec
; %bb.152:                              ;   in Loop: Header=BB29_10 Depth=1
	s_or_b64 exec, exec, s[14:15]
	s_and_b64 exec, exec, s[10:11]
	s_cbranch_execz .LBB29_160
; %bb.153:                              ;   in Loop: Header=BB29_10 Depth=1
	v_accvgpr_read_b32 v2, a14
	v_add_u32_e32 v3, v2, v99
	v_accvgpr_read_b32 v2, a16
	v_or_b32_e32 v2, v2, v97
	v_cmp_gt_i32_e32 vcc, s36, v3
	v_cmp_gt_i32_e64 s[10:11], s3, v2
	s_and_b64 s[14:15], vcc, s[10:11]
	v_mov_b32_e32 v2, 0x47
	s_and_saveexec_b64 s[10:11], s[14:15]
	s_cbranch_execz .LBB29_155
; %bb.154:                              ;   in Loop: Header=BB29_10 Depth=1
	v_accvgpr_read_b32 v2, a16
	v_mad_u64_u32 v[2:3], s[14:15], v3, s37, v[2:3]
	v_accvgpr_read_b32 v6, a11
	v_add_u32_e32 v3, v161, v6
	ds_read2st64_b32 v[4:5], v3 offset1:17
	v_add_u32_e32 v3, 0, v6
	ds_read2st64_b32 v[6:7], v3 offset0:1 offset1:18
	v_lshl_add_u32 v2, v2, 6, v30
	v_ashrrev_i32_e32 v3, 31, v2
	s_waitcnt lgkmcnt(1)
	v_cvt_f32_f16_e32 v8, v4
	v_cvt_f32_f16_sdwa v9, v4 dst_sel:DWORD dst_unused:UNUSED_PAD src0_sel:WORD_1
	v_cvt_f32_f16_e32 v4, v5
	v_cvt_f32_f16_sdwa v5, v5 dst_sel:DWORD dst_unused:UNUSED_PAD src0_sel:WORD_1
	v_lshl_add_u64 v[2:3], v[2:3], 3, v[124:125]
	s_waitcnt lgkmcnt(0)
	v_pk_fma_f32 v[8:9], v[6:7], v[8:9], 0 op_sel_hi:[0,1,0]
	v_mov_b32_e32 v6, v7
	v_pk_fma_f32 v[4:5], v[6:7], v[4:5], v[8:9] op_sel_hi:[0,1,1]
	global_store_dwordx2 v[2:3], v[4:5], off
	v_mov_b32_e32 v2, 0
.LBB29_155:                             ;   in Loop: Header=BB29_10 Depth=1
	s_or_b64 exec, exec, s[10:11]
	v_cmp_gt_i32_e32 vcc, s97, v2
	s_mov_b64 s[10:11], -1
	s_and_saveexec_b64 s[14:15], vcc
; %bb.156:                              ;   in Loop: Header=BB29_10 Depth=1
	v_cmp_eq_u32_e32 vcc, 0, v2
	s_orn2_b64 s[10:11], vcc, exec
; %bb.157:                              ;   in Loop: Header=BB29_10 Depth=1
	s_or_b64 exec, exec, s[14:15]
	s_and_b64 exec, exec, s[10:11]
	s_cbranch_execz .LBB29_160
; %bb.158:                              ;   in Loop: Header=BB29_10 Depth=1
	v_accvgpr_read_b32 v2, a15
	v_accvgpr_read_b32 v4, a18
	v_add_u32_e32 v2, v2, v99
	v_or_b32_e32 v3, v4, v97
	v_cmp_gt_i32_e32 vcc, s36, v2
	v_cmp_gt_i32_e64 s[10:11], s3, v3
	s_and_b64 s[10:11], vcc, s[10:11]
	s_and_b64 exec, exec, s[10:11]
	s_cbranch_execz .LBB29_160
; %bb.159:                              ;   in Loop: Header=BB29_10 Depth=1
	v_accvgpr_read_b32 v4, a18
	v_mad_u64_u32 v[2:3], s[10:11], v2, s37, v[4:5]
	v_accvgpr_read_b32 v6, a12
	v_add_u32_e32 v3, v161, v6
	ds_read2st64_b32 v[4:5], v3 offset1:17
	v_add_u32_e32 v3, 0, v6
	ds_read2st64_b32 v[6:7], v3 offset0:1 offset1:18
	v_lshl_add_u32 v2, v2, 6, v30
	v_ashrrev_i32_e32 v3, 31, v2
	s_waitcnt lgkmcnt(1)
	v_cvt_f32_f16_e32 v8, v4
	v_cvt_f32_f16_sdwa v9, v4 dst_sel:DWORD dst_unused:UNUSED_PAD src0_sel:WORD_1
	v_cvt_f32_f16_e32 v4, v5
	v_cvt_f32_f16_sdwa v5, v5 dst_sel:DWORD dst_unused:UNUSED_PAD src0_sel:WORD_1
	v_lshl_add_u64 v[2:3], v[2:3], 3, v[124:125]
	s_waitcnt lgkmcnt(0)
	v_pk_fma_f32 v[8:9], v[6:7], v[8:9], 0 op_sel_hi:[0,1,0]
	v_mov_b32_e32 v6, v7
	v_pk_fma_f32 v[4:5], v[6:7], v[4:5], v[8:9] op_sel_hi:[0,1,1]
	global_store_dwordx2 v[2:3], v[4:5], off
.LBB29_160:                             ;   in Loop: Header=BB29_10 Depth=1
	s_or_b64 exec, exec, s[76:77]
	s_barrier
	s_branch .LBB29_9
.LBB29_161:                             ;   in Loop: Header=BB29_10 Depth=1
	v_cmp_le_i32_e64 s[10:11], s36, v101
	v_cmp_le_i32_e64 s[14:15], s3, v103
	v_cmp_gt_i32_e32 vcc, s3, v103
	s_or_b64 s[10:11], s[10:11], s[14:15]
	s_and_saveexec_b64 s[14:15], s[10:11]
	s_xor_b64 s[10:11], exec, s[14:15]
; %bb.162:                              ;   in Loop: Header=BB29_10 Depth=1
	v_add_u32_e32 v2, v161, v196
	ds_write_b32 v2, v37
                                        ; implicit-def: $vgpr101
; %bb.163:                              ;   in Loop: Header=BB29_10 Depth=1
	s_andn2_saveexec_b64 s[10:11], s[10:11]
	s_cbranch_execz .LBB29_165
; %bb.164:                              ;   in Loop: Header=BB29_10 Depth=1
	v_mad_u64_u32 v[2:3], s[14:15], v101, s57, v[96:97]
	v_ashrrev_i32_e32 v3, 31, v2
	v_lshl_add_u64 v[2:3], v[2:3], 3, v[140:141]
	global_load_dwordx2 v[2:3], v[2:3], off
	s_waitcnt vmcnt(0)
	v_cvt_pk_f16_f32 v2, v2, v3
	v_pk_mul_f16 v2, v2, v192
	v_add_u32_e32 v3, v161, v196
	ds_write_b32 v3, v2
.LBB29_165:                             ;   in Loop: Header=BB29_10 Depth=1
	s_or_b64 exec, exec, s[10:11]
	v_add_u32_e32 v2, v197, v99
	v_or_b32_e32 v3, v198, v97
	v_cmp_le_i32_e64 s[10:11], s36, v2
	v_cmp_le_i32_e64 s[14:15], s3, v3
	s_or_b64 s[10:11], s[10:11], s[14:15]
	s_and_saveexec_b64 s[14:15], s[10:11]
	s_xor_b64 s[10:11], exec, s[14:15]
; %bb.166:                              ;   in Loop: Header=BB29_10 Depth=1
	v_add_u32_e32 v2, v161, v196
	ds_write_b32 v2, v37 offset:1600
                                        ; implicit-def: $vgpr2
; %bb.167:                              ;   in Loop: Header=BB29_10 Depth=1
	s_andn2_saveexec_b64 s[10:11], s[10:11]
	s_cbranch_execz .LBB29_169
; %bb.168:                              ;   in Loop: Header=BB29_10 Depth=1
	v_mad_u64_u32 v[2:3], s[14:15], v2, s57, v[98:99]
	v_ashrrev_i32_e32 v3, 31, v2
	v_lshl_add_u64 v[2:3], v[2:3], 3, v[140:141]
	global_load_dwordx2 v[2:3], v[2:3], off
	s_waitcnt vmcnt(0)
	v_cvt_pk_f16_f32 v2, v2, v3
	v_pk_mul_f16 v2, v2, v192
	v_add_u32_e32 v3, v161, v196
	ds_write_b32 v3, v2 offset:1600
.LBB29_169:                             ;   in Loop: Header=BB29_10 Depth=1
	s_or_b64 exec, exec, s[10:11]
	v_add_u32_e32 v2, v199, v99
	v_cmp_le_i32_e64 s[10:11], s36, v2
	s_xor_b64 s[14:15], vcc, -1
	s_or_b64 s[10:11], s[10:11], s[14:15]
	s_and_saveexec_b64 s[76:77], s[10:11]
	s_xor_b64 s[10:11], exec, s[76:77]
; %bb.170:                              ;   in Loop: Header=BB29_10 Depth=1
	v_add_u32_e32 v2, v161, v196
	ds_write_b32 v2, v37 offset:3200
                                        ; implicit-def: $vgpr2
; %bb.171:                              ;   in Loop: Header=BB29_10 Depth=1
	s_andn2_saveexec_b64 s[10:11], s[10:11]
	s_cbranch_execz .LBB29_173
; %bb.172:                              ;   in Loop: Header=BB29_10 Depth=1
	v_mad_u64_u32 v[2:3], s[76:77], v2, s57, v[96:97]
	v_ashrrev_i32_e32 v3, 31, v2
	v_lshl_add_u64 v[2:3], v[2:3], 3, v[140:141]
	global_load_dwordx2 v[2:3], v[2:3], off
	s_waitcnt vmcnt(0)
	v_cvt_pk_f16_f32 v2, v2, v3
	v_pk_mul_f16 v2, v2, v192
	v_add_u32_e32 v3, v161, v196
	ds_write_b32 v3, v2 offset:3200
.LBB29_173:                             ;   in Loop: Header=BB29_10 Depth=1
	s_or_b64 exec, exec, s[10:11]
	v_add_u32_e32 v2, v200, v99
	v_or_b32_e32 v3, v201, v97
	v_cmp_le_i32_e32 vcc, s36, v2
	v_cmp_le_i32_e64 s[10:11], s3, v3
	s_or_b64 s[10:11], vcc, s[10:11]
	s_and_saveexec_b64 s[76:77], s[10:11]
	s_xor_b64 s[10:11], exec, s[76:77]
; %bb.174:                              ;   in Loop: Header=BB29_10 Depth=1
	v_add_u32_e32 v2, v161, v196
	ds_write_b32 v2, v37 offset:4800
                                        ; implicit-def: $vgpr2
; %bb.175:                              ;   in Loop: Header=BB29_10 Depth=1
	s_andn2_saveexec_b64 s[10:11], s[10:11]
	s_cbranch_execz .LBB29_177
; %bb.176:                              ;   in Loop: Header=BB29_10 Depth=1
	v_mad_u64_u32 v[2:3], s[76:77], v2, s57, v[100:101]
	v_ashrrev_i32_e32 v3, 31, v2
	v_lshl_add_u64 v[2:3], v[2:3], 3, v[140:141]
	global_load_dwordx2 v[2:3], v[2:3], off
	s_waitcnt vmcnt(0)
	v_cvt_pk_f16_f32 v2, v2, v3
	v_pk_mul_f16 v2, v2, v192
	v_add_u32_e32 v3, v161, v196
	ds_write_b32 v3, v2 offset:4800
.LBB29_177:                             ;   in Loop: Header=BB29_10 Depth=1
	s_or_b64 exec, exec, s[10:11]
	v_add_u32_e32 v2, v202, v99
	v_cmp_le_i32_e32 vcc, s36, v2
	s_or_b64 s[10:11], vcc, s[14:15]
	s_and_saveexec_b64 s[76:77], s[10:11]
	s_xor_b64 s[10:11], exec, s[76:77]
; %bb.178:                              ;   in Loop: Header=BB29_10 Depth=1
	v_add_u32_e32 v2, v161, v196
	ds_write_b32 v2, v37 offset:6400
                                        ; implicit-def: $vgpr2
; %bb.179:                              ;   in Loop: Header=BB29_10 Depth=1
	s_andn2_saveexec_b64 s[10:11], s[10:11]
	s_cbranch_execz .LBB29_181
; %bb.180:                              ;   in Loop: Header=BB29_10 Depth=1
	v_mad_u64_u32 v[2:3], s[76:77], v2, s57, v[96:97]
	v_ashrrev_i32_e32 v3, 31, v2
	v_lshl_add_u64 v[2:3], v[2:3], 3, v[140:141]
	global_load_dwordx2 v[2:3], v[2:3], off
	s_waitcnt vmcnt(0)
	v_cvt_pk_f16_f32 v2, v2, v3
	v_pk_mul_f16 v2, v2, v192
	v_add_u32_e32 v3, v161, v196
	ds_write_b32 v3, v2 offset:6400
.LBB29_181:                             ;   in Loop: Header=BB29_10 Depth=1
	s_or_b64 exec, exec, s[10:11]
	v_add_u32_e32 v2, v203, v99
	v_or_b32_e32 v3, v204, v97
	v_cmp_le_i32_e32 vcc, s36, v2
	v_cmp_le_i32_e64 s[10:11], s3, v3
	s_or_b64 s[10:11], vcc, s[10:11]
	s_and_saveexec_b64 s[76:77], s[10:11]
	s_xor_b64 s[10:11], exec, s[76:77]
; %bb.182:                              ;   in Loop: Header=BB29_10 Depth=1
	v_add_u32_e32 v2, v161, v196
	ds_write_b32 v2, v37 offset:8000
                                        ; implicit-def: $vgpr2
; %bb.183:                              ;   in Loop: Header=BB29_10 Depth=1
	s_andn2_saveexec_b64 s[10:11], s[10:11]
	s_cbranch_execz .LBB29_185
; %bb.184:                              ;   in Loop: Header=BB29_10 Depth=1
	v_mad_u64_u32 v[2:3], s[76:77], v2, s57, v[102:103]
	v_ashrrev_i32_e32 v3, 31, v2
	v_lshl_add_u64 v[2:3], v[2:3], 3, v[140:141]
	global_load_dwordx2 v[2:3], v[2:3], off
	s_waitcnt vmcnt(0)
	v_cvt_pk_f16_f32 v2, v2, v3
	v_pk_mul_f16 v2, v2, v192
	v_add_u32_e32 v3, v161, v196
	ds_write_b32 v3, v2 offset:8000
.LBB29_185:                             ;   in Loop: Header=BB29_10 Depth=1
	s_or_b64 exec, exec, s[10:11]
	v_add_u32_e32 v2, v205, v99
	v_cmp_le_i32_e32 vcc, s36, v2
	s_or_b64 s[10:11], vcc, s[14:15]
	s_and_saveexec_b64 s[14:15], s[10:11]
	s_xor_b64 s[10:11], exec, s[14:15]
; %bb.186:                              ;   in Loop: Header=BB29_10 Depth=1
	v_add_u32_e32 v2, v161, v196
	ds_write_b32 v2, v37 offset:9600
                                        ; implicit-def: $vgpr2
; %bb.187:                              ;   in Loop: Header=BB29_10 Depth=1
	s_andn2_saveexec_b64 s[10:11], s[10:11]
	s_cbranch_execz .LBB29_189
; %bb.188:                              ;   in Loop: Header=BB29_10 Depth=1
	v_mad_u64_u32 v[2:3], s[14:15], v2, s57, v[96:97]
	v_ashrrev_i32_e32 v3, 31, v2
	v_lshl_add_u64 v[2:3], v[2:3], 3, v[140:141]
	global_load_dwordx2 v[2:3], v[2:3], off
	s_waitcnt vmcnt(0)
	v_cvt_pk_f16_f32 v2, v2, v3
	v_pk_mul_f16 v2, v2, v192
	v_add_u32_e32 v3, v161, v196
	ds_write_b32 v3, v2 offset:9600
.LBB29_189:                             ;   in Loop: Header=BB29_10 Depth=1
	s_or_b64 exec, exec, s[10:11]
	v_add_u32_e32 v2, v206, v99
	v_or_b32_e32 v3, v207, v97
	v_cmp_le_i32_e32 vcc, s36, v2
	v_cmp_le_i32_e64 s[10:11], s3, v3
	s_or_b64 s[10:11], vcc, s[10:11]
	s_and_saveexec_b64 s[14:15], s[10:11]
	s_xor_b64 s[10:11], exec, s[14:15]
; %bb.190:                              ;   in Loop: Header=BB29_10 Depth=1
	v_add_u32_e32 v2, v161, v196
	ds_write_b32 v2, v37 offset:11200
                                        ; implicit-def: $vgpr2
; %bb.191:                              ;   in Loop: Header=BB29_10 Depth=1
	s_andn2_saveexec_b64 s[10:11], s[10:11]
	s_cbranch_execz .LBB29_193
; %bb.192:                              ;   in Loop: Header=BB29_10 Depth=1
	v_mad_u64_u32 v[2:3], s[14:15], v2, s57, v[104:105]
	v_ashrrev_i32_e32 v3, 31, v2
	v_lshl_add_u64 v[2:3], v[2:3], 3, v[140:141]
	global_load_dwordx2 v[2:3], v[2:3], off
	s_waitcnt vmcnt(0)
	v_cvt_pk_f16_f32 v2, v2, v3
	v_pk_mul_f16 v2, v2, v192
	v_add_u32_e32 v3, v161, v196
	ds_write_b32 v3, v2 offset:11200
.LBB29_193:                             ;   in Loop: Header=BB29_10 Depth=1
	s_or_b64 exec, exec, s[10:11]
	v_add_u32_e32 v2, v208, v99
	v_or_b32_e32 v3, v190, v97
	v_cmp_le_i32_e64 s[10:11], s36, v2
	v_cmp_le_i32_e64 s[14:15], s3, v3
	v_cmp_gt_i32_e32 vcc, s3, v3
	s_or_b64 s[10:11], s[10:11], s[14:15]
	s_and_saveexec_b64 s[14:15], s[10:11]
	s_xor_b64 s[10:11], exec, s[14:15]
; %bb.194:                              ;   in Loop: Header=BB29_10 Depth=1
	ds_write_b32 v210, v37 offset:256
                                        ; implicit-def: $vgpr2
; %bb.195:                              ;   in Loop: Header=BB29_10 Depth=1
	s_andn2_saveexec_b64 s[10:11], s[10:11]
	s_cbranch_execz .LBB29_197
; %bb.196:                              ;   in Loop: Header=BB29_10 Depth=1
	v_mad_u64_u32 v[2:3], s[14:15], v2, s57, v[60:61]
	v_ashrrev_i32_e32 v3, 31, v2
	v_lshl_add_u64 v[2:3], v[2:3], 3, v[140:141]
	global_load_dwordx2 v[2:3], v[2:3], off
	s_waitcnt vmcnt(0)
	v_cvt_pk_f16_f32 v2, v2, v3
	v_pk_mul_f16 v2, v2, v192
	v_add_u32_e32 v3, v191, v209
	ds_write_b32 v3, v2 offset:256
.LBB29_197:                             ;   in Loop: Header=BB29_10 Depth=1
	s_or_b64 exec, exec, s[10:11]
	v_add_u32_e32 v2, v168, v99
	v_cmp_le_i32_e64 s[10:11], s36, v2
	s_xor_b64 s[14:15], vcc, -1
	s_or_b64 s[10:11], s[10:11], s[14:15]
	s_and_saveexec_b64 s[76:77], s[10:11]
	s_xor_b64 s[10:11], exec, s[76:77]
; %bb.198:                              ;   in Loop: Header=BB29_10 Depth=1
	ds_write_b32 v211, v37 offset:256
                                        ; implicit-def: $vgpr2
; %bb.199:                              ;   in Loop: Header=BB29_10 Depth=1
	s_andn2_saveexec_b64 s[10:11], s[10:11]
	s_cbranch_execz .LBB29_201
; %bb.200:                              ;   in Loop: Header=BB29_10 Depth=1
	v_mad_u64_u32 v[2:3], s[76:77], v2, s57, v[60:61]
	v_ashrrev_i32_e32 v3, 31, v2
	v_lshl_add_u64 v[2:3], v[2:3], 3, v[140:141]
	global_load_dwordx2 v[2:3], v[2:3], off
	s_waitcnt vmcnt(0)
	v_cvt_pk_f16_f32 v2, v2, v3
	v_pk_mul_f16 v2, v2, v192
	v_add_u32_e32 v3, v191, v209
	ds_write_b32 v3, v2 offset:3456
.LBB29_201:                             ;   in Loop: Header=BB29_10 Depth=1
	s_or_b64 exec, exec, s[10:11]
	v_add_u32_e32 v2, v169, v99
	v_cmp_le_i32_e32 vcc, s36, v2
	s_or_b64 s[10:11], vcc, s[14:15]
	s_and_saveexec_b64 s[76:77], s[10:11]
	s_xor_b64 s[10:11], exec, s[76:77]
; %bb.202:                              ;   in Loop: Header=BB29_10 Depth=1
	ds_write_b32 v212, v37 offset:256
                                        ; implicit-def: $vgpr2
; %bb.203:                              ;   in Loop: Header=BB29_10 Depth=1
	s_andn2_saveexec_b64 s[10:11], s[10:11]
	s_cbranch_execz .LBB29_205
; %bb.204:                              ;   in Loop: Header=BB29_10 Depth=1
	v_mad_u64_u32 v[2:3], s[76:77], v2, s57, v[60:61]
	v_ashrrev_i32_e32 v3, 31, v2
	v_lshl_add_u64 v[2:3], v[2:3], 3, v[140:141]
	global_load_dwordx2 v[2:3], v[2:3], off
	s_waitcnt vmcnt(0)
	v_cvt_pk_f16_f32 v2, v2, v3
	v_pk_mul_f16 v2, v2, v192
	v_add_u32_e32 v3, v191, v209
	ds_write_b32 v3, v2 offset:6656
.LBB29_205:                             ;   in Loop: Header=BB29_10 Depth=1
	s_or_b64 exec, exec, s[10:11]
	v_add_u32_e32 v2, v170, v99
	v_cmp_le_i32_e32 vcc, s36, v2
	s_or_b64 s[10:11], vcc, s[14:15]
	s_and_saveexec_b64 s[14:15], s[10:11]
	s_xor_b64 s[10:11], exec, s[14:15]
; %bb.206:                              ;   in Loop: Header=BB29_10 Depth=1
	ds_write_b32 v213, v37 offset:256
                                        ; implicit-def: $vgpr2
                                        ; implicit-def: $vgpr140_vgpr141
; %bb.207:                              ;   in Loop: Header=BB29_10 Depth=1
	s_andn2_saveexec_b64 s[10:11], s[10:11]
	s_cbranch_execz .LBB29_209
; %bb.208:                              ;   in Loop: Header=BB29_10 Depth=1
	v_mad_u64_u32 v[2:3], s[14:15], v2, s57, v[60:61]
	v_ashrrev_i32_e32 v3, 31, v2
	v_lshl_add_u64 v[2:3], v[2:3], 3, v[140:141]
	global_load_dwordx2 v[2:3], v[2:3], off
	s_waitcnt vmcnt(0)
	v_cvt_pk_f16_f32 v2, v2, v3
	v_pk_mul_f16 v2, v2, v192
	v_add_u32_e32 v3, v191, v209
	ds_write_b32 v3, v2 offset:9856
.LBB29_209:                             ;   in Loop: Header=BB29_10 Depth=1
	s_or_b64 exec, exec, s[10:11]
	s_waitcnt lgkmcnt(0)
	s_barrier
	ds_read2_b64 v[14:17], v89 offset1:4
	ds_read2_b64 v[10:13], v89 offset0:8 offset1:12
	ds_read2_b64 v[6:9], v89 offset0:16 offset1:20
	;; [unrolled: 1-line block ×5, first 2 shown]
	s_cmp_lt_i32 s98, 2
	s_waitcnt lgkmcnt(0)
	s_barrier
	s_cbranch_scc1 .LBB29_214
; %bb.210:                              ;   in Loop: Header=BB29_10 Depth=1
	v_add_u32_e32 v26, v99, v87
	v_mul_hi_u32 v27, s44, v26
	v_add_u32_e32 v27, v26, v27
	v_lshrrev_b32_e32 v27, s45, v27
	v_mul_lo_u32 v27, v27, s36
	v_sub_u32_e32 v26, v26, v27
	v_and_b32_e32 v27, 64, v227
	v_add_u32_e32 v27, 64, v27
	v_xor_b32_e32 v28, 32, v227
	v_cmp_lt_i32_e32 vcc, v28, v27
	s_add_i32 s14, s98, -1
	s_mov_b32 s15, s14
	v_cndmask_b32_e32 v28, v227, v28, vcc
	v_lshlrev_b32_e32 v36, 2, v28
	v_xor_b32_e32 v28, 16, v227
	v_cmp_lt_i32_e32 vcc, v28, v27
	v_mov_b32_e32 v229, 0
	v_mov_b32_e32 v231, 0
	v_cndmask_b32_e32 v27, v227, v28, vcc
	v_lshlrev_b32_e32 v105, 2, v27
	v_mad_i64_i32 v[26:27], s[10:11], s68, v26, v[138:139]
	v_lshl_add_u64 v[138:139], v[62:63], 0, v[26:27]
	v_lshl_add_u64 v[26:27], v[142:143], 0, v[144:145]
	v_lshl_add_u64 v[140:141], v[108:109], 0, v[26:27]
	v_lshl_add_u64 v[142:143], v[110:111], 0, v[26:27]
	v_lshl_add_u64 v[144:145], v[112:113], 0, v[26:27]
	v_lshl_add_u64 v[146:147], v[114:115], 0, v[26:27]
	v_lshl_add_u64 v[26:27], v[134:135], 0, v[136:137]
	v_lshl_add_u64 v[134:135], v[68:69], 0, v[26:27]
	v_lshl_add_u64 v[136:137], v[116:117], 0, v[26:27]
	v_lshl_add_u64 v[148:149], v[118:119], 0, v[26:27]
	v_lshl_add_u64 v[150:151], v[120:121], 0, v[26:27]
	v_lshl_add_u64 v[152:153], v[122:123], 0, v[26:27]
	v_mov_b32_e32 v27, 0
	v_mov_b32_e32 v28, 0xfeffffff
	;; [unrolled: 1-line block ×16, first 2 shown]
	s_and_saveexec_b64 s[10:11], s[4:5]
	s_cbranch_execz .LBB29_212
.LBB29_211:                             ;   in Loop: Header=BB29_10 Depth=1
	global_load_dword v94, v[138:139], off
	s_waitcnt vmcnt(0)
	ds_write_b32 v91, v94 offset:17408
.LBB29_212:                             ;   Parent Loop BB29_10 Depth=1
                                        ; =>  This Inner Loop Header: Depth=2
	s_or_b64 exec, exec, s[10:11]
	v_lshlrev_b64 v[186:187], 2, v[48:49]
	v_lshl_add_u64 v[186:187], v[134:135], 0, v[186:187]
	global_load_dwordx4 v[186:189], v[186:187], off
	v_add_u32_e32 v94, 0x2000, v154
	v_lshl_add_u64 v[254:255], v[146:147], 0, v[50:51]
	s_add_i32 s15, s15, -1
	v_lshl_add_u64 v[138:139], v[138:139], 0, s[74:75]
	v_lshl_add_u64 v[146:147], v[146:147], 0, s[70:71]
	s_cmp_lg_u32 s15, 0
	s_waitcnt vmcnt(0)
	ds_write_b128 v93, v[186:189]
	v_lshlrev_b64 v[186:187], 2, v[38:39]
	v_lshl_add_u64 v[186:187], v[134:135], 0, v[186:187]
	global_load_dwordx4 v[186:189], v[186:187], off
	v_lshl_add_u64 v[134:135], v[134:135], 0, s[72:73]
	s_waitcnt vmcnt(0)
	ds_write_b128 v95, v[186:189]
	s_waitcnt lgkmcnt(0)
	s_barrier
	ds_read2_b64 v[186:189], v154 offset1:4
	s_waitcnt lgkmcnt(0)
	v_mfma_f32_16x16x16_f16 a[0:3], v[186:187], v[22:23], 0
	v_mfma_f32_16x16x16_f16 a[0:3], v[188:189], v[24:25], a[0:3]
	ds_read2_b64 v[186:189], v154 offset0:8 offset1:12
	s_waitcnt lgkmcnt(0)
	v_mfma_f32_16x16x16_f16 a[0:3], v[186:187], v[18:19], a[0:3]
	v_mfma_f32_16x16x16_f16 a[0:3], v[188:189], v[20:21], a[0:3]
	ds_read2_b64 v[186:189], v94 offset0:64 offset1:68
	;; [unrolled: 4-line block ×3, first 2 shown]
	s_waitcnt lgkmcnt(0)
	s_barrier
	v_mfma_f32_16x16x16_f16 a[4:7], v[186:187], v[18:19], a[4:7]
	v_lshl_add_u64 v[186:187], v[136:137], 0, v[50:51]
	v_lshl_add_u64 v[136:137], v[136:137], 0, s[72:73]
	v_mfma_f32_16x16x16_f16 a[4:7], v[188:189], v[20:21], a[4:7]
	global_load_dwordx4 v[186:189], v[186:187], off
	s_waitcnt vmcnt(0)
	ds_write_b128 v162, v[186:189]
	v_lshl_add_u64 v[186:187], v[148:149], 0, v[50:51]
	global_load_dwordx4 v[186:189], v[186:187], off
	v_lshl_add_u64 v[148:149], v[148:149], 0, s[72:73]
	s_waitcnt vmcnt(0)
	ds_write_b128 v193, v[186:189]
	v_lshl_add_u64 v[186:187], v[150:151], 0, v[50:51]
	global_load_dwordx4 v[186:189], v[186:187], off
	v_lshl_add_u64 v[150:151], v[150:151], 0, s[72:73]
	s_waitcnt vmcnt(0)
	ds_write_b128 v194, v[186:189]
	v_lshl_add_u64 v[186:187], v[152:153], 0, v[50:51]
	global_load_dwordx4 v[186:189], v[186:187], off
	v_lshl_add_u64 v[152:153], v[152:153], 0, s[72:73]
	s_waitcnt vmcnt(0)
	ds_write_b128 v195, v[186:189]
	s_waitcnt lgkmcnt(0)
	s_barrier
	ds_read2_b64 v[186:189], v154 offset1:4
	s_waitcnt lgkmcnt(0)
	v_mfma_f32_16x16x16_f16 a[0:3], v[186:187], v[14:15], a[0:3]
	v_mfma_f32_16x16x16_f16 a[0:3], v[188:189], v[16:17], a[0:3]
	ds_read2_b64 v[186:189], v154 offset0:8 offset1:12
	s_waitcnt lgkmcnt(0)
	v_mfma_f32_16x16x16_f16 a[0:3], v[186:187], v[10:11], a[0:3]
	v_mfma_f32_16x16x16_f16 a[0:3], v[188:189], v[12:13], a[0:3]
	ds_read2_b64 v[186:189], v154 offset0:16 offset1:20
	;; [unrolled: 4-line block ×4, first 2 shown]
	s_waitcnt lgkmcnt(0)
	v_mfma_f32_16x16x16_f16 a[4:7], v[186:187], v[14:15], a[4:7]
	s_nop 4
	v_accvgpr_read_b32 v103, a0
	v_mfma_f32_16x16x16_f16 a[4:7], v[188:189], v[16:17], a[4:7]
	ds_read2_b64 v[186:189], v94 offset0:72 offset1:76
	s_waitcnt lgkmcnt(0)
	v_mfma_f32_16x16x16_f16 a[4:7], v[186:187], v[10:11], a[4:7]
	v_mfma_f32_16x16x16_f16 a[4:7], v[188:189], v[12:13], a[4:7]
	ds_read2_b64 v[186:189], v94 offset0:80 offset1:84
	s_waitcnt lgkmcnt(0)
	v_mfma_f32_16x16x16_f16 a[4:7], v[186:187], v[6:7], a[4:7]
	v_mfma_f32_16x16x16_f16 a[4:7], v[188:189], v[8:9], a[4:7]
	ds_read2_b64 v[186:189], v94 offset0:88 offset1:92
	v_add_u32_e32 v94, 0x4400, v155
	s_waitcnt lgkmcnt(0)
	v_mfma_f32_16x16x16_f16 a[4:7], v[186:187], v[2:3], a[4:7]
	s_barrier
	ds_read2_b32 v[186:187], v94 offset1:1
	v_mfma_f32_16x16x16_f16 a[4:7], v[188:189], v[4:5], a[4:7]
	s_waitcnt lgkmcnt(0)
	v_cvt_f32_f16_e32 v94, v186
	v_cvt_f32_f16_sdwa v101, v186 dst_sel:DWORD dst_unused:UNUSED_PAD src0_sel:WORD_1
	v_cvt_f32_f16_sdwa v185, v187 dst_sel:DWORD dst_unused:UNUSED_PAD src0_sel:WORD_1
	v_accvgpr_read_b32 v186, a2
	v_add_f32_e32 v94, v103, v94
	v_accvgpr_read_b32 v103, a1
	v_add_f32_e32 v103, v103, v101
	v_cvt_f32_f16_e32 v101, v187
	v_accvgpr_read_b32 v188, a4
	v_accvgpr_read_b32 v224, a6
	v_add_f32_e32 v225, 0x40051340, v103
	v_add_f32_e32 v186, v186, v101
	v_accvgpr_read_b32 v101, a3
	v_add_f32_e32 v185, v101, v185
	ds_read_b32 v101, v163 offset:17408
	v_add_f32_e32 v226, 0x40051340, v185
	s_waitcnt lgkmcnt(0)
	v_cvt_f32_f16_e32 v187, v101
	v_cvt_f32_f16_sdwa v101, v101 dst_sel:DWORD dst_unused:UNUSED_PAD src0_sel:WORD_1
	v_add_f32_e32 v187, v188, v187
	v_accvgpr_read_b32 v188, a5
	v_add_f32_e32 v188, v188, v101
	ds_read_b32 v101, v164 offset:17408
	s_waitcnt lgkmcnt(0)
	v_cvt_f32_f16_e32 v189, v101
	v_cvt_f32_f16_sdwa v101, v101 dst_sel:DWORD dst_unused:UNUSED_PAD src0_sel:WORD_1
	v_add_f32_e32 v189, v224, v189
	v_accvgpr_read_b32 v224, a7
	v_add_f32_e32 v224, v224, v101
	v_add_f32_e32 v101, 0x40051340, v94
	v_max3_f32 v101, v28, v101, v225
	v_add_f32_e32 v225, 0x40051340, v186
	v_max3_f32 v101, v101, v225, v226
	v_add_f32_e32 v225, 0x40051340, v187
	v_add_f32_e32 v226, 0x40051340, v188
	v_max3_f32 v101, v101, v225, v226
	v_add_f32_e32 v225, 0x40051340, v189
	v_add_f32_e32 v226, 0x40051340, v224
	v_max3_f32 v101, v101, v225, v226
	ds_bpermute_b32 v225, v36, v101
	s_waitcnt lgkmcnt(0)
	v_max_f32_e32 v225, v225, v225
	v_max_f32_e32 v101, v101, v225
	ds_bpermute_b32 v225, v105, v101
	s_waitcnt lgkmcnt(0)
	v_max_f32_e32 v225, v225, v225
	v_max_f32_e32 v101, v101, v225
	v_sub_f32_e32 v94, v94, v101
	v_mul_f32_e32 v225, 0x3fb8aa3b, v94
	v_fma_f32 v226, v94, s47, -v225
	v_rndne_f32_e32 v235, v225
	v_fmac_f32_e32 v226, 0x32a5705f, v94
	v_sub_f32_e32 v225, v225, v235
	v_add_f32_e32 v225, v225, v226
	v_exp_f32_e32 v225, v225
	v_cvt_i32_f32_e32 v226, v235
	v_cmp_ngt_f32_e32 vcc, s69, v94
	v_sub_f32_e32 v28, v28, v101
	v_ldexp_f32 v225, v225, v226
	v_cndmask_b32_e32 v225, 0, v225, vcc
	v_cmp_nlt_f32_e32 vcc, s94, v94
	v_sub_f32_e32 v94, v103, v101
	v_mul_f32_e32 v103, 0x3fb8aa3b, v94
	v_cndmask_b32_e32 v235, v228, v225, vcc
	v_fma_f32 v225, v94, s47, -v103
	v_rndne_f32_e32 v226, v103
	v_fmac_f32_e32 v225, 0x32a5705f, v94
	v_sub_f32_e32 v103, v103, v226
	v_add_f32_e32 v103, v103, v225
	v_exp_f32_e32 v103, v103
	v_cvt_i32_f32_e32 v225, v226
	v_cmp_ngt_f32_e32 vcc, s69, v94
	v_ldexp_f32 v103, v103, v225
	s_nop 0
	v_cndmask_b32_e32 v103, 0, v103, vcc
	v_cmp_nlt_f32_e32 vcc, s94, v94
	s_nop 1
	v_cndmask_b32_e32 v236, v228, v103, vcc
	v_sub_f32_e32 v103, v186, v101
	v_mul_f32_e32 v186, 0x3fb8aa3b, v103
	v_fma_f32 v225, v103, s47, -v186
	v_rndne_f32_e32 v226, v186
	v_fmac_f32_e32 v225, 0x32a5705f, v103
	v_sub_f32_e32 v186, v186, v226
	v_add_f32_e32 v186, v186, v225
	v_exp_f32_e32 v186, v186
	v_cvt_i32_f32_e32 v225, v226
	v_cmp_ngt_f32_e32 vcc, s69, v103
	v_add_f32_e32 v94, v235, v236
	v_ldexp_f32 v186, v186, v225
	v_cndmask_b32_e32 v186, 0, v186, vcc
	v_cmp_nlt_f32_e32 vcc, s94, v103
	v_sub_f32_e32 v103, v185, v101
	v_mul_f32_e32 v185, 0x3fb8aa3b, v103
	v_cndmask_b32_e32 v243, v228, v186, vcc
	v_fma_f32 v186, v103, s47, -v185
	v_rndne_f32_e32 v225, v185
	v_fmac_f32_e32 v186, 0x32a5705f, v103
	v_sub_f32_e32 v185, v185, v225
	v_add_f32_e32 v185, v185, v186
	v_exp_f32_e32 v185, v185
	v_cvt_i32_f32_e32 v186, v225
	v_cmp_ngt_f32_e32 vcc, s69, v103
	v_add_f32_e32 v94, v243, v94
	v_ldexp_f32 v185, v185, v186
	v_cndmask_b32_e32 v185, 0, v185, vcc
	v_cmp_nlt_f32_e32 vcc, s94, v103
	v_sub_f32_e32 v103, v187, v101
	s_nop 0
	v_cndmask_b32_e32 v249, v228, v185, vcc
	v_mul_f32_e32 v185, 0x3fb8aa3b, v103
	v_fma_f32 v186, v103, s47, -v185
	v_rndne_f32_e32 v187, v185
	v_fmac_f32_e32 v186, 0x32a5705f, v103
	v_sub_f32_e32 v185, v185, v187
	v_add_f32_e32 v185, v185, v186
	v_exp_f32_e32 v185, v185
	v_cvt_i32_f32_e32 v186, v187
	v_cmp_ngt_f32_e32 vcc, s69, v103
	v_add_f32_e32 v94, v249, v94
	v_ldexp_f32 v185, v185, v186
	v_cndmask_b32_e32 v185, 0, v185, vcc
	v_cmp_nlt_f32_e32 vcc, s94, v103
	v_sub_f32_e32 v103, v188, v101
	s_nop 0
	v_cndmask_b32_e32 v244, v228, v185, vcc
	v_mul_f32_e32 v185, 0x3fb8aa3b, v103
	v_fma_f32 v186, v103, s47, -v185
	v_rndne_f32_e32 v187, v185
	v_fmac_f32_e32 v186, 0x32a5705f, v103
	v_sub_f32_e32 v185, v185, v187
	v_add_f32_e32 v185, v185, v186
	v_exp_f32_e32 v185, v185
	v_cvt_i32_f32_e32 v186, v187
	v_cmp_ngt_f32_e32 vcc, s69, v103
	v_add_f32_e32 v94, v244, v94
	v_ldexp_f32 v185, v185, v186
	v_cndmask_b32_e32 v185, 0, v185, vcc
	v_cmp_nlt_f32_e32 vcc, s94, v103
	v_sub_f32_e32 v103, v189, v101
	v_lshl_add_u64 v[188:189], v[144:145], 0, v[50:51]
	v_cndmask_b32_e32 v250, v228, v185, vcc
	v_mul_f32_e32 v185, 0x3fb8aa3b, v103
	v_fma_f32 v186, v103, s47, -v185
	v_rndne_f32_e32 v187, v185
	v_fmac_f32_e32 v186, 0x32a5705f, v103
	v_sub_f32_e32 v185, v185, v187
	v_add_f32_e32 v185, v185, v186
	v_exp_f32_e32 v185, v185
	v_cvt_i32_f32_e32 v186, v187
	v_cmp_ngt_f32_e32 vcc, s69, v103
	v_add_f32_e32 v94, v250, v94
	v_lshl_add_u64 v[144:145], v[144:145], 0, s[70:71]
	v_ldexp_f32 v185, v185, v186
	v_cndmask_b32_e32 v185, 0, v185, vcc
	v_cmp_nlt_f32_e32 vcc, s94, v103
	v_sub_f32_e32 v103, v224, v101
	s_nop 0
	v_cndmask_b32_e32 v251, v228, v185, vcc
	v_mul_f32_e32 v185, 0x3fb8aa3b, v103
	v_fma_f32 v186, v103, s47, -v185
	v_rndne_f32_e32 v187, v185
	v_fmac_f32_e32 v186, 0x32a5705f, v103
	v_sub_f32_e32 v185, v185, v187
	v_add_f32_e32 v185, v185, v186
	v_exp_f32_e32 v185, v185
	v_cvt_i32_f32_e32 v186, v187
	v_cmp_ngt_f32_e32 vcc, s69, v103
	v_add_f32_e32 v94, v251, v94
	v_ldexp_f32 v185, v185, v186
	v_cndmask_b32_e32 v185, 0, v185, vcc
	v_cmp_nlt_f32_e32 vcc, s94, v103
	s_nop 1
	v_cndmask_b32_e32 v252, v228, v185, vcc
	v_add_f32_e32 v103, v252, v94
	v_mul_f32_e32 v94, 0x3fb8aa3b, v28
	v_fma_f32 v185, v28, s47, -v94
	v_rndne_f32_e32 v186, v94
	v_fmac_f32_e32 v185, 0x32a5705f, v28
	v_sub_f32_e32 v94, v94, v186
	v_add_f32_e32 v94, v94, v185
	v_exp_f32_e32 v94, v94
	v_cvt_i32_f32_e32 v185, v186
	v_cmp_ngt_f32_e32 vcc, s69, v28
	v_lshl_add_u64 v[186:187], v[142:143], 0, v[50:51]
	v_lshl_add_u64 v[142:143], v[142:143], 0, s[70:71]
	v_ldexp_f32 v94, v94, v185
	v_cndmask_b32_e32 v94, 0, v94, vcc
	v_cmp_nlt_f32_e32 vcc, s94, v28
	s_nop 1
	v_cndmask_b32_e32 v94, v228, v94, vcc
	v_cmp_le_f32_e32 vcc, s95, v28
	s_nop 1
	v_cndmask_b32_e32 v28, 0, v94, vcc
	v_fmac_f32_e32 v103, v26, v28
	v_cvt_f16_f32_e32 v26, v28
	v_mul_u32_u24_e32 v26, 0x10001, v26
	v_pk_mul_f16 v234, v234, v26
	v_pk_mul_f16 v233, v233, v26
	;; [unrolled: 1-line block ×16, first 2 shown]
	v_lshl_add_u64 v[26:27], v[140:141], 0, v[50:51]
	global_load_dwordx4 v[26:29], v[26:27], off
	v_cvt_f32_f16_e32 v94, v234
	v_cvt_f32_f16_sdwa v185, v234 dst_sel:DWORD dst_unused:UNUSED_PAD src0_sel:WORD_1
	v_cvt_f32_f16_e32 v92, v229
	v_cvt_f32_f16_sdwa v229, v229 dst_sel:DWORD dst_unused:UNUSED_PAD src0_sel:WORD_1
	v_accvgpr_write_b32 a0, v94
	v_accvgpr_write_b32 a1, v185
	v_lshl_add_u64 v[140:141], v[140:141], 0, s[70:71]
	s_waitcnt vmcnt(0)
	ds_write_b128 v162, v[26:29]
	global_load_dwordx4 v[26:29], v[186:187], off
	v_cvt_f32_f16_e32 v186, v233
	v_cvt_f32_f16_sdwa v187, v233 dst_sel:DWORD dst_unused:UNUSED_PAD src0_sel:WORD_1
	v_accvgpr_write_b32 a2, v186
	v_accvgpr_write_b32 a3, v187
	s_waitcnt vmcnt(0)
	ds_write_b128 v193, v[26:29]
	global_load_dwordx4 v[26:29], v[188:189], off
	s_waitcnt vmcnt(0)
	ds_write_b128 v194, v[26:29]
	global_load_dwordx4 v[26:29], v[254:255], off
	s_waitcnt vmcnt(0)
	ds_write_b128 v195, v[26:29]
	s_waitcnt lgkmcnt(0)
	s_barrier
	ds_read_u16 v26, v156 offset:272
	ds_read_u16 v27, v156 offset:544
	ds_read_u16 v28, v157
	ds_read_u16 v188, v157 offset:32
	v_cvt_pk_f16_f32 v29, v243, v249
	s_waitcnt lgkmcnt(1)
	v_perm_b32 v27, v28, v27, s96
	ds_read_u16 v28, v156
	ds_read_u16 v189, v156 offset:32
	ds_read_u16 v186, v156 offset:8704
	;; [unrolled: 1-line block ×5, first 2 shown]
	s_waitcnt lgkmcnt(5)
	v_perm_b32 v26, v26, v28, s96
	v_cvt_pk_f16_f32 v28, v235, v236
	s_waitcnt lgkmcnt(0)
	v_perm_b32 v187, v225, v187, s96
	v_perm_b32 v186, v224, v186, s96
	v_mfma_f32_16x16x16_f16 a[0:3], v[26:27], v[28:29], a[0:3]
	v_cvt_f32_f16_e32 v224, v242
	v_cvt_f32_f16_sdwa v225, v242 dst_sel:DWORD dst_unused:UNUSED_PAD src0_sel:WORD_1
	s_nop 5
	v_accvgpr_read_b32 v94, a2
	v_accvgpr_read_b32 v185, a3
	v_cvt_f16_f32_e32 v94, v94
	v_cvt_f16_f32_e32 v185, v185
	v_accvgpr_read_b32 v26, a0
	v_accvgpr_read_b32 v27, a1
	v_cvt_f16_f32_e32 v26, v26
	v_cvt_f16_f32_e32 v27, v27
	v_cvt_f32_f16_e32 v94, v94
	v_cvt_f32_f16_e32 v185, v185
	v_cvt_f32_f16_e32 v226, v26
	v_cvt_f32_f16_e32 v233, v27
	v_accvgpr_write_b32 a2, v94
	v_accvgpr_write_b32 a3, v185
	ds_read_u16 v94, v156 offset:304
	ds_read_u16 v185, v156 offset:576
	v_cvt_pk_f16_f32 v27, v251, v252
	v_cvt_pk_f16_f32 v26, v244, v250
	v_accvgpr_write_b32 a0, v226
	v_accvgpr_write_b32 a1, v233
	v_cvt_f32_f16_e32 v226, v241
	v_cvt_f32_f16_sdwa v241, v241 dst_sel:DWORD dst_unused:UNUSED_PAD src0_sel:WORD_1
	v_mfma_f32_16x16x16_f16 a[0:3], v[186:187], v[26:27], a[0:3]
	s_waitcnt lgkmcnt(0)
	v_perm_b32 v187, v188, v185, s96
	v_perm_b32 v186, v94, v189, s96
	s_nop 4
	v_accvgpr_read_b32 v233, a0
	v_accvgpr_read_b32 v234, a1
	;; [unrolled: 1-line block ×4, first 2 shown]
	v_accvgpr_write_b32 a0, v224
	v_accvgpr_write_b32 a1, v225
	;; [unrolled: 1-line block ×4, first 2 shown]
	ds_read_u16 v188, v156 offset:8736
	ds_read_u16 v189, v156 offset:9008
	;; [unrolled: 1-line block ×4, first 2 shown]
	v_mfma_f32_16x16x16_f16 a[0:3], v[186:187], v[28:29], a[0:3]
	v_cvt_pk_f16_f32 v234, v233, v234
	v_cvt_pk_f16_f32 v233, v235, v236
	s_nop 5
	v_accvgpr_read_b32 v94, a0
	v_accvgpr_read_b32 v185, a1
	;; [unrolled: 1-line block ×4, first 2 shown]
	v_cvt_f16_f32_e32 v94, v94
	v_cvt_f16_f32_e32 v185, v185
	;; [unrolled: 1-line block ×4, first 2 shown]
	v_cvt_f32_f16_e32 v94, v94
	v_cvt_f32_f16_e32 v185, v185
	;; [unrolled: 1-line block ×4, first 2 shown]
	s_waitcnt lgkmcnt(0)
	v_perm_b32 v187, v225, v224, s96
	v_perm_b32 v186, v189, v188, s96
	v_accvgpr_write_b32 a0, v94
	v_accvgpr_write_b32 a1, v185
	v_accvgpr_write_b32 a2, v226
	v_accvgpr_write_b32 a3, v241
	v_cvt_f32_f16_e32 v188, v248
	v_cvt_f32_f16_sdwa v189, v248 dst_sel:DWORD dst_unused:UNUSED_PAD src0_sel:WORD_1
	v_mfma_f32_16x16x16_f16 a[0:3], v[186:187], v[26:27], a[0:3]
	ds_read_u16 v94, v156 offset:64
	ds_read_u16 v185, v156 offset:336
	;; [unrolled: 1-line block ×4, first 2 shown]
	v_cvt_f32_f16_e32 v224, v247
	v_cvt_f32_f16_sdwa v225, v247 dst_sel:DWORD dst_unused:UNUSED_PAD src0_sel:WORD_1
	s_waitcnt lgkmcnt(0)
	v_perm_b32 v187, v187, v186, s96
	v_perm_b32 v186, v185, v94, s96
	v_accvgpr_read_b32 v241, a0
	v_accvgpr_read_b32 v242, a1
	;; [unrolled: 1-line block ×4, first 2 shown]
	v_accvgpr_write_b32 a0, v188
	v_accvgpr_write_b32 a1, v189
	;; [unrolled: 1-line block ×4, first 2 shown]
	ds_read_u16 v188, v156 offset:8768
	ds_read_u16 v189, v156 offset:9040
	;; [unrolled: 1-line block ×4, first 2 shown]
	v_mfma_f32_16x16x16_f16 a[0:3], v[186:187], v[28:29], a[0:3]
	v_cvt_pk_f16_f32 v242, v241, v242
	v_cvt_pk_f16_f32 v241, v243, v244
	s_nop 5
	v_accvgpr_read_b32 v94, a0
	v_accvgpr_read_b32 v185, a1
	v_accvgpr_read_b32 v186, a2
	v_accvgpr_read_b32 v187, a3
	v_cvt_f16_f32_e32 v94, v94
	v_cvt_f16_f32_e32 v185, v185
	v_cvt_f16_f32_e32 v186, v186
	v_cvt_f16_f32_e32 v187, v187
	v_cvt_f32_f16_e32 v94, v94
	v_cvt_f32_f16_e32 v185, v185
	v_cvt_f32_f16_e32 v226, v186
	v_cvt_f32_f16_e32 v247, v187
	s_waitcnt lgkmcnt(0)
	v_perm_b32 v187, v225, v224, s96
	v_perm_b32 v186, v189, v188, s96
	v_accvgpr_write_b32 a0, v94
	v_accvgpr_write_b32 a1, v185
	v_accvgpr_write_b32 a2, v226
	v_accvgpr_write_b32 a3, v247
	v_cvt_f32_f16_e32 v188, v246
	v_cvt_f32_f16_sdwa v189, v246 dst_sel:DWORD dst_unused:UNUSED_PAD src0_sel:WORD_1
	v_mfma_f32_16x16x16_f16 a[0:3], v[186:187], v[26:27], a[0:3]
	ds_read_u16 v94, v156 offset:96
	ds_read_u16 v185, v156 offset:368
	ds_read_u16 v186, v156 offset:640
	ds_read_u16 v187, v157 offset:96
	v_cvt_f32_f16_e32 v224, v245
	v_cvt_f32_f16_sdwa v225, v245 dst_sel:DWORD dst_unused:UNUSED_PAD src0_sel:WORD_1
	s_waitcnt lgkmcnt(0)
	v_perm_b32 v187, v187, v186, s96
	v_perm_b32 v186, v185, v94, s96
	v_accvgpr_read_b32 v247, a0
	v_accvgpr_read_b32 v248, a1
	v_accvgpr_read_b32 v249, a2
	v_accvgpr_read_b32 v250, a3
	v_accvgpr_write_b32 a0, v188
	v_accvgpr_write_b32 a1, v189
	v_accvgpr_write_b32 a2, v224
	v_accvgpr_write_b32 a3, v225
	ds_read_u16 v188, v156 offset:8800
	ds_read_u16 v189, v156 offset:9072
	ds_read_u16 v224, v156 offset:9344
	ds_read_u16 v225, v157 offset:8800
	v_mfma_f32_16x16x16_f16 a[0:3], v[186:187], v[28:29], a[0:3]
	s_nop 7
	v_accvgpr_read_b32 v94, a0
	v_accvgpr_read_b32 v185, a1
	v_accvgpr_read_b32 v186, a2
	v_accvgpr_read_b32 v187, a3
	v_cvt_f16_f32_e32 v94, v94
	v_cvt_f16_f32_e32 v185, v185
	v_cvt_f16_f32_e32 v186, v186
	v_cvt_f16_f32_e32 v187, v187
	v_cvt_f32_f16_e32 v94, v94
	v_cvt_f32_f16_e32 v185, v185
	v_cvt_f32_f16_e32 v226, v186
	v_cvt_f32_f16_e32 v245, v187
	s_waitcnt lgkmcnt(0)
	v_perm_b32 v187, v225, v224, s96
	v_perm_b32 v186, v189, v188, s96
	v_accvgpr_write_b32 a0, v94
	v_accvgpr_write_b32 a1, v185
	v_accvgpr_write_b32 a2, v226
	v_accvgpr_write_b32 a3, v245
	v_cvt_f32_f16_e32 v188, v240
	v_cvt_f32_f16_sdwa v189, v240 dst_sel:DWORD dst_unused:UNUSED_PAD src0_sel:WORD_1
	v_mfma_f32_16x16x16_f16 a[0:3], v[186:187], v[26:27], a[0:3]
	ds_read_u16 v94, v156 offset:128
	ds_read_u16 v185, v156 offset:400
	ds_read_u16 v186, v156 offset:672
	ds_read_u16 v187, v157 offset:128
	v_cvt_f32_f16_e32 v224, v239
	v_cvt_f32_f16_sdwa v225, v239 dst_sel:DWORD dst_unused:UNUSED_PAD src0_sel:WORD_1
	s_waitcnt lgkmcnt(0)
	v_perm_b32 v187, v187, v186, s96
	v_perm_b32 v186, v185, v94, s96
	v_accvgpr_read_b32 v245, a0
	v_accvgpr_read_b32 v246, a1
	v_accvgpr_read_b32 v251, a2
	v_accvgpr_read_b32 v252, a3
	v_accvgpr_write_b32 a0, v188
	v_accvgpr_write_b32 a1, v189
	v_accvgpr_write_b32 a2, v224
	v_accvgpr_write_b32 a3, v225
	ds_read_u16 v188, v156 offset:8832
	ds_read_u16 v189, v156 offset:9104
	ds_read_u16 v224, v156 offset:9376
	ds_read_u16 v225, v157 offset:8832
	v_mfma_f32_16x16x16_f16 a[0:3], v[186:187], v[28:29], a[0:3]
	;; [unrolled: 45-line block ×3, first 2 shown]
	v_cvt_pk_f16_f32 v239, v239, v240
	v_cvt_pk_f16_f32 v240, v245, v246
	;; [unrolled: 1-line block ×4, first 2 shown]
	s_nop 3
	v_accvgpr_read_b32 v94, a0
	v_accvgpr_read_b32 v185, a1
	;; [unrolled: 1-line block ×4, first 2 shown]
	v_cvt_f16_f32_e32 v94, v94
	v_cvt_f16_f32_e32 v185, v185
	;; [unrolled: 1-line block ×4, first 2 shown]
	v_cvt_f32_f16_e32 v94, v94
	v_cvt_f32_f16_e32 v185, v185
	;; [unrolled: 1-line block ×4, first 2 shown]
	s_waitcnt lgkmcnt(0)
	v_perm_b32 v187, v225, v224, s96
	v_perm_b32 v186, v189, v188, s96
	v_accvgpr_write_b32 a0, v94
	v_accvgpr_write_b32 a1, v185
	;; [unrolled: 1-line block ×4, first 2 shown]
	v_cvt_f32_f16_e32 v188, v232
	v_cvt_f32_f16_sdwa v224, v232 dst_sel:DWORD dst_unused:UNUSED_PAD src0_sel:WORD_1
	v_mfma_f32_16x16x16_f16 a[0:3], v[186:187], v[26:27], a[0:3]
	ds_read_u16 v94, v156 offset:192
	ds_read_u16 v185, v156 offset:464
	;; [unrolled: 1-line block ×4, first 2 shown]
	v_cvt_f32_f16_e32 v225, v231
	v_cvt_f32_f16_sdwa v226, v231 dst_sel:DWORD dst_unused:UNUSED_PAD src0_sel:WORD_1
	s_waitcnt lgkmcnt(0)
	v_perm_b32 v187, v187, v186, s96
	v_perm_b32 v186, v185, v94, s96
	v_accvgpr_read_b32 v237, a0
	v_accvgpr_read_b32 v238, a1
	;; [unrolled: 1-line block ×4, first 2 shown]
	v_accvgpr_write_b32 a0, v188
	v_accvgpr_write_b32 a1, v224
	;; [unrolled: 1-line block ×4, first 2 shown]
	ds_read_u16 v188, v156 offset:8896
	ds_read_u16 v224, v156 offset:9168
	;; [unrolled: 1-line block ×4, first 2 shown]
	v_mfma_f32_16x16x16_f16 a[0:3], v[186:187], v[28:29], a[0:3]
	v_cvt_pk_f16_f32 v237, v237, v238
	v_cvt_pk_f16_f32 v238, v253, v254
	s_nop 5
	v_accvgpr_read_b32 v94, a0
	v_accvgpr_read_b32 v185, a1
	;; [unrolled: 1-line block ×4, first 2 shown]
	v_cvt_f16_f32_e32 v94, v94
	v_cvt_f16_f32_e32 v185, v185
	;; [unrolled: 1-line block ×4, first 2 shown]
	v_cvt_f32_f16_e32 v94, v94
	v_cvt_f32_f16_e32 v185, v185
	;; [unrolled: 1-line block ×4, first 2 shown]
	s_waitcnt lgkmcnt(0)
	v_perm_b32 v187, v226, v225, s96
	v_perm_b32 v186, v224, v188, s96
	v_accvgpr_write_b32 a0, v94
	v_accvgpr_write_b32 a1, v185
	;; [unrolled: 1-line block ×4, first 2 shown]
	v_cvt_f32_f16_e32 v226, v230
	v_cvt_f32_f16_sdwa v230, v230 dst_sel:DWORD dst_unused:UNUSED_PAD src0_sel:WORD_1
	v_mfma_f32_16x16x16_f16 a[0:3], v[186:187], v[26:27], a[0:3]
	ds_read_u16 v94, v156 offset:224
	ds_read_u16 v185, v156 offset:496
	;; [unrolled: 1-line block ×4, first 2 shown]
	s_waitcnt lgkmcnt(0)
	v_perm_b32 v225, v224, v186, s96
	v_perm_b32 v224, v185, v94, s96
	s_nop 0
	v_accvgpr_read_b32 v231, a0
	v_accvgpr_read_b32 v232, a1
	;; [unrolled: 1-line block ×4, first 2 shown]
	v_accvgpr_write_b32 a0, v226
	v_accvgpr_write_b32 a1, v230
	;; [unrolled: 1-line block ×4, first 2 shown]
	ds_read_u16 v230, v156 offset:8928
	ds_read_u16 v186, v156 offset:9200
	;; [unrolled: 1-line block ×4, first 2 shown]
	v_mfma_f32_16x16x16_f16 a[0:3], v[224:225], v[28:29], a[0:3]
	v_cvt_pk_f16_f32 v231, v231, v232
	v_cvt_pk_f16_f32 v232, v255, v189
	s_waitcnt lgkmcnt(0)
	s_barrier
	s_nop 3
	v_accvgpr_read_b32 v92, a2
	v_accvgpr_read_b32 v28, a0
	;; [unrolled: 1-line block ×3, first 2 shown]
	v_cvt_f16_f32_e32 v229, v92
	v_accvgpr_read_b32 v92, a3
	v_cvt_f16_f32_e32 v28, v28
	v_cvt_f16_f32_e32 v29, v29
	;; [unrolled: 1-line block ×3, first 2 shown]
	v_cvt_f32_f16_e32 v225, v229
	v_cvt_f32_f16_e32 v92, v28
	;; [unrolled: 1-line block ×4, first 2 shown]
	v_perm_b32 v29, v94, v226, s96
	v_perm_b32 v28, v186, v230, s96
	v_accvgpr_write_b32 a0, v92
	v_accvgpr_write_b32 a1, v224
	;; [unrolled: 1-line block ×4, first 2 shown]
	v_cvt_pk_f16_f32 v230, v188, v187
	s_nop 0
	v_mfma_f32_16x16x16_f16 a[0:3], v[28:29], v[26:27], a[0:3]
	s_nop 7
	v_accvgpr_read_b32 v26, a0
	v_accvgpr_read_b32 v27, a1
	;; [unrolled: 1-line block ×4, first 2 shown]
	v_cvt_pk_f16_f32 v27, v26, v27
	v_cvt_pk_f16_f32 v229, v28, v29
	;; [unrolled: 1-line block ×3, first 2 shown]
	s_cbranch_scc0 .LBB29_215
; %bb.213:                              ;   in Loop: Header=BB29_212 Depth=2
	v_mov_b32_e32 v26, v103
	v_mov_b32_e32 v28, v101
	s_and_saveexec_b64 s[10:11], s[4:5]
	s_cbranch_execnz .LBB29_211
	s_branch .LBB29_212
.LBB29_214:                             ;   in Loop: Header=BB29_10 Depth=1
	v_mov_b32_e32 v101, 0xfeffffff
	v_mov_b32_e32 v103, 0
	s_mov_b64 s[10:11], 0
	v_mov_b32_e32 v233, 0
	v_mov_b32_e32 v234, 0
	;; [unrolled: 1-line block ×16, first 2 shown]
	s_and_saveexec_b64 s[14:15], s[4:5]
	s_cbranch_execnz .LBB29_216
	s_branch .LBB29_217
.LBB29_215:                             ;   in Loop: Header=BB29_10 Depth=1
	s_lshl_b32 s62, s14, 6
	s_mov_b64 s[10:11], s[62:63]
	s_and_saveexec_b64 s[14:15], s[4:5]
	s_cbranch_execz .LBB29_217
.LBB29_216:                             ;   in Loop: Header=BB29_10 Depth=1
	v_or_b32_e32 v26, v99, v87
	v_mul_hi_u32 v28, s44, v26
	v_add_u32_e32 v28, v26, v28
	v_lshrrev_b32_e32 v28, s45, v28
	v_mul_lo_u32 v28, v28, s36
	s_lshl_b64 s[76:77], s[10:11], 1
	v_sub_u32_e32 v26, v26, v28
	v_lshl_add_u64 v[132:133], v[132:133], 0, s[76:77]
	v_mad_i64_i32 v[134:135], s[76:77], v26, s46, 0
	v_lshl_add_u64 v[132:133], v[134:135], 1, v[132:133]
	v_lshlrev_b32_e32 v36, 1, v32
	v_lshl_add_u64 v[132:133], v[132:133], 0, v[36:37]
	global_load_dword v26, v[132:133], off
	s_waitcnt vmcnt(0)
	ds_write_b32 v91, v26 offset:17408
.LBB29_217:                             ;   in Loop: Header=BB29_10 Depth=1
	s_or_b64 exec, exec, s[14:15]
	s_mul_i32 s11, s10, s39
	s_mul_hi_u32 s14, s10, s38
	s_add_i32 s15, s14, s11
	s_mul_i32 s14, s10, s38
	s_lshl_b64 s[14:15], s[14:15], 2
	v_lshl_add_u64 v[134:135], v[130:131], 0, s[14:15]
	v_lshl_add_u64 v[130:131], v[48:49], 2, v[134:135]
	v_lshlrev_b32_e32 v36, 2, v34
	v_lshl_add_u64 v[130:131], v[130:131], 0, v[36:37]
	global_load_dwordx4 v[130:133], v[130:131], off offset:256
	v_add_u32_e32 v26, 0x2000, v154
	s_mul_i32 s11, s10, s35
	s_mul_hi_u32 s14, s10, s34
	s_add_i32 s11, s14, s11
	s_mul_i32 s10, s10, s34
	s_lshl_b64 s[10:11], s[10:11], 2
	s_waitcnt vmcnt(0)
	ds_write_b128 v93, v[130:133]
	v_lshl_add_u64 v[130:131], v[38:39], 2, v[134:135]
	v_lshl_add_u64 v[130:131], v[130:131], 0, v[36:37]
	global_load_dwordx4 v[130:133], v[130:131], off offset:256
	v_lshlrev_b32_e32 v36, 2, v70
	s_waitcnt vmcnt(0)
	ds_write_b128 v95, v[130:133]
	s_waitcnt lgkmcnt(0)
	s_barrier
	ds_read2_b64 v[130:133], v154 offset1:4
	s_waitcnt lgkmcnt(0)
	v_mfma_f32_16x16x16_f16 a[0:3], v[130:131], v[22:23], 0
	v_mfma_f32_16x16x16_f16 a[0:3], v[132:133], v[24:25], a[0:3]
	ds_read2_b64 v[130:133], v154 offset0:8 offset1:12
	s_waitcnt lgkmcnt(0)
	v_mfma_f32_16x16x16_f16 a[0:3], v[130:131], v[18:19], a[0:3]
	v_mfma_f32_16x16x16_f16 a[0:3], v[132:133], v[20:21], a[0:3]
	ds_read2_b64 v[130:133], v26 offset0:64 offset1:68
	;; [unrolled: 4-line block ×3, first 2 shown]
	s_waitcnt lgkmcnt(0)
	s_barrier
	v_mfma_f32_16x16x16_f16 a[4:7], v[22:23], v[18:19], a[4:7]
	v_lshl_add_u64 v[18:19], v[40:41], 2, v[134:135]
	v_lshl_add_u64 v[18:19], v[18:19], 0, v[36:37]
	v_mfma_f32_16x16x16_f16 a[4:7], v[24:25], v[20:21], a[4:7]
	global_load_dwordx4 v[18:21], v[18:19], off
	s_waitcnt vmcnt(0)
	ds_write_b128 v162, v[18:21]
	v_lshl_add_u64 v[18:19], v[42:43], 2, v[134:135]
	v_lshl_add_u64 v[18:19], v[18:19], 0, v[36:37]
	global_load_dwordx4 v[18:21], v[18:19], off
	s_waitcnt vmcnt(0)
	ds_write_b128 v193, v[18:21]
	v_lshl_add_u64 v[18:19], v[44:45], 2, v[134:135]
	v_lshl_add_u64 v[18:19], v[18:19], 0, v[36:37]
	global_load_dwordx4 v[18:21], v[18:19], off
	s_waitcnt vmcnt(0)
	ds_write_b128 v194, v[18:21]
	v_lshl_add_u64 v[18:19], v[46:47], 2, v[134:135]
	v_lshl_add_u64 v[18:19], v[18:19], 0, v[36:37]
	global_load_dwordx4 v[18:21], v[18:19], off
	s_waitcnt vmcnt(0)
	ds_write_b128 v195, v[18:21]
	s_waitcnt lgkmcnt(0)
	s_barrier
	ds_read2_b64 v[18:21], v154 offset1:4
	s_waitcnt lgkmcnt(0)
	v_mfma_f32_16x16x16_f16 a[0:3], v[18:19], v[14:15], a[0:3]
	v_mfma_f32_16x16x16_f16 a[0:3], v[20:21], v[16:17], a[0:3]
	ds_read2_b64 v[18:21], v154 offset0:8 offset1:12
	s_waitcnt lgkmcnt(0)
	v_mfma_f32_16x16x16_f16 a[0:3], v[18:19], v[10:11], a[0:3]
	v_mfma_f32_16x16x16_f16 a[0:3], v[20:21], v[12:13], a[0:3]
	ds_read2_b64 v[18:21], v154 offset0:16 offset1:20
	;; [unrolled: 4-line block ×7, first 2 shown]
	s_waitcnt lgkmcnt(0)
	s_barrier
	v_mfma_f32_16x16x16_f16 a[4:7], v[6:7], v[2:3], a[4:7]
	v_add_u32_e32 v2, 0x4400, v155
	ds_read2_b32 v[2:3], v2 offset1:1
	v_mfma_f32_16x16x16_f16 a[4:7], v[8:9], v[4:5], a[4:7]
	v_accvgpr_read_b32 v5, a0
	v_accvgpr_read_b32 v6, a2
	s_waitcnt lgkmcnt(0)
	v_cvt_f32_f16_e32 v4, v2
	v_cvt_f32_f16_sdwa v2, v2 dst_sel:DWORD dst_unused:UNUSED_PAD src0_sel:WORD_1
	v_add_f32_e32 v4, v5, v4
	v_accvgpr_read_b32 v5, a1
	v_add_f32_e32 v2, v5, v2
	v_cvt_f32_f16_e32 v5, v3
	v_cvt_f32_f16_sdwa v3, v3 dst_sel:DWORD dst_unused:UNUSED_PAD src0_sel:WORD_1
	v_accvgpr_read_b32 v8, a4
	v_add_f32_e32 v5, v6, v5
	v_accvgpr_read_b32 v6, a3
	v_add_f32_e32 v3, v6, v3
	ds_read_b32 v6, v163 offset:17408
	s_waitcnt lgkmcnt(0)
	v_cvt_f32_f16_e32 v7, v6
	v_cvt_f32_f16_sdwa v6, v6 dst_sel:DWORD dst_unused:UNUSED_PAD src0_sel:WORD_1
	v_add_f32_e32 v9, v8, v7
	v_accvgpr_read_b32 v7, a5
	v_add_f32_e32 v10, v7, v6
	ds_read_b32 v6, v164 offset:17408
	v_accvgpr_read_b32 v8, a6
	s_waitcnt lgkmcnt(0)
	v_cvt_f32_f16_e32 v7, v6
	v_cvt_f32_f16_sdwa v6, v6 dst_sel:DWORD dst_unused:UNUSED_PAD src0_sel:WORD_1
	v_add_f32_e32 v11, v8, v7
	v_accvgpr_read_b32 v7, a7
	v_add_f32_e32 v12, v7, v6
	v_add_f32_e32 v6, 0x40051340, v4
	;; [unrolled: 1-line block ×3, first 2 shown]
	v_max3_f32 v6, v101, v6, v7
	v_add_f32_e32 v7, 0x40051340, v5
	v_add_f32_e32 v8, 0x40051340, v3
	v_max3_f32 v6, v6, v7, v8
	v_add_f32_e32 v7, 0x40051340, v9
	v_add_f32_e32 v8, 0x40051340, v10
	;; [unrolled: 3-line block ×3, first 2 shown]
	v_max3_f32 v6, v6, v7, v8
	v_and_b32_e32 v7, 64, v227
	v_add_u32_e32 v8, 64, v7
	v_xor_b32_e32 v7, 32, v227
	v_cmp_lt_i32_e32 vcc, v7, v8
	s_nop 1
	v_cndmask_b32_e32 v7, v227, v7, vcc
	v_lshlrev_b32_e32 v7, 2, v7
	ds_bpermute_b32 v13, v7, v6
	s_waitcnt lgkmcnt(0)
	v_max_f32_e32 v13, v13, v13
	v_max_f32_e32 v6, v6, v13
	v_xor_b32_e32 v13, 16, v227
	v_cmp_lt_i32_e32 vcc, v13, v8
	s_nop 1
	v_cndmask_b32_e32 v8, v227, v13, vcc
	v_lshlrev_b32_e32 v8, 2, v8
	ds_bpermute_b32 v13, v8, v6
	s_waitcnt lgkmcnt(0)
	v_max_f32_e32 v13, v13, v13
	v_max_f32_e32 v6, v6, v13
	v_sub_f32_e32 v4, v4, v6
	v_mul_f32_e32 v13, 0x3fb8aa3b, v4
	v_fma_f32 v14, v4, s47, -v13
	v_rndne_f32_e32 v15, v13
	v_fmac_f32_e32 v14, 0x32a5705f, v4
	v_sub_f32_e32 v13, v13, v15
	v_add_f32_e32 v13, v13, v14
	v_exp_f32_e32 v13, v13
	v_cvt_i32_f32_e32 v14, v15
	v_cmp_ngt_f32_e32 vcc, s69, v4
	v_sub_f32_e32 v2, v2, v6
	v_sub_f32_e32 v3, v3, v6
	v_ldexp_f32 v13, v13, v14
	v_cndmask_b32_e32 v13, 0, v13, vcc
	v_cmp_nlt_f32_e32 vcc, s94, v4
	v_mul_f32_e32 v4, 0x3fb8aa3b, v2
	v_rndne_f32_e32 v15, v4
	v_cndmask_b32_e32 v14, v228, v13, vcc
	v_fma_f32 v13, v2, s47, -v4
	v_fmac_f32_e32 v13, 0x32a5705f, v2
	v_sub_f32_e32 v4, v4, v15
	v_add_f32_e32 v4, v4, v13
	v_exp_f32_e32 v4, v4
	v_cvt_i32_f32_e32 v13, v15
	v_cmp_ngt_f32_e32 vcc, s69, v2
	v_ldexp_f32 v4, v4, v13
	s_nop 0
	v_cndmask_b32_e32 v4, 0, v4, vcc
	v_cmp_nlt_f32_e32 vcc, s94, v2
	s_nop 1
	v_cndmask_b32_e32 v17, v228, v4, vcc
	v_sub_f32_e32 v4, v5, v6
	v_mul_f32_e32 v5, 0x3fb8aa3b, v4
	v_fma_f32 v13, v4, s47, -v5
	v_rndne_f32_e32 v15, v5
	v_fmac_f32_e32 v13, 0x32a5705f, v4
	v_sub_f32_e32 v5, v5, v15
	v_add_f32_e32 v5, v5, v13
	v_exp_f32_e32 v5, v5
	v_cvt_i32_f32_e32 v13, v15
	v_cmp_ngt_f32_e32 vcc, s69, v4
	v_add_f32_e32 v2, v14, v17
	v_ldexp_f32 v5, v5, v13
	v_cndmask_b32_e32 v5, 0, v5, vcc
	v_cmp_nlt_f32_e32 vcc, s94, v4
	v_mul_f32_e32 v4, 0x3fb8aa3b, v3
	v_rndne_f32_e32 v13, v4
	v_cndmask_b32_e32 v18, v228, v5, vcc
	v_fma_f32 v5, v3, s47, -v4
	v_fmac_f32_e32 v5, 0x32a5705f, v3
	v_sub_f32_e32 v4, v4, v13
	v_add_f32_e32 v4, v4, v5
	v_exp_f32_e32 v4, v4
	v_cvt_i32_f32_e32 v5, v13
	v_cmp_ngt_f32_e32 vcc, s69, v3
	v_add_f32_e32 v2, v18, v2
	v_ldexp_f32 v4, v4, v5
	v_cndmask_b32_e32 v4, 0, v4, vcc
	v_cmp_nlt_f32_e32 vcc, s94, v3
	v_sub_f32_e32 v3, v9, v6
	s_nop 0
	v_cndmask_b32_e32 v21, v228, v4, vcc
	v_mul_f32_e32 v4, 0x3fb8aa3b, v3
	v_fma_f32 v5, v3, s47, -v4
	v_rndne_f32_e32 v9, v4
	v_fmac_f32_e32 v5, 0x32a5705f, v3
	v_sub_f32_e32 v4, v4, v9
	v_add_f32_e32 v4, v4, v5
	v_exp_f32_e32 v4, v4
	v_cvt_i32_f32_e32 v5, v9
	v_cmp_ngt_f32_e32 vcc, s69, v3
	v_add_f32_e32 v2, v21, v2
	v_ldexp_f32 v4, v4, v5
	v_cndmask_b32_e32 v4, 0, v4, vcc
	v_cmp_nlt_f32_e32 vcc, s94, v3
	v_sub_f32_e32 v3, v10, v6
	s_nop 0
	v_cndmask_b32_e32 v20, v228, v4, vcc
	v_mul_f32_e32 v4, 0x3fb8aa3b, v3
	v_fma_f32 v5, v3, s47, -v4
	v_rndne_f32_e32 v9, v4
	;; [unrolled: 16-line block ×4, first 2 shown]
	v_fmac_f32_e32 v5, 0x32a5705f, v3
	v_sub_f32_e32 v4, v4, v9
	v_add_f32_e32 v4, v4, v5
	v_exp_f32_e32 v4, v4
	v_cvt_i32_f32_e32 v5, v9
	v_cmp_ngt_f32_e32 vcc, s69, v3
	v_add_f32_e32 v2, v28, v2
	v_ldexp_f32 v4, v4, v5
	v_cndmask_b32_e32 v4, 0, v4, vcc
	v_cmp_nlt_f32_e32 vcc, s94, v3
	s_nop 1
	v_cndmask_b32_e32 v105, v228, v4, vcc
	v_add_f32_e32 v9, v105, v2
	v_sub_f32_e32 v2, v101, v6
	v_mul_f32_e32 v3, 0x3fb8aa3b, v2
	v_fma_f32 v4, v2, s47, -v3
	v_rndne_f32_e32 v5, v3
	v_fmac_f32_e32 v4, 0x32a5705f, v2
	v_sub_f32_e32 v3, v3, v5
	v_add_f32_e32 v3, v3, v4
	v_exp_f32_e32 v3, v3
	v_cvt_i32_f32_e32 v4, v5
	v_cmp_ngt_f32_e32 vcc, s69, v2
	v_ldexp_f32 v3, v3, v4
	s_nop 0
	v_cndmask_b32_e32 v3, 0, v3, vcc
	v_cmp_nlt_f32_e32 vcc, s94, v2
	s_nop 1
	v_cndmask_b32_e32 v3, v228, v3, vcc
	v_cmp_le_f32_e32 vcc, s95, v2
	s_nop 1
	v_cndmask_b32_e32 v2, 0, v3, vcc
	v_fmac_f32_e32 v9, v103, v2
	v_cvt_f16_f32_e32 v2, v2
	ds_bpermute_b32 v7, v7, v9
	v_cmp_ne_u64_e32 vcc, 0, v[126:127]
	s_and_b64 s[14:15], s[0:1], vcc
	v_mul_u32_u24_e32 v2, 0x10001, v2
	v_pk_mul_f16 v131, v234, v2
	v_pk_mul_f16 v130, v233, v2
	;; [unrolled: 1-line block ×16, first 2 shown]
	v_lshl_add_u64 v[2:3], v[128:129], 0, s[10:11]
	v_lshl_add_u64 v[4:5], v[52:53], 2, v[2:3]
	;; [unrolled: 1-line block ×7, first 2 shown]
	global_load_dwordx4 v[2:5], v[4:5], off
	v_lshl_add_u64 v[128:129], v[128:129], 0, v[36:37]
	v_lshl_add_u64 v[132:133], v[132:133], 0, v[36:37]
	v_cvt_f32_f16_e32 v92, v130
	v_cvt_f32_f16_sdwa v94, v130 dst_sel:DWORD dst_unused:UNUSED_PAD src0_sel:WORD_1
	v_cvt_f32_f16_e32 v27, v131
	v_cvt_f32_f16_sdwa v36, v131 dst_sel:DWORD dst_unused:UNUSED_PAD src0_sel:WORD_1
	v_accvgpr_write_b32 a2, v92
	v_accvgpr_write_b32 a3, v94
	;; [unrolled: 1-line block ×4, first 2 shown]
	v_cvt_f32_f16_e32 v136, v22
	v_cvt_f32_f16_sdwa v137, v22 dst_sel:DWORD dst_unused:UNUSED_PAD src0_sel:WORD_1
	v_cvt_f32_f16_e32 v138, v16
	v_cvt_f32_f16_sdwa v16, v16 dst_sel:DWORD dst_unused:UNUSED_PAD src0_sel:WORD_1
	v_cvt_f32_f16_e32 v139, v15
	v_cvt_f32_f16_sdwa v15, v15 dst_sel:DWORD dst_unused:UNUSED_PAD src0_sel:WORD_1
	v_cvt_f32_f16_e32 v140, v13
	v_cvt_f32_f16_sdwa v141, v13 dst_sel:DWORD dst_unused:UNUSED_PAD src0_sel:WORD_1
	v_cvt_f32_f16_e32 v142, v12
	v_cvt_f32_f16_sdwa v143, v12 dst_sel:DWORD dst_unused:UNUSED_PAD src0_sel:WORD_1
	v_cvt_f32_f16_sdwa v144, v11 dst_sel:DWORD dst_unused:UNUSED_PAD src0_sel:WORD_1
	v_cvt_f32_f16_e32 v145, v10
	v_cvt_f32_f16_sdwa v146, v10 dst_sel:DWORD dst_unused:UNUSED_PAD src0_sel:WORD_1
	s_waitcnt lgkmcnt(0)
	v_add_f32_e32 v7, v9, v7
	ds_bpermute_b32 v9, v8, v7
	s_waitcnt lgkmcnt(0)
	v_add_f32_e32 v7, v7, v9
	s_waitcnt vmcnt(0)
	ds_write_b128 v162, v[2:5]
	global_load_dwordx4 v[2:5], v[128:129], off
	s_waitcnt vmcnt(0)
	ds_write_b128 v193, v[2:5]
	global_load_dwordx4 v[2:5], v[132:133], off
	v_cvt_f32_f16_e32 v132, v101
	v_cvt_f32_f16_sdwa v101, v101 dst_sel:DWORD dst_unused:UNUSED_PAD src0_sel:WORD_1
	v_cvt_f32_f16_e32 v133, v29
	v_cvt_f32_f16_sdwa v29, v29 dst_sel:DWORD dst_unused:UNUSED_PAD src0_sel:WORD_1
	s_waitcnt vmcnt(0)
	ds_write_b128 v194, v[2:5]
	global_load_dwordx4 v[2:5], v[134:135], off
	v_cvt_f32_f16_e32 v134, v23
	v_cvt_f32_f16_sdwa v135, v23 dst_sel:DWORD dst_unused:UNUSED_PAD src0_sel:WORD_1
	s_waitcnt vmcnt(0)
	ds_write_b128 v195, v[2:5]
	s_waitcnt lgkmcnt(0)
	s_barrier
	ds_read_u16 v2, v156 offset:272
	ds_read_u16 v3, v156 offset:544
	ds_read_u16 v4, v157
	ds_read_u16 v130, v157 offset:32
	v_cvt_pk_f16_f32 v5, v18, v21
	s_waitcnt lgkmcnt(1)
	v_perm_b32 v3, v4, v3, s96
	ds_read_u16 v4, v156
	ds_read_u16 v131, v156 offset:32
	ds_read_u16 v18, v156 offset:8704
	;; [unrolled: 1-line block ×5, first 2 shown]
	s_waitcnt lgkmcnt(5)
	v_perm_b32 v2, v2, v4, s96
	v_cvt_pk_f16_f32 v4, v14, v17
	s_waitcnt lgkmcnt(0)
	v_perm_b32 v129, v36, v27, s96
	v_perm_b32 v128, v21, v18, s96
	v_mfma_f32_16x16x16_f16 a[0:3], v[2:3], v[4:5], a[0:3]
	v_cvt_f32_f16_e32 v36, v19
	v_cvt_f32_f16_sdwa v19, v19 dst_sel:DWORD dst_unused:UNUSED_PAD src0_sel:WORD_1
	s_nop 5
	v_accvgpr_read_b32 v2, a0
	v_accvgpr_read_b32 v3, a1
	;; [unrolled: 1-line block ×4, first 2 shown]
	v_cvt_f16_f32_e32 v2, v2
	v_cvt_f16_f32_e32 v3, v3
	;; [unrolled: 1-line block ×4, first 2 shown]
	v_cvt_f32_f16_e32 v92, v2
	v_cvt_f32_f16_e32 v94, v3
	;; [unrolled: 1-line block ×4, first 2 shown]
	v_cvt_pk_f16_f32 v3, v28, v105
	v_cvt_pk_f16_f32 v2, v20, v26
	v_accvgpr_write_b32 a0, v92
	v_accvgpr_write_b32 a1, v94
	;; [unrolled: 1-line block ×4, first 2 shown]
	v_cvt_f32_f16_e32 v28, v25
	v_cvt_f32_f16_sdwa v25, v25 dst_sel:DWORD dst_unused:UNUSED_PAD src0_sel:WORD_1
	v_mfma_f32_16x16x16_f16 a[0:3], v[128:129], v[2:3], a[0:3]
	s_nop 7
	v_accvgpr_read_b32 v14, a2
	v_accvgpr_read_b32 v26, a3
	v_cvt_f16_f32_e32 v14, v14
	v_cvt_f16_f32_e32 v26, v26
	v_accvgpr_read_b32 v17, a0
	v_accvgpr_read_b32 v18, a1
	v_accvgpr_write_b32 a0, v28
	v_perm_b32 v14, v26, v14, s96
	ds_read_u16 v26, v156 offset:304
	ds_read_u16 v27, v156 offset:576
	v_accvgpr_write_b32 a1, v25
	v_accvgpr_write_b32 a2, v36
	;; [unrolled: 1-line block ×3, first 2 shown]
	s_waitcnt lgkmcnt(1)
	v_perm_b32 v26, v26, v131, s96
	s_waitcnt lgkmcnt(0)
	v_perm_b32 v27, v130, v27, s96
	ds_read_u16 v28, v156 offset:8736
	ds_read_u16 v36, v156 offset:9008
	;; [unrolled: 1-line block ×4, first 2 shown]
	v_mfma_f32_16x16x16_f16 a[0:3], v[26:27], v[4:5], a[0:3]
	v_cvt_f32_f16_e32 v130, v103
	v_cvt_f32_f16_sdwa v103, v103 dst_sel:DWORD dst_unused:UNUSED_PAD src0_sel:WORD_1
	v_cvt_f32_f16_e32 v131, v24
	v_cvt_f32_f16_sdwa v24, v24 dst_sel:DWORD dst_unused:UNUSED_PAD src0_sel:WORD_1
	v_cvt_f16_f32_e32 v20, v17
	s_nop 2
	v_accvgpr_read_b32 v19, a0
	v_accvgpr_read_b32 v25, a1
	;; [unrolled: 1-line block ×4, first 2 shown]
	v_cvt_f16_f32_e32 v19, v19
	v_cvt_f16_f32_e32 v25, v25
	;; [unrolled: 1-line block ×4, first 2 shown]
	v_cvt_f32_f16_e32 v19, v19
	v_cvt_f32_f16_e32 v25, v25
	;; [unrolled: 1-line block ×4, first 2 shown]
	s_waitcnt lgkmcnt(0)
	v_perm_b32 v27, v94, v92, s96
	v_perm_b32 v26, v36, v28, s96
	v_accvgpr_write_b32 a0, v19
	v_accvgpr_write_b32 a1, v25
	;; [unrolled: 1-line block ×4, first 2 shown]
	v_cvt_f16_f32_e32 v21, v18
	v_perm_b32 v20, v21, v20, s96
	v_mfma_f32_16x16x16_f16 a[0:3], v[26:27], v[2:3], a[0:3]
	s_nop 7
	v_accvgpr_read_b32 v19, a2
	v_accvgpr_read_b32 v36, a3
	v_cvt_f16_f32_e32 v19, v19
	v_cvt_f16_f32_e32 v36, v36
	v_accvgpr_read_b32 v25, a0
	v_accvgpr_read_b32 v26, a1
	v_accvgpr_write_b32 a0, v130
	v_perm_b32 v19, v36, v19, s96
	ds_read_u16 v36, v156 offset:64
	ds_read_u16 v92, v156 offset:336
	;; [unrolled: 1-line block ×4, first 2 shown]
	v_accvgpr_write_b32 a1, v103
	v_accvgpr_write_b32 a2, v131
	s_waitcnt lgkmcnt(2)
	v_perm_b32 v128, v92, v36, s96
	v_accvgpr_write_b32 a3, v24
	s_waitcnt lgkmcnt(0)
	v_perm_b32 v129, v105, v94, s96
	v_cvt_f16_f32_e32 v27, v25
	v_cvt_f16_f32_e32 v28, v26
	v_mfma_f32_16x16x16_f16 a[0:3], v[128:129], v[4:5], a[0:3]
	ds_read_u16 v103, v156 offset:8768
	ds_read_u16 v105, v156 offset:9040
	;; [unrolled: 1-line block ×4, first 2 shown]
	v_perm_b32 v27, v28, v27, s96
	s_waitcnt lgkmcnt(0)
	v_perm_b32 v129, v129, v128, s96
	s_nop 0
	v_accvgpr_read_b32 v24, a0
	v_accvgpr_read_b32 v36, a1
	;; [unrolled: 1-line block ×4, first 2 shown]
	v_cvt_f16_f32_e32 v24, v24
	v_cvt_f16_f32_e32 v36, v36
	;; [unrolled: 1-line block ×4, first 2 shown]
	v_cvt_f32_f16_e32 v24, v24
	v_cvt_f32_f16_e32 v36, v36
	;; [unrolled: 1-line block ×4, first 2 shown]
	v_perm_b32 v128, v105, v103, s96
	v_accvgpr_write_b32 a0, v24
	v_accvgpr_write_b32 a1, v36
	;; [unrolled: 1-line block ×4, first 2 shown]
	s_nop 1
	v_mfma_f32_16x16x16_f16 a[0:3], v[128:129], v[2:3], a[0:3]
	s_nop 7
	v_accvgpr_read_b32 v24, a2
	v_accvgpr_read_b32 v92, a3
	v_cvt_f16_f32_e32 v24, v24
	v_cvt_f16_f32_e32 v92, v92
	v_accvgpr_read_b32 v36, a0
	v_accvgpr_read_b32 v103, a1
	v_accvgpr_write_b32 a0, v132
	v_perm_b32 v24, v92, v24, s96
	ds_read_u16 v92, v156 offset:96
	ds_read_u16 v94, v156 offset:368
	;; [unrolled: 1-line block ×4, first 2 shown]
	v_accvgpr_write_b32 a1, v101
	v_accvgpr_write_b32 a2, v133
	;; [unrolled: 1-line block ×3, first 2 shown]
	v_cvt_f16_f32_e32 v105, v36
	s_waitcnt lgkmcnt(0)
	v_perm_b32 v131, v130, v129, s96
	v_perm_b32 v130, v94, v92, s96
	v_cvt_f16_f32_e32 v128, v103
	v_perm_b32 v105, v128, v105, s96
	v_mfma_f32_16x16x16_f16 a[0:3], v[130:131], v[4:5], a[0:3]
	ds_read_u16 v129, v156 offset:8800
	ds_read_u16 v130, v156 offset:9072
	;; [unrolled: 1-line block ×4, first 2 shown]
	s_waitcnt lgkmcnt(2)
	v_perm_b32 v130, v130, v129, s96
	s_waitcnt lgkmcnt(0)
	v_perm_b32 v131, v132, v131, s96
	v_accvgpr_read_b32 v29, a0
	v_accvgpr_read_b32 v92, a1
	;; [unrolled: 1-line block ×4, first 2 shown]
	v_cvt_f16_f32_e32 v29, v29
	v_cvt_f16_f32_e32 v92, v92
	;; [unrolled: 1-line block ×4, first 2 shown]
	v_cvt_f32_f16_e32 v29, v29
	v_cvt_f32_f16_e32 v92, v92
	;; [unrolled: 1-line block ×4, first 2 shown]
	v_accvgpr_write_b32 a0, v29
	v_accvgpr_write_b32 a1, v92
	v_accvgpr_write_b32 a2, v94
	v_accvgpr_write_b32 a3, v101
	s_nop 1
	v_mfma_f32_16x16x16_f16 a[0:3], v[130:131], v[2:3], a[0:3]
	s_nop 7
	v_accvgpr_read_b32 v29, a2
	v_accvgpr_read_b32 v92, a3
	v_cvt_f16_f32_e32 v29, v29
	v_cvt_f16_f32_e32 v92, v92
	v_accvgpr_read_b32 v101, a0
	v_accvgpr_read_b32 v129, a1
	v_accvgpr_write_b32 a0, v134
	v_perm_b32 v29, v92, v29, s96
	ds_read_u16 v92, v156 offset:128
	ds_read_u16 v94, v156 offset:400
	;; [unrolled: 1-line block ×4, first 2 shown]
	v_accvgpr_write_b32 a1, v135
	v_accvgpr_write_b32 a2, v136
	s_waitcnt lgkmcnt(2)
	v_perm_b32 v22, v94, v92, s96
	v_accvgpr_write_b32 a3, v137
	s_waitcnt lgkmcnt(0)
	v_perm_b32 v23, v133, v132, s96
	ds_read_u16 v132, v156 offset:8832
	ds_read_u16 v133, v156 offset:9104
	;; [unrolled: 1-line block ×4, first 2 shown]
	v_mfma_f32_16x16x16_f16 a[0:3], v[22:23], v[4:5], a[0:3]
	v_cvt_f16_f32_e32 v130, v101
	v_cvt_f16_f32_e32 v131, v129
	s_nop 5
	v_accvgpr_read_b32 v22, a0
	v_accvgpr_read_b32 v23, a1
	;; [unrolled: 1-line block ×4, first 2 shown]
	v_cvt_f16_f32_e32 v22, v22
	v_cvt_f16_f32_e32 v23, v23
	;; [unrolled: 1-line block ×4, first 2 shown]
	v_cvt_f32_f16_e32 v136, v22
	v_cvt_f32_f16_e32 v137, v23
	;; [unrolled: 1-line block ×4, first 2 shown]
	s_waitcnt lgkmcnt(0)
	v_perm_b32 v23, v135, v134, s96
	v_perm_b32 v22, v133, v132, s96
	v_accvgpr_write_b32 a0, v136
	v_accvgpr_write_b32 a1, v137
	;; [unrolled: 1-line block ×4, first 2 shown]
	s_nop 1
	v_mfma_f32_16x16x16_f16 a[0:3], v[22:23], v[2:3], a[0:3]
	s_nop 7
	v_accvgpr_read_b32 v22, a2
	v_accvgpr_read_b32 v92, a3
	v_cvt_f16_f32_e32 v22, v22
	v_cvt_f16_f32_e32 v92, v92
	v_accvgpr_read_b32 v23, a0
	v_accvgpr_read_b32 v132, a1
	v_accvgpr_write_b32 a0, v138
	v_perm_b32 v22, v92, v22, s96
	ds_read_u16 v92, v156 offset:160
	ds_read_u16 v94, v156 offset:432
	;; [unrolled: 1-line block ×4, first 2 shown]
	v_accvgpr_write_b32 a1, v16
	v_accvgpr_write_b32 a2, v139
	;; [unrolled: 1-line block ×3, first 2 shown]
	v_cvt_f16_f32_e32 v133, v23
	s_waitcnt lgkmcnt(0)
	v_perm_b32 v137, v136, v135, s96
	v_perm_b32 v136, v94, v92, s96
	v_cvt_f16_f32_e32 v134, v132
	s_nop 0
	v_mfma_f32_16x16x16_f16 a[0:3], v[136:137], v[4:5], a[0:3]
	ds_read_u16 v135, v156 offset:8864
	ds_read_u16 v136, v156 offset:9136
	;; [unrolled: 1-line block ×4, first 2 shown]
	s_waitcnt lgkmcnt(2)
	v_perm_b32 v136, v136, v135, s96
	s_nop 1
	v_accvgpr_read_b32 v15, a0
	v_accvgpr_read_b32 v16, a1
	v_accvgpr_read_b32 v92, a2
	v_accvgpr_read_b32 v94, a3
	v_cvt_f16_f32_e32 v15, v15
	v_cvt_f16_f32_e32 v16, v16
	v_cvt_f16_f32_e32 v92, v92
	v_cvt_f16_f32_e32 v94, v94
	v_cvt_f32_f16_e32 v15, v15
	v_cvt_f32_f16_e32 v16, v16
	;; [unrolled: 1-line block ×4, first 2 shown]
	s_waitcnt lgkmcnt(0)
	v_perm_b32 v137, v138, v137, s96
	v_accvgpr_write_b32 a0, v15
	v_accvgpr_write_b32 a1, v16
	;; [unrolled: 1-line block ×4, first 2 shown]
	s_nop 1
	v_mfma_f32_16x16x16_f16 a[0:3], v[136:137], v[2:3], a[0:3]
	s_nop 7
	v_accvgpr_read_b32 v15, a2
	v_accvgpr_read_b32 v92, a3
	v_cvt_f16_f32_e32 v15, v15
	v_cvt_f16_f32_e32 v92, v92
	v_accvgpr_read_b32 v16, a0
	v_accvgpr_read_b32 v135, a1
	v_accvgpr_write_b32 a0, v140
	v_perm_b32 v15, v92, v15, s96
	ds_read_u16 v92, v156 offset:192
	ds_read_u16 v94, v156 offset:464
	ds_read_u16 v138, v156 offset:736
	ds_read_u16 v139, v157 offset:192
	v_accvgpr_write_b32 a1, v141
	v_accvgpr_write_b32 a2, v142
	s_waitcnt lgkmcnt(2)
	v_perm_b32 v12, v94, v92, s96
	v_accvgpr_write_b32 a3, v143
	s_waitcnt lgkmcnt(0)
	v_perm_b32 v13, v139, v138, s96
	ds_read_u16 v138, v156 offset:8896
	ds_read_u16 v139, v156 offset:9168
	;; [unrolled: 1-line block ×4, first 2 shown]
	v_mfma_f32_16x16x16_f16 a[0:3], v[12:13], v[4:5], a[0:3]
	v_cvt_f16_f32_e32 v136, v16
	v_cvt_f16_f32_e32 v137, v135
	s_nop 5
	v_accvgpr_read_b32 v12, a0
	v_accvgpr_read_b32 v13, a1
	;; [unrolled: 1-line block ×4, first 2 shown]
	v_cvt_f16_f32_e32 v12, v12
	v_cvt_f16_f32_e32 v13, v13
	;; [unrolled: 1-line block ×4, first 2 shown]
	v_cvt_f32_f16_e32 v142, v12
	v_cvt_f32_f16_e32 v143, v13
	v_cvt_f32_f16_e32 v92, v92
	v_cvt_f32_f16_e32 v94, v94
	s_waitcnt lgkmcnt(0)
	v_perm_b32 v13, v141, v140, s96
	v_perm_b32 v12, v139, v138, s96
	v_accvgpr_write_b32 a0, v142
	v_accvgpr_write_b32 a1, v143
	;; [unrolled: 1-line block ×4, first 2 shown]
	v_cvt_f32_f16_e32 v143, v11
	s_nop 0
	v_mfma_f32_16x16x16_f16 a[0:3], v[12:13], v[2:3], a[0:3]
	s_nop 7
	v_accvgpr_read_b32 v12, a2
	v_accvgpr_read_b32 v92, a3
	v_cvt_f16_f32_e32 v12, v12
	v_cvt_f16_f32_e32 v92, v92
	v_accvgpr_read_b32 v13, a0
	v_accvgpr_read_b32 v138, a1
	v_accvgpr_write_b32 a0, v143
	v_perm_b32 v12, v92, v12, s96
	ds_read_u16 v92, v156 offset:224
	ds_read_u16 v94, v156 offset:496
	;; [unrolled: 1-line block ×4, first 2 shown]
	v_accvgpr_write_b32 a1, v144
	v_accvgpr_write_b32 a2, v145
	s_waitcnt lgkmcnt(2)
	v_perm_b32 v10, v94, v92, s96
	v_accvgpr_write_b32 a3, v146
	s_waitcnt lgkmcnt(0)
	v_perm_b32 v11, v142, v141, s96
	v_cvt_f16_f32_e32 v139, v13
	v_cvt_f16_f32_e32 v140, v138
	v_mfma_f32_16x16x16_f16 a[0:3], v[10:11], v[4:5], a[0:3]
	v_perm_b32 v9, v140, v139, s96
	s_nop 6
	v_accvgpr_read_b32 v11, a3
	v_accvgpr_read_b32 v4, a0
	v_accvgpr_read_b32 v5, a1
	v_accvgpr_read_b32 v10, a2
	v_cvt_f16_f32_e32 v141, v11
	ds_read_u16 v11, v156 offset:8928
	ds_read_u16 v142, v156 offset:9200
	;; [unrolled: 1-line block ×4, first 2 shown]
	v_cvt_f16_f32_e32 v4, v4
	v_cvt_f16_f32_e32 v5, v5
	;; [unrolled: 1-line block ×3, first 2 shown]
	v_cvt_f32_f16_e32 v141, v141
	v_cvt_f32_f16_e32 v92, v4
	;; [unrolled: 1-line block ×4, first 2 shown]
	s_waitcnt lgkmcnt(0)
	v_perm_b32 v5, v144, v143, s96
	v_perm_b32 v4, v142, v11, s96
	v_accvgpr_write_b32 a0, v92
	v_accvgpr_write_b32 a1, v94
	;; [unrolled: 1-line block ×4, first 2 shown]
	v_perm_b32 v94, v131, v130, s96
	s_nop 0
	v_mfma_f32_16x16x16_f16 a[0:3], v[4:5], v[2:3], a[0:3]
	s_barrier
	s_nop 6
	v_accvgpr_read_b32 v2, a0
	v_accvgpr_read_b32 v3, a1
	;; [unrolled: 1-line block ×4, first 2 shown]
	v_cvt_f16_f32_e32 v5, v2
	v_cvt_f16_f32_e32 v10, v3
	;; [unrolled: 1-line block ×4, first 2 shown]
	v_perm_b32 v5, v10, v5, s96
	v_perm_b32 v10, v137, v136, s96
	v_perm_b32 v4, v11, v4, s96
	v_perm_b32 v11, v134, v133, s96
	s_and_saveexec_b64 s[10:11], s[14:15]
	s_cbranch_execz .LBB29_219
; %bb.218:                              ;   in Loop: Header=BB29_10 Depth=1
	v_lshlrev_b32_e32 v5, 2, v64
	v_readfirstlane_b32 s14, v126
	v_readfirstlane_b32 s15, v127
	v_cvt_pk_f16_f32 v9, v17, v18
	v_cvt_pk_f16_f32 v21, v23, v132
	;; [unrolled: 1-line block ×3, first 2 shown]
	v_max_f32_e32 v16, v6, v6
	v_cvt_pk_f16_f32 v10, v25, v26
	global_load_dword v5, v5, s[14:15]
	v_cvt_pk_f16_f32 v2, v2, v3
	v_cvt_pk_f16_f32 v11, v36, v103
	;; [unrolled: 1-line block ×4, first 2 shown]
	s_waitcnt vmcnt(0)
	v_max_f32_e32 v17, v5, v5
	v_max_f32_e32 v16, v16, v17
	v_sub_f32_e32 v6, v6, v16
	v_sub_f32_e32 v5, v5, v16
	v_mul_f32_e32 v17, 0x3fb8aa3b, v6
	v_mul_f32_e32 v20, 0x3fb8aa3b, v5
	v_fma_f32 v25, v6, s47, -v17
	v_rndne_f32_e32 v26, v17
	v_fma_f32 v27, v5, s47, -v20
	v_rndne_f32_e32 v28, v20
	v_fmac_f32_e32 v25, 0x32a5705f, v6
	v_sub_f32_e32 v17, v17, v26
	v_fmac_f32_e32 v27, 0x32a5705f, v5
	v_sub_f32_e32 v20, v20, v28
	v_add_f32_e32 v17, v17, v25
	v_cvt_i32_f32_e32 v26, v26
	v_add_f32_e32 v20, v20, v27
	v_exp_f32_e32 v17, v17
	v_cvt_i32_f32_e32 v28, v28
	v_exp_f32_e32 v20, v20
	v_cmp_ngt_f32_e32 vcc, s69, v6
	v_ldexp_f32 v3, v17, v26
	v_ldexp_f32 v17, v20, v28
	v_cndmask_b32_e32 v3, 0, v3, vcc
	v_cmp_ngt_f32_e32 vcc, s69, v5
	s_nop 1
	v_cndmask_b32_e32 v17, 0, v17, vcc
	v_cmp_nlt_f32_e32 vcc, s94, v6
	s_nop 1
	v_cndmask_b32_e32 v3, v228, v3, vcc
	v_cmp_le_f32_e32 vcc, s95, v6
	s_nop 1
	v_cndmask_b32_e32 v3, 0, v3, vcc
	v_cvt_f16_f32_e32 v6, v3
	v_cmp_nlt_f32_e32 vcc, s94, v5
	s_nop 1
	v_cndmask_b32_e32 v17, v228, v17, vcc
	v_fmac_f32_e32 v17, v7, v3
	v_mul_u32_u24_e32 v3, 0x10001, v6
	v_pk_mul_f16 v20, v9, v3
	v_pk_mul_f16 v14, v14, v3
	v_pk_mul_f16 v27, v10, v3
	v_pk_mul_f16 v19, v19, v3
	v_pk_mul_f16 v105, v11, v3
	v_pk_mul_f16 v24, v24, v3
	v_pk_mul_f16 v94, v18, v3
	v_pk_mul_f16 v29, v29, v3
	v_pk_mul_f16 v11, v21, v3
	v_pk_mul_f16 v22, v22, v3
	v_pk_mul_f16 v10, v23, v3
	v_pk_mul_f16 v15, v15, v3
	v_pk_mul_f16 v9, v13, v3
	v_pk_mul_f16 v12, v12, v3
	v_pk_mul_f16 v5, v2, v3
	v_pk_mul_f16 v4, v4, v3
	v_mov_b64_e32 v[6:7], v[16:17]
.LBB29_219:                             ;   in Loop: Header=BB29_10 Depth=1
	s_or_b64 exec, exec, s[10:11]
	s_and_saveexec_b64 s[10:11], s[6:7]
; %bb.220:                              ;   in Loop: Header=BB29_10 Depth=1
	v_add_u32_e32 v2, 0, v165
	ds_write2_b32 v2, v6, v7 offset0:64 offset1:65
; %bb.221:                              ;   in Loop: Header=BB29_10 Depth=1
	s_or_b64 exec, exec, s[10:11]
	s_waitcnt lgkmcnt(0)
	s_barrier
	s_and_saveexec_b64 s[10:11], s[12:13]
	s_xor_b64 s[10:11], exec, s[10:11]
	s_cbranch_execz .LBB29_223
; %bb.222:                              ;   in Loop: Header=BB29_10 Depth=1
	s_barrier
                                        ; implicit-def: $vgpr8
.LBB29_223:                             ;   in Loop: Header=BB29_10 Depth=1
	s_andn2_saveexec_b64 s[10:11], s[10:11]
	s_cbranch_execz .LBB29_227
; %bb.224:                              ;   in Loop: Header=BB29_10 Depth=1
	v_add_u32_e32 v6, 0, v166
	ds_read_b64 v[2:3], v6 offset:256
	s_waitcnt lgkmcnt(0)
	s_barrier
	ds_bpermute_b32 v7, v8, v2
	v_max_f32_e32 v13, v2, v2
	s_waitcnt lgkmcnt(0)
	v_max_f32_e32 v7, v7, v7
	v_max_f32_e32 v7, v13, v7
	v_sub_f32_e32 v2, v2, v7
	v_mul_f32_e32 v7, 0x3fb8aa3b, v2
	v_fma_f32 v13, v2, s47, -v7
	v_rndne_f32_e32 v16, v7
	v_fmac_f32_e32 v13, 0x32a5705f, v2
	v_sub_f32_e32 v7, v7, v16
	v_add_f32_e32 v7, v7, v13
	v_cvt_i32_f32_e32 v16, v16
	v_exp_f32_e32 v7, v7
	v_cmp_ngt_f32_e32 vcc, s69, v2
	v_ldexp_f32 v7, v7, v16
	s_nop 0
	v_cndmask_b32_e32 v7, 0, v7, vcc
	v_cmp_nlt_f32_e32 vcc, s94, v2
	s_nop 1
	v_cndmask_b32_e32 v2, v228, v7, vcc
	v_mul_f32_e32 v3, v3, v2
	ds_bpermute_b32 v7, v8, v3
	s_and_saveexec_b64 s[14:15], s[8:9]
	s_cbranch_execz .LBB29_226
; %bb.225:                              ;   in Loop: Header=BB29_10 Depth=1
	s_waitcnt lgkmcnt(0)
	v_add_f32_e32 v3, v3, v7
	ds_write_b64 v6, v[2:3] offset:256
.LBB29_226:                             ;   in Loop: Header=BB29_10 Depth=1
	s_or_b64 exec, exec, s[14:15]
.LBB29_227:                             ;   in Loop: Header=BB29_10 Depth=1
	s_or_b64 exec, exec, s[10:11]
	v_add_u32_e32 v2, v107, v167
	ds_write2_b32 v2, v20, v14 offset1:1
	ds_write2_b32 v2, v27, v19 offset0:8 offset1:9
	ds_write2_b32 v2, v105, v24 offset0:16 offset1:17
	;; [unrolled: 1-line block ×7, first 2 shown]
	s_waitcnt lgkmcnt(0)
	s_barrier
	s_and_saveexec_b64 s[76:77], s[0:1]
	s_cbranch_execz .LBB29_8
; %bb.228:                              ;   in Loop: Header=BB29_10 Depth=1
	v_add_u32_e32 v2, v214, v99
	v_or_b32_e32 v3, v106, v97
	v_cmp_gt_i32_e32 vcc, s36, v2
	v_cmp_gt_i32_e64 s[10:11], s3, v3
	s_and_b64 s[78:79], vcc, s[10:11]
	v_mov_b32_e32 v3, 0x47
	s_and_saveexec_b64 s[14:15], s[78:79]
	s_cbranch_execz .LBB29_230
; %bb.229:                              ;   in Loop: Header=BB29_10 Depth=1
	v_add_u32_e32 v3, v161, v171
	ds_read2st64_b32 v[4:5], v3 offset1:17
	v_add_u32_e32 v3, 0, v171
	ds_read2_b32 v[6:7], v3 offset0:64 offset1:65
	ds_read_b32 v8, v3 offset:4608
	v_mad_u64_u32 v[2:3], s[78:79], v2, s37, v[106:107]
	s_waitcnt lgkmcnt(2)
	v_cvt_f32_f16_e32 v10, v4
	v_cvt_f32_f16_sdwa v11, v4 dst_sel:DWORD dst_unused:UNUSED_PAD src0_sel:WORD_1
	v_cvt_f32_f16_e32 v4, v5
	v_cvt_f32_f16_sdwa v5, v5 dst_sel:DWORD dst_unused:UNUSED_PAD src0_sel:WORD_1
	v_lshl_add_u32 v2, v2, 6, v30
	s_waitcnt lgkmcnt(1)
	v_pk_fma_f32 v[10:11], v[6:7], v[10:11], 0 op_sel_hi:[0,1,0]
	v_ashrrev_i32_e32 v3, 31, v2
	s_waitcnt lgkmcnt(0)
	v_pk_fma_f32 v[4:5], v[8:9], v[4:5], v[10:11] op_sel_hi:[0,1,1]
	v_div_scale_f32 v6, s[78:79], v7, v7, v5
	v_rcp_f32_e32 v8, v6
	v_lshl_add_u64 v[2:3], v[2:3], 3, v[124:125]
	v_fma_f32 v9, -v6, v8, 1.0
	v_fmac_f32_e32 v8, v9, v8
	v_div_scale_f32 v9, vcc, v5, v7, v5
	v_mul_f32_e32 v10, v9, v8
	v_fma_f32 v11, -v6, v10, v9
	v_fmac_f32_e32 v10, v11, v8
	v_fma_f32 v6, -v6, v10, v9
	v_div_scale_f32 v9, s[78:79], v7, v7, v4
	v_rcp_f32_e32 v11, v9
	v_div_fmas_f32 v6, v6, v8, v10
	v_div_fixup_f32 v5, v6, v7, v5
	v_fma_f32 v6, -v9, v11, 1.0
	v_fmac_f32_e32 v11, v6, v11
	v_div_scale_f32 v6, vcc, v4, v7, v4
	v_mul_f32_e32 v8, v6, v11
	v_fma_f32 v10, -v9, v8, v6
	v_fmac_f32_e32 v8, v10, v11
	v_fma_f32 v6, -v9, v8, v6
	v_div_fmas_f32 v6, v6, v11, v8
	v_div_fixup_f32 v4, v6, v7, v4
	global_store_dwordx2 v[2:3], v[4:5], off
	v_mov_b32_e32 v3, 0
.LBB29_230:                             ;   in Loop: Header=BB29_10 Depth=1
	s_or_b64 exec, exec, s[14:15]
	v_cmp_gt_i32_e32 vcc, s97, v3
	s_mov_b64 s[14:15], -1
	s_and_saveexec_b64 s[78:79], vcc
; %bb.231:                              ;   in Loop: Header=BB29_10 Depth=1
	v_cmp_eq_u32_e32 vcc, 0, v3
	s_orn2_b64 s[14:15], vcc, exec
; %bb.232:                              ;   in Loop: Header=BB29_10 Depth=1
	s_or_b64 exec, exec, s[78:79]
	s_and_b64 exec, exec, s[14:15]
	s_cbranch_execz .LBB29_8
; %bb.233:                              ;   in Loop: Header=BB29_10 Depth=1
	v_add_u32_e32 v2, v215, v99
	v_or_b32_e32 v3, v72, v97
	v_cmp_gt_i32_e32 vcc, s36, v2
	v_cmp_gt_i32_e64 s[14:15], s3, v3
	s_and_b64 s[78:79], vcc, s[14:15]
	v_mov_b32_e32 v3, 0x47
	s_and_saveexec_b64 s[14:15], s[78:79]
	s_cbranch_execz .LBB29_235
; %bb.234:                              ;   in Loop: Header=BB29_10 Depth=1
	v_add_u32_e32 v3, v161, v172
	ds_read2st64_b32 v[4:5], v3 offset1:17
	v_add_u32_e32 v3, 0, v172
	ds_read2_b32 v[6:7], v3 offset0:64 offset1:65
	ds_read_b32 v8, v3 offset:4608
	v_mad_u64_u32 v[2:3], s[78:79], v2, s37, v[72:73]
	s_waitcnt lgkmcnt(2)
	v_cvt_f32_f16_e32 v10, v4
	v_cvt_f32_f16_sdwa v11, v4 dst_sel:DWORD dst_unused:UNUSED_PAD src0_sel:WORD_1
	v_cvt_f32_f16_e32 v4, v5
	v_cvt_f32_f16_sdwa v5, v5 dst_sel:DWORD dst_unused:UNUSED_PAD src0_sel:WORD_1
	v_lshl_add_u32 v2, v2, 6, v30
	s_waitcnt lgkmcnt(1)
	v_pk_fma_f32 v[10:11], v[6:7], v[10:11], 0 op_sel_hi:[0,1,0]
	v_ashrrev_i32_e32 v3, 31, v2
	s_waitcnt lgkmcnt(0)
	v_pk_fma_f32 v[4:5], v[8:9], v[4:5], v[10:11] op_sel_hi:[0,1,1]
	v_div_scale_f32 v6, s[78:79], v7, v7, v5
	v_rcp_f32_e32 v8, v6
	v_lshl_add_u64 v[2:3], v[2:3], 3, v[124:125]
	v_fma_f32 v9, -v6, v8, 1.0
	v_fmac_f32_e32 v8, v9, v8
	v_div_scale_f32 v9, vcc, v5, v7, v5
	v_mul_f32_e32 v10, v9, v8
	v_fma_f32 v11, -v6, v10, v9
	v_fmac_f32_e32 v10, v11, v8
	v_fma_f32 v6, -v6, v10, v9
	v_div_scale_f32 v9, s[78:79], v7, v7, v4
	v_rcp_f32_e32 v11, v9
	v_div_fmas_f32 v6, v6, v8, v10
	v_div_fixup_f32 v5, v6, v7, v5
	v_fma_f32 v6, -v9, v11, 1.0
	v_fmac_f32_e32 v11, v6, v11
	v_div_scale_f32 v6, vcc, v4, v7, v4
	v_mul_f32_e32 v8, v6, v11
	v_fma_f32 v10, -v9, v8, v6
	v_fmac_f32_e32 v8, v10, v11
	v_fma_f32 v6, -v9, v8, v6
	v_div_fmas_f32 v6, v6, v11, v8
	v_div_fixup_f32 v4, v6, v7, v4
	global_store_dwordx2 v[2:3], v[4:5], off
	v_mov_b32_e32 v3, 0
.LBB29_235:                             ;   in Loop: Header=BB29_10 Depth=1
	s_or_b64 exec, exec, s[14:15]
	v_cmp_gt_i32_e32 vcc, s97, v3
	s_mov_b64 s[14:15], -1
	s_and_saveexec_b64 s[78:79], vcc
; %bb.236:                              ;   in Loop: Header=BB29_10 Depth=1
	v_cmp_eq_u32_e32 vcc, 0, v3
	s_orn2_b64 s[14:15], vcc, exec
; %bb.237:                              ;   in Loop: Header=BB29_10 Depth=1
	s_or_b64 exec, exec, s[78:79]
	s_and_b64 exec, exec, s[14:15]
	s_cbranch_execz .LBB29_8
; %bb.238:                              ;   in Loop: Header=BB29_10 Depth=1
	v_add_u32_e32 v2, v216, v99
	v_or_b32_e32 v3, v74, v97
	v_cmp_gt_i32_e32 vcc, s36, v2
	v_cmp_gt_i32_e64 s[14:15], s3, v3
	s_and_b64 s[78:79], vcc, s[14:15]
	v_mov_b32_e32 v3, 0x47
	s_and_saveexec_b64 s[14:15], s[78:79]
	s_cbranch_execz .LBB29_240
; %bb.239:                              ;   in Loop: Header=BB29_10 Depth=1
	v_add_u32_e32 v3, v161, v173
	ds_read2st64_b32 v[4:5], v3 offset1:17
	v_add_u32_e32 v3, 0, v173
	ds_read2_b32 v[6:7], v3 offset0:64 offset1:65
	ds_read_b32 v8, v3 offset:4608
	v_mad_u64_u32 v[2:3], s[78:79], v2, s37, v[74:75]
	s_waitcnt lgkmcnt(2)
	v_cvt_f32_f16_e32 v10, v4
	v_cvt_f32_f16_sdwa v11, v4 dst_sel:DWORD dst_unused:UNUSED_PAD src0_sel:WORD_1
	v_cvt_f32_f16_e32 v4, v5
	v_cvt_f32_f16_sdwa v5, v5 dst_sel:DWORD dst_unused:UNUSED_PAD src0_sel:WORD_1
	v_lshl_add_u32 v2, v2, 6, v30
	s_waitcnt lgkmcnt(1)
	v_pk_fma_f32 v[10:11], v[6:7], v[10:11], 0 op_sel_hi:[0,1,0]
	v_ashrrev_i32_e32 v3, 31, v2
	s_waitcnt lgkmcnt(0)
	v_pk_fma_f32 v[4:5], v[8:9], v[4:5], v[10:11] op_sel_hi:[0,1,1]
	v_div_scale_f32 v6, s[78:79], v7, v7, v5
	v_rcp_f32_e32 v8, v6
	v_lshl_add_u64 v[2:3], v[2:3], 3, v[124:125]
	v_fma_f32 v9, -v6, v8, 1.0
	v_fmac_f32_e32 v8, v9, v8
	v_div_scale_f32 v9, vcc, v5, v7, v5
	v_mul_f32_e32 v10, v9, v8
	v_fma_f32 v11, -v6, v10, v9
	v_fmac_f32_e32 v10, v11, v8
	v_fma_f32 v6, -v6, v10, v9
	v_div_scale_f32 v9, s[78:79], v7, v7, v4
	v_rcp_f32_e32 v11, v9
	v_div_fmas_f32 v6, v6, v8, v10
	v_div_fixup_f32 v5, v6, v7, v5
	v_fma_f32 v6, -v9, v11, 1.0
	v_fmac_f32_e32 v11, v6, v11
	v_div_scale_f32 v6, vcc, v4, v7, v4
	v_mul_f32_e32 v8, v6, v11
	v_fma_f32 v10, -v9, v8, v6
	v_fmac_f32_e32 v8, v10, v11
	v_fma_f32 v6, -v9, v8, v6
	v_div_fmas_f32 v6, v6, v11, v8
	v_div_fixup_f32 v4, v6, v7, v4
	global_store_dwordx2 v[2:3], v[4:5], off
	v_mov_b32_e32 v3, 0
.LBB29_240:                             ;   in Loop: Header=BB29_10 Depth=1
	s_or_b64 exec, exec, s[14:15]
	v_cmp_gt_i32_e32 vcc, s97, v3
	s_mov_b64 s[14:15], -1
	s_and_saveexec_b64 s[78:79], vcc
; %bb.241:                              ;   in Loop: Header=BB29_10 Depth=1
	v_cmp_eq_u32_e32 vcc, 0, v3
	s_orn2_b64 s[14:15], vcc, exec
; %bb.242:                              ;   in Loop: Header=BB29_10 Depth=1
	s_or_b64 exec, exec, s[78:79]
	s_and_b64 exec, exec, s[14:15]
	s_cbranch_execz .LBB29_8
; %bb.243:                              ;   in Loop: Header=BB29_10 Depth=1
	v_add_u32_e32 v2, v217, v99
	v_or_b32_e32 v3, v76, v97
	v_cmp_gt_i32_e32 vcc, s36, v2
	v_cmp_gt_i32_e64 s[14:15], s3, v3
	s_and_b64 s[78:79], vcc, s[14:15]
	v_mov_b32_e32 v3, 0x47
	s_and_saveexec_b64 s[14:15], s[78:79]
	s_cbranch_execz .LBB29_245
; %bb.244:                              ;   in Loop: Header=BB29_10 Depth=1
	v_add_u32_e32 v3, v161, v174
	ds_read2st64_b32 v[4:5], v3 offset1:17
	v_add_u32_e32 v3, 0, v174
	ds_read2_b32 v[6:7], v3 offset0:64 offset1:65
	ds_read_b32 v8, v3 offset:4608
	v_mad_u64_u32 v[2:3], s[78:79], v2, s37, v[76:77]
	s_waitcnt lgkmcnt(2)
	v_cvt_f32_f16_e32 v10, v4
	v_cvt_f32_f16_sdwa v11, v4 dst_sel:DWORD dst_unused:UNUSED_PAD src0_sel:WORD_1
	v_cvt_f32_f16_e32 v4, v5
	v_cvt_f32_f16_sdwa v5, v5 dst_sel:DWORD dst_unused:UNUSED_PAD src0_sel:WORD_1
	v_lshl_add_u32 v2, v2, 6, v30
	s_waitcnt lgkmcnt(1)
	v_pk_fma_f32 v[10:11], v[6:7], v[10:11], 0 op_sel_hi:[0,1,0]
	v_ashrrev_i32_e32 v3, 31, v2
	s_waitcnt lgkmcnt(0)
	v_pk_fma_f32 v[4:5], v[8:9], v[4:5], v[10:11] op_sel_hi:[0,1,1]
	v_div_scale_f32 v6, s[78:79], v7, v7, v5
	v_rcp_f32_e32 v8, v6
	v_lshl_add_u64 v[2:3], v[2:3], 3, v[124:125]
	v_fma_f32 v9, -v6, v8, 1.0
	v_fmac_f32_e32 v8, v9, v8
	v_div_scale_f32 v9, vcc, v5, v7, v5
	v_mul_f32_e32 v10, v9, v8
	v_fma_f32 v11, -v6, v10, v9
	v_fmac_f32_e32 v10, v11, v8
	v_fma_f32 v6, -v6, v10, v9
	v_div_scale_f32 v9, s[78:79], v7, v7, v4
	v_rcp_f32_e32 v11, v9
	v_div_fmas_f32 v6, v6, v8, v10
	v_div_fixup_f32 v5, v6, v7, v5
	v_fma_f32 v6, -v9, v11, 1.0
	v_fmac_f32_e32 v11, v6, v11
	v_div_scale_f32 v6, vcc, v4, v7, v4
	v_mul_f32_e32 v8, v6, v11
	v_fma_f32 v10, -v9, v8, v6
	v_fmac_f32_e32 v8, v10, v11
	v_fma_f32 v6, -v9, v8, v6
	v_div_fmas_f32 v6, v6, v11, v8
	v_div_fixup_f32 v4, v6, v7, v4
	global_store_dwordx2 v[2:3], v[4:5], off
	v_mov_b32_e32 v3, 0
.LBB29_245:                             ;   in Loop: Header=BB29_10 Depth=1
	s_or_b64 exec, exec, s[14:15]
	v_cmp_gt_i32_e32 vcc, s97, v3
	s_mov_b64 s[14:15], -1
	s_and_saveexec_b64 s[78:79], vcc
; %bb.246:                              ;   in Loop: Header=BB29_10 Depth=1
	v_cmp_eq_u32_e32 vcc, 0, v3
	s_orn2_b64 s[14:15], vcc, exec
; %bb.247:                              ;   in Loop: Header=BB29_10 Depth=1
	s_or_b64 exec, exec, s[78:79]
	s_and_b64 exec, exec, s[14:15]
	s_cbranch_execz .LBB29_8
; %bb.248:                              ;   in Loop: Header=BB29_10 Depth=1
	v_add_u32_e32 v2, v175, v99
	v_cmp_gt_i32_e32 vcc, s36, v2
	s_and_b64 s[78:79], vcc, s[10:11]
	v_mov_b32_e32 v3, 0x47
	s_and_saveexec_b64 s[14:15], s[78:79]
	s_cbranch_execz .LBB29_250
; %bb.249:                              ;   in Loop: Header=BB29_10 Depth=1
	v_add_u32_e32 v3, v161, v176
	ds_read2st64_b32 v[4:5], v3 offset1:17
	v_add_u32_e32 v3, 0, v176
	ds_read2_b32 v[6:7], v3 offset0:64 offset1:65
	ds_read_b32 v8, v3 offset:4608
	v_mad_u64_u32 v[2:3], s[78:79], v2, s37, v[106:107]
	s_waitcnt lgkmcnt(2)
	v_cvt_f32_f16_e32 v10, v4
	v_cvt_f32_f16_sdwa v11, v4 dst_sel:DWORD dst_unused:UNUSED_PAD src0_sel:WORD_1
	v_cvt_f32_f16_e32 v4, v5
	v_cvt_f32_f16_sdwa v5, v5 dst_sel:DWORD dst_unused:UNUSED_PAD src0_sel:WORD_1
	v_lshl_add_u32 v2, v2, 6, v30
	s_waitcnt lgkmcnt(1)
	v_pk_fma_f32 v[10:11], v[6:7], v[10:11], 0 op_sel_hi:[0,1,0]
	v_ashrrev_i32_e32 v3, 31, v2
	s_waitcnt lgkmcnt(0)
	v_pk_fma_f32 v[4:5], v[8:9], v[4:5], v[10:11] op_sel_hi:[0,1,1]
	v_div_scale_f32 v6, s[78:79], v7, v7, v5
	v_rcp_f32_e32 v8, v6
	v_lshl_add_u64 v[2:3], v[2:3], 3, v[124:125]
	v_fma_f32 v9, -v6, v8, 1.0
	v_fmac_f32_e32 v8, v9, v8
	v_div_scale_f32 v9, vcc, v5, v7, v5
	v_mul_f32_e32 v10, v9, v8
	v_fma_f32 v11, -v6, v10, v9
	v_fmac_f32_e32 v10, v11, v8
	v_fma_f32 v6, -v6, v10, v9
	v_div_scale_f32 v9, s[78:79], v7, v7, v4
	v_rcp_f32_e32 v11, v9
	v_div_fmas_f32 v6, v6, v8, v10
	v_div_fixup_f32 v5, v6, v7, v5
	v_fma_f32 v6, -v9, v11, 1.0
	v_fmac_f32_e32 v11, v6, v11
	v_div_scale_f32 v6, vcc, v4, v7, v4
	v_mul_f32_e32 v8, v6, v11
	v_fma_f32 v10, -v9, v8, v6
	v_fmac_f32_e32 v8, v10, v11
	v_fma_f32 v6, -v9, v8, v6
	v_div_fmas_f32 v6, v6, v11, v8
	v_div_fixup_f32 v4, v6, v7, v4
	global_store_dwordx2 v[2:3], v[4:5], off
	v_mov_b32_e32 v3, 0
.LBB29_250:                             ;   in Loop: Header=BB29_10 Depth=1
	s_or_b64 exec, exec, s[14:15]
	v_cmp_gt_i32_e32 vcc, s97, v3
	s_mov_b64 s[14:15], -1
	s_and_saveexec_b64 s[78:79], vcc
; %bb.251:                              ;   in Loop: Header=BB29_10 Depth=1
	v_cmp_eq_u32_e32 vcc, 0, v3
	s_orn2_b64 s[14:15], vcc, exec
; %bb.252:                              ;   in Loop: Header=BB29_10 Depth=1
	s_or_b64 exec, exec, s[78:79]
	s_and_b64 exec, exec, s[14:15]
	s_cbranch_execz .LBB29_8
; %bb.253:                              ;   in Loop: Header=BB29_10 Depth=1
	v_add_u32_e32 v2, v218, v99
	v_or_b32_e32 v3, v78, v97
	v_cmp_gt_i32_e32 vcc, s36, v2
	v_cmp_gt_i32_e64 s[14:15], s3, v3
	s_and_b64 s[78:79], vcc, s[14:15]
	v_mov_b32_e32 v3, 0x47
	s_and_saveexec_b64 s[14:15], s[78:79]
	s_cbranch_execz .LBB29_255
; %bb.254:                              ;   in Loop: Header=BB29_10 Depth=1
	v_add_u32_e32 v3, v161, v177
	ds_read2st64_b32 v[4:5], v3 offset1:17
	v_add_u32_e32 v3, 0, v177
	ds_read2_b32 v[6:7], v3 offset0:64 offset1:65
	ds_read_b32 v8, v3 offset:4608
	v_mad_u64_u32 v[2:3], s[78:79], v2, s37, v[78:79]
	s_waitcnt lgkmcnt(2)
	v_cvt_f32_f16_e32 v10, v4
	v_cvt_f32_f16_sdwa v11, v4 dst_sel:DWORD dst_unused:UNUSED_PAD src0_sel:WORD_1
	v_cvt_f32_f16_e32 v4, v5
	v_cvt_f32_f16_sdwa v5, v5 dst_sel:DWORD dst_unused:UNUSED_PAD src0_sel:WORD_1
	v_lshl_add_u32 v2, v2, 6, v30
	s_waitcnt lgkmcnt(1)
	v_pk_fma_f32 v[10:11], v[6:7], v[10:11], 0 op_sel_hi:[0,1,0]
	v_ashrrev_i32_e32 v3, 31, v2
	s_waitcnt lgkmcnt(0)
	v_pk_fma_f32 v[4:5], v[8:9], v[4:5], v[10:11] op_sel_hi:[0,1,1]
	v_div_scale_f32 v6, s[78:79], v7, v7, v5
	v_rcp_f32_e32 v8, v6
	v_lshl_add_u64 v[2:3], v[2:3], 3, v[124:125]
	v_fma_f32 v9, -v6, v8, 1.0
	v_fmac_f32_e32 v8, v9, v8
	v_div_scale_f32 v9, vcc, v5, v7, v5
	v_mul_f32_e32 v10, v9, v8
	v_fma_f32 v11, -v6, v10, v9
	v_fmac_f32_e32 v10, v11, v8
	v_fma_f32 v6, -v6, v10, v9
	v_div_scale_f32 v9, s[78:79], v7, v7, v4
	v_rcp_f32_e32 v11, v9
	v_div_fmas_f32 v6, v6, v8, v10
	v_div_fixup_f32 v5, v6, v7, v5
	v_fma_f32 v6, -v9, v11, 1.0
	v_fmac_f32_e32 v11, v6, v11
	v_div_scale_f32 v6, vcc, v4, v7, v4
	v_mul_f32_e32 v8, v6, v11
	v_fma_f32 v10, -v9, v8, v6
	v_fmac_f32_e32 v8, v10, v11
	v_fma_f32 v6, -v9, v8, v6
	v_div_fmas_f32 v6, v6, v11, v8
	v_div_fixup_f32 v4, v6, v7, v4
	global_store_dwordx2 v[2:3], v[4:5], off
	v_mov_b32_e32 v3, 0
.LBB29_255:                             ;   in Loop: Header=BB29_10 Depth=1
	s_or_b64 exec, exec, s[14:15]
	v_cmp_gt_i32_e32 vcc, s97, v3
	s_mov_b64 s[14:15], -1
	s_and_saveexec_b64 s[78:79], vcc
; %bb.256:                              ;   in Loop: Header=BB29_10 Depth=1
	v_cmp_eq_u32_e32 vcc, 0, v3
	s_orn2_b64 s[14:15], vcc, exec
; %bb.257:                              ;   in Loop: Header=BB29_10 Depth=1
	s_or_b64 exec, exec, s[78:79]
	s_and_b64 exec, exec, s[14:15]
	s_cbranch_execz .LBB29_8
; %bb.258:                              ;   in Loop: Header=BB29_10 Depth=1
	v_add_u32_e32 v2, v219, v99
	v_or_b32_e32 v3, v80, v97
	v_cmp_gt_i32_e32 vcc, s36, v2
	v_cmp_gt_i32_e64 s[14:15], s3, v3
	;; [unrolled: 64-line block ×3, first 2 shown]
	s_and_b64 s[78:79], vcc, s[14:15]
	v_mov_b32_e32 v3, 0x47
	s_and_saveexec_b64 s[14:15], s[78:79]
	s_cbranch_execz .LBB29_265
; %bb.264:                              ;   in Loop: Header=BB29_10 Depth=1
	v_add_u32_e32 v3, v161, v179
	ds_read2st64_b32 v[4:5], v3 offset1:17
	v_add_u32_e32 v3, 0, v179
	ds_read2_b32 v[6:7], v3 offset0:64 offset1:65
	ds_read_b32 v8, v3 offset:4608
	v_mad_u64_u32 v[2:3], s[78:79], v2, s37, v[82:83]
	s_waitcnt lgkmcnt(2)
	v_cvt_f32_f16_e32 v10, v4
	v_cvt_f32_f16_sdwa v11, v4 dst_sel:DWORD dst_unused:UNUSED_PAD src0_sel:WORD_1
	v_cvt_f32_f16_e32 v4, v5
	v_cvt_f32_f16_sdwa v5, v5 dst_sel:DWORD dst_unused:UNUSED_PAD src0_sel:WORD_1
	v_lshl_add_u32 v2, v2, 6, v30
	s_waitcnt lgkmcnt(1)
	v_pk_fma_f32 v[10:11], v[6:7], v[10:11], 0 op_sel_hi:[0,1,0]
	v_ashrrev_i32_e32 v3, 31, v2
	s_waitcnt lgkmcnt(0)
	v_pk_fma_f32 v[4:5], v[8:9], v[4:5], v[10:11] op_sel_hi:[0,1,1]
	v_div_scale_f32 v6, s[78:79], v7, v7, v5
	v_rcp_f32_e32 v8, v6
	v_lshl_add_u64 v[2:3], v[2:3], 3, v[124:125]
	v_fma_f32 v9, -v6, v8, 1.0
	v_fmac_f32_e32 v8, v9, v8
	v_div_scale_f32 v9, vcc, v5, v7, v5
	v_mul_f32_e32 v10, v9, v8
	v_fma_f32 v11, -v6, v10, v9
	v_fmac_f32_e32 v10, v11, v8
	v_fma_f32 v6, -v6, v10, v9
	v_div_scale_f32 v9, s[78:79], v7, v7, v4
	v_rcp_f32_e32 v11, v9
	v_div_fmas_f32 v6, v6, v8, v10
	v_div_fixup_f32 v5, v6, v7, v5
	v_fma_f32 v6, -v9, v11, 1.0
	v_fmac_f32_e32 v11, v6, v11
	v_div_scale_f32 v6, vcc, v4, v7, v4
	v_mul_f32_e32 v8, v6, v11
	v_fma_f32 v10, -v9, v8, v6
	v_fmac_f32_e32 v8, v10, v11
	v_fma_f32 v6, -v9, v8, v6
	v_div_fmas_f32 v6, v6, v11, v8
	v_div_fixup_f32 v4, v6, v7, v4
	global_store_dwordx2 v[2:3], v[4:5], off
	v_mov_b32_e32 v3, 0
.LBB29_265:                             ;   in Loop: Header=BB29_10 Depth=1
	s_or_b64 exec, exec, s[14:15]
	v_cmp_gt_i32_e32 vcc, s97, v3
	s_mov_b64 s[14:15], -1
	s_and_saveexec_b64 s[78:79], vcc
; %bb.266:                              ;   in Loop: Header=BB29_10 Depth=1
	v_cmp_eq_u32_e32 vcc, 0, v3
	s_orn2_b64 s[14:15], vcc, exec
; %bb.267:                              ;   in Loop: Header=BB29_10 Depth=1
	s_or_b64 exec, exec, s[78:79]
	s_and_b64 exec, exec, s[14:15]
	s_cbranch_execz .LBB29_8
; %bb.268:                              ;   in Loop: Header=BB29_10 Depth=1
	v_add_u32_e32 v2, v180, v99
	v_cmp_gt_i32_e32 vcc, s36, v2
	s_and_b64 s[78:79], vcc, s[10:11]
	v_mov_b32_e32 v3, 0x47
	s_and_saveexec_b64 s[14:15], s[78:79]
	s_cbranch_execz .LBB29_270
; %bb.269:                              ;   in Loop: Header=BB29_10 Depth=1
	v_add_u32_e32 v3, v161, v181
	ds_read2st64_b32 v[4:5], v3 offset1:17
	v_add_u32_e32 v3, 0, v181
	ds_read2_b32 v[6:7], v3 offset0:64 offset1:65
	ds_read_b32 v8, v3 offset:4608
	v_mad_u64_u32 v[2:3], s[78:79], v2, s37, v[106:107]
	s_waitcnt lgkmcnt(2)
	v_cvt_f32_f16_e32 v10, v4
	v_cvt_f32_f16_sdwa v11, v4 dst_sel:DWORD dst_unused:UNUSED_PAD src0_sel:WORD_1
	v_cvt_f32_f16_e32 v4, v5
	v_cvt_f32_f16_sdwa v5, v5 dst_sel:DWORD dst_unused:UNUSED_PAD src0_sel:WORD_1
	v_lshl_add_u32 v2, v2, 6, v30
	s_waitcnt lgkmcnt(1)
	v_pk_fma_f32 v[10:11], v[6:7], v[10:11], 0 op_sel_hi:[0,1,0]
	v_ashrrev_i32_e32 v3, 31, v2
	s_waitcnt lgkmcnt(0)
	v_pk_fma_f32 v[4:5], v[8:9], v[4:5], v[10:11] op_sel_hi:[0,1,1]
	v_div_scale_f32 v6, s[78:79], v7, v7, v5
	v_rcp_f32_e32 v8, v6
	v_lshl_add_u64 v[2:3], v[2:3], 3, v[124:125]
	v_fma_f32 v9, -v6, v8, 1.0
	v_fmac_f32_e32 v8, v9, v8
	v_div_scale_f32 v9, vcc, v5, v7, v5
	v_mul_f32_e32 v10, v9, v8
	v_fma_f32 v11, -v6, v10, v9
	v_fmac_f32_e32 v10, v11, v8
	v_fma_f32 v6, -v6, v10, v9
	v_div_scale_f32 v9, s[78:79], v7, v7, v4
	v_rcp_f32_e32 v11, v9
	v_div_fmas_f32 v6, v6, v8, v10
	v_div_fixup_f32 v5, v6, v7, v5
	v_fma_f32 v6, -v9, v11, 1.0
	v_fmac_f32_e32 v11, v6, v11
	v_div_scale_f32 v6, vcc, v4, v7, v4
	v_mul_f32_e32 v8, v6, v11
	v_fma_f32 v10, -v9, v8, v6
	v_fmac_f32_e32 v8, v10, v11
	v_fma_f32 v6, -v9, v8, v6
	v_div_fmas_f32 v6, v6, v11, v8
	v_div_fixup_f32 v4, v6, v7, v4
	global_store_dwordx2 v[2:3], v[4:5], off
	v_mov_b32_e32 v3, 0
.LBB29_270:                             ;   in Loop: Header=BB29_10 Depth=1
	s_or_b64 exec, exec, s[14:15]
	v_cmp_gt_i32_e32 vcc, s97, v3
	s_mov_b64 s[14:15], -1
	s_and_saveexec_b64 s[78:79], vcc
; %bb.271:                              ;   in Loop: Header=BB29_10 Depth=1
	v_cmp_eq_u32_e32 vcc, 0, v3
	s_orn2_b64 s[14:15], vcc, exec
; %bb.272:                              ;   in Loop: Header=BB29_10 Depth=1
	s_or_b64 exec, exec, s[78:79]
	s_and_b64 exec, exec, s[14:15]
	s_cbranch_execz .LBB29_8
; %bb.273:                              ;   in Loop: Header=BB29_10 Depth=1
	v_add_u32_e32 v2, v221, v99
	v_or_b32_e32 v3, v84, v97
	v_cmp_gt_i32_e32 vcc, s36, v2
	v_cmp_gt_i32_e64 s[14:15], s3, v3
	s_and_b64 s[78:79], vcc, s[14:15]
	v_mov_b32_e32 v3, 0x47
	s_and_saveexec_b64 s[14:15], s[78:79]
	s_cbranch_execz .LBB29_275
; %bb.274:                              ;   in Loop: Header=BB29_10 Depth=1
	v_add_u32_e32 v3, v161, v182
	ds_read2st64_b32 v[4:5], v3 offset1:17
	v_add_u32_e32 v3, 0, v182
	ds_read2_b32 v[6:7], v3 offset0:64 offset1:65
	ds_read_b32 v8, v3 offset:4608
	v_mad_u64_u32 v[2:3], s[78:79], v2, s37, v[84:85]
	s_waitcnt lgkmcnt(2)
	v_cvt_f32_f16_e32 v10, v4
	v_cvt_f32_f16_sdwa v11, v4 dst_sel:DWORD dst_unused:UNUSED_PAD src0_sel:WORD_1
	v_cvt_f32_f16_e32 v4, v5
	v_cvt_f32_f16_sdwa v5, v5 dst_sel:DWORD dst_unused:UNUSED_PAD src0_sel:WORD_1
	v_lshl_add_u32 v2, v2, 6, v30
	s_waitcnt lgkmcnt(1)
	v_pk_fma_f32 v[10:11], v[6:7], v[10:11], 0 op_sel_hi:[0,1,0]
	v_ashrrev_i32_e32 v3, 31, v2
	s_waitcnt lgkmcnt(0)
	v_pk_fma_f32 v[4:5], v[8:9], v[4:5], v[10:11] op_sel_hi:[0,1,1]
	v_div_scale_f32 v6, s[78:79], v7, v7, v5
	v_rcp_f32_e32 v8, v6
	v_lshl_add_u64 v[2:3], v[2:3], 3, v[124:125]
	v_fma_f32 v9, -v6, v8, 1.0
	v_fmac_f32_e32 v8, v9, v8
	v_div_scale_f32 v9, vcc, v5, v7, v5
	v_mul_f32_e32 v10, v9, v8
	v_fma_f32 v11, -v6, v10, v9
	v_fmac_f32_e32 v10, v11, v8
	v_fma_f32 v6, -v6, v10, v9
	v_div_scale_f32 v9, s[78:79], v7, v7, v4
	v_rcp_f32_e32 v11, v9
	v_div_fmas_f32 v6, v6, v8, v10
	v_div_fixup_f32 v5, v6, v7, v5
	v_fma_f32 v6, -v9, v11, 1.0
	v_fmac_f32_e32 v11, v6, v11
	v_div_scale_f32 v6, vcc, v4, v7, v4
	v_mul_f32_e32 v8, v6, v11
	v_fma_f32 v10, -v9, v8, v6
	v_fmac_f32_e32 v8, v10, v11
	v_fma_f32 v6, -v9, v8, v6
	v_div_fmas_f32 v6, v6, v11, v8
	v_div_fixup_f32 v4, v6, v7, v4
	global_store_dwordx2 v[2:3], v[4:5], off
	v_mov_b32_e32 v3, 0
.LBB29_275:                             ;   in Loop: Header=BB29_10 Depth=1
	s_or_b64 exec, exec, s[14:15]
	v_cmp_gt_i32_e32 vcc, s97, v3
	s_mov_b64 s[14:15], -1
	s_and_saveexec_b64 s[78:79], vcc
; %bb.276:                              ;   in Loop: Header=BB29_10 Depth=1
	v_cmp_eq_u32_e32 vcc, 0, v3
	s_orn2_b64 s[14:15], vcc, exec
; %bb.277:                              ;   in Loop: Header=BB29_10 Depth=1
	s_or_b64 exec, exec, s[78:79]
	s_and_b64 exec, exec, s[14:15]
	s_cbranch_execz .LBB29_8
; %bb.278:                              ;   in Loop: Header=BB29_10 Depth=1
	v_add_u32_e32 v2, v222, v99
	v_or_b32_e32 v3, v86, v97
	v_cmp_gt_i32_e32 vcc, s36, v2
	v_cmp_gt_i32_e64 s[14:15], s3, v3
	;; [unrolled: 64-line block ×3, first 2 shown]
	s_and_b64 s[78:79], vcc, s[14:15]
	v_mov_b32_e32 v3, 0x47
	s_and_saveexec_b64 s[14:15], s[78:79]
	s_cbranch_execz .LBB29_285
; %bb.284:                              ;   in Loop: Header=BB29_10 Depth=1
	v_add_u32_e32 v3, v161, v184
	ds_read2st64_b32 v[4:5], v3 offset1:17
	v_add_u32_e32 v3, 0, v184
	ds_read2_b32 v[6:7], v3 offset0:64 offset1:65
	ds_read_b32 v8, v3 offset:4608
	v_mad_u64_u32 v[2:3], s[78:79], v2, s37, v[88:89]
	s_waitcnt lgkmcnt(2)
	v_cvt_f32_f16_e32 v10, v4
	v_cvt_f32_f16_sdwa v11, v4 dst_sel:DWORD dst_unused:UNUSED_PAD src0_sel:WORD_1
	v_cvt_f32_f16_e32 v4, v5
	v_cvt_f32_f16_sdwa v5, v5 dst_sel:DWORD dst_unused:UNUSED_PAD src0_sel:WORD_1
	v_lshl_add_u32 v2, v2, 6, v30
	s_waitcnt lgkmcnt(1)
	v_pk_fma_f32 v[10:11], v[6:7], v[10:11], 0 op_sel_hi:[0,1,0]
	v_ashrrev_i32_e32 v3, 31, v2
	s_waitcnt lgkmcnt(0)
	v_pk_fma_f32 v[4:5], v[8:9], v[4:5], v[10:11] op_sel_hi:[0,1,1]
	v_div_scale_f32 v6, s[78:79], v7, v7, v5
	v_rcp_f32_e32 v8, v6
	v_lshl_add_u64 v[2:3], v[2:3], 3, v[124:125]
	v_fma_f32 v9, -v6, v8, 1.0
	v_fmac_f32_e32 v8, v9, v8
	v_div_scale_f32 v9, vcc, v5, v7, v5
	v_mul_f32_e32 v10, v9, v8
	v_fma_f32 v11, -v6, v10, v9
	v_fmac_f32_e32 v10, v11, v8
	v_fma_f32 v6, -v6, v10, v9
	v_div_scale_f32 v9, s[78:79], v7, v7, v4
	v_rcp_f32_e32 v11, v9
	v_div_fmas_f32 v6, v6, v8, v10
	v_div_fixup_f32 v5, v6, v7, v5
	v_fma_f32 v6, -v9, v11, 1.0
	v_fmac_f32_e32 v11, v6, v11
	v_div_scale_f32 v6, vcc, v4, v7, v4
	v_mul_f32_e32 v8, v6, v11
	v_fma_f32 v10, -v9, v8, v6
	v_fmac_f32_e32 v8, v10, v11
	v_fma_f32 v6, -v9, v8, v6
	v_div_fmas_f32 v6, v6, v11, v8
	v_div_fixup_f32 v4, v6, v7, v4
	global_store_dwordx2 v[2:3], v[4:5], off
	v_mov_b32_e32 v3, 0
.LBB29_285:                             ;   in Loop: Header=BB29_10 Depth=1
	s_or_b64 exec, exec, s[14:15]
	v_cmp_gt_i32_e32 vcc, s97, v3
	s_mov_b64 s[14:15], -1
	s_and_saveexec_b64 s[78:79], vcc
; %bb.286:                              ;   in Loop: Header=BB29_10 Depth=1
	v_cmp_eq_u32_e32 vcc, 0, v3
	s_orn2_b64 s[14:15], vcc, exec
; %bb.287:                              ;   in Loop: Header=BB29_10 Depth=1
	s_or_b64 exec, exec, s[78:79]
	s_and_b64 exec, exec, s[14:15]
	s_cbranch_execz .LBB29_8
; %bb.288:                              ;   in Loop: Header=BB29_10 Depth=1
	v_accvgpr_read_b32 v2, a8
	v_add_u32_e32 v2, v2, v99
	v_cmp_gt_i32_e32 vcc, s36, v2
	s_and_b64 s[14:15], vcc, s[10:11]
	v_mov_b32_e32 v3, 0x47
	s_and_saveexec_b64 s[10:11], s[14:15]
	s_cbranch_execz .LBB29_290
; %bb.289:                              ;   in Loop: Header=BB29_10 Depth=1
	v_accvgpr_read_b32 v6, a9
	v_add_u32_e32 v3, v161, v6
	ds_read2st64_b32 v[4:5], v3 offset1:17
	v_add_u32_e32 v3, 0, v6
	ds_read2_b32 v[6:7], v3 offset0:64 offset1:65
	ds_read_b32 v8, v3 offset:4608
	v_mad_u64_u32 v[2:3], s[14:15], v2, s37, v[106:107]
	s_waitcnt lgkmcnt(2)
	v_cvt_f32_f16_e32 v10, v4
	v_cvt_f32_f16_sdwa v11, v4 dst_sel:DWORD dst_unused:UNUSED_PAD src0_sel:WORD_1
	v_cvt_f32_f16_e32 v4, v5
	v_cvt_f32_f16_sdwa v5, v5 dst_sel:DWORD dst_unused:UNUSED_PAD src0_sel:WORD_1
	v_lshl_add_u32 v2, v2, 6, v30
	s_waitcnt lgkmcnt(1)
	v_pk_fma_f32 v[10:11], v[6:7], v[10:11], 0 op_sel_hi:[0,1,0]
	v_ashrrev_i32_e32 v3, 31, v2
	s_waitcnt lgkmcnt(0)
	v_pk_fma_f32 v[4:5], v[8:9], v[4:5], v[10:11] op_sel_hi:[0,1,1]
	v_div_scale_f32 v6, s[14:15], v7, v7, v5
	v_rcp_f32_e32 v8, v6
	v_lshl_add_u64 v[2:3], v[2:3], 3, v[124:125]
	v_fma_f32 v9, -v6, v8, 1.0
	v_fmac_f32_e32 v8, v9, v8
	v_div_scale_f32 v9, vcc, v5, v7, v5
	v_mul_f32_e32 v10, v9, v8
	v_fma_f32 v11, -v6, v10, v9
	v_fmac_f32_e32 v10, v11, v8
	v_fma_f32 v6, -v6, v10, v9
	v_div_scale_f32 v9, s[14:15], v7, v7, v4
	v_rcp_f32_e32 v11, v9
	v_div_fmas_f32 v6, v6, v8, v10
	v_div_fixup_f32 v5, v6, v7, v5
	v_fma_f32 v6, -v9, v11, 1.0
	v_fmac_f32_e32 v11, v6, v11
	v_div_scale_f32 v6, vcc, v4, v7, v4
	v_mul_f32_e32 v8, v6, v11
	v_fma_f32 v10, -v9, v8, v6
	v_fmac_f32_e32 v8, v10, v11
	v_fma_f32 v6, -v9, v8, v6
	v_div_fmas_f32 v6, v6, v11, v8
	v_div_fixup_f32 v4, v6, v7, v4
	global_store_dwordx2 v[2:3], v[4:5], off
	v_mov_b32_e32 v3, 0
.LBB29_290:                             ;   in Loop: Header=BB29_10 Depth=1
	s_or_b64 exec, exec, s[10:11]
	v_cmp_gt_i32_e32 vcc, s97, v3
	s_mov_b64 s[10:11], -1
	s_and_saveexec_b64 s[14:15], vcc
; %bb.291:                              ;   in Loop: Header=BB29_10 Depth=1
	v_cmp_eq_u32_e32 vcc, 0, v3
	s_orn2_b64 s[10:11], vcc, exec
; %bb.292:                              ;   in Loop: Header=BB29_10 Depth=1
	s_or_b64 exec, exec, s[14:15]
	s_and_b64 exec, exec, s[10:11]
	s_cbranch_execz .LBB29_8
; %bb.293:                              ;   in Loop: Header=BB29_10 Depth=1
	v_accvgpr_read_b32 v2, a13
	v_add_u32_e32 v2, v2, v99
	v_or_b32_e32 v3, v90, v97
	v_cmp_gt_i32_e32 vcc, s36, v2
	v_cmp_gt_i32_e64 s[10:11], s3, v3
	s_and_b64 s[14:15], vcc, s[10:11]
	v_mov_b32_e32 v3, 0x47
	s_and_saveexec_b64 s[10:11], s[14:15]
	s_cbranch_execz .LBB29_295
; %bb.294:                              ;   in Loop: Header=BB29_10 Depth=1
	v_accvgpr_read_b32 v6, a10
	v_add_u32_e32 v3, v161, v6
	ds_read2st64_b32 v[4:5], v3 offset1:17
	v_add_u32_e32 v3, 0, v6
	ds_read2_b32 v[6:7], v3 offset0:64 offset1:65
	ds_read_b32 v8, v3 offset:4608
	v_mad_u64_u32 v[2:3], s[14:15], v2, s37, v[90:91]
	s_waitcnt lgkmcnt(2)
	v_cvt_f32_f16_e32 v10, v4
	v_cvt_f32_f16_sdwa v11, v4 dst_sel:DWORD dst_unused:UNUSED_PAD src0_sel:WORD_1
	v_cvt_f32_f16_e32 v4, v5
	v_cvt_f32_f16_sdwa v5, v5 dst_sel:DWORD dst_unused:UNUSED_PAD src0_sel:WORD_1
	v_lshl_add_u32 v2, v2, 6, v30
	s_waitcnt lgkmcnt(1)
	v_pk_fma_f32 v[10:11], v[6:7], v[10:11], 0 op_sel_hi:[0,1,0]
	v_ashrrev_i32_e32 v3, 31, v2
	s_waitcnt lgkmcnt(0)
	v_pk_fma_f32 v[4:5], v[8:9], v[4:5], v[10:11] op_sel_hi:[0,1,1]
	v_div_scale_f32 v6, s[14:15], v7, v7, v5
	v_rcp_f32_e32 v8, v6
	v_lshl_add_u64 v[2:3], v[2:3], 3, v[124:125]
	v_fma_f32 v9, -v6, v8, 1.0
	v_fmac_f32_e32 v8, v9, v8
	v_div_scale_f32 v9, vcc, v5, v7, v5
	v_mul_f32_e32 v10, v9, v8
	v_fma_f32 v11, -v6, v10, v9
	v_fmac_f32_e32 v10, v11, v8
	v_fma_f32 v6, -v6, v10, v9
	v_div_scale_f32 v9, s[14:15], v7, v7, v4
	v_rcp_f32_e32 v11, v9
	v_div_fmas_f32 v6, v6, v8, v10
	v_div_fixup_f32 v5, v6, v7, v5
	v_fma_f32 v6, -v9, v11, 1.0
	v_fmac_f32_e32 v11, v6, v11
	v_div_scale_f32 v6, vcc, v4, v7, v4
	v_mul_f32_e32 v8, v6, v11
	v_fma_f32 v10, -v9, v8, v6
	v_fmac_f32_e32 v8, v10, v11
	v_fma_f32 v6, -v9, v8, v6
	v_div_fmas_f32 v6, v6, v11, v8
	v_div_fixup_f32 v4, v6, v7, v4
	global_store_dwordx2 v[2:3], v[4:5], off
	v_mov_b32_e32 v3, 0
.LBB29_295:                             ;   in Loop: Header=BB29_10 Depth=1
	s_or_b64 exec, exec, s[10:11]
	v_cmp_gt_i32_e32 vcc, s97, v3
	s_mov_b64 s[10:11], -1
	s_and_saveexec_b64 s[14:15], vcc
; %bb.296:                              ;   in Loop: Header=BB29_10 Depth=1
	v_cmp_eq_u32_e32 vcc, 0, v3
	s_orn2_b64 s[10:11], vcc, exec
; %bb.297:                              ;   in Loop: Header=BB29_10 Depth=1
	s_or_b64 exec, exec, s[14:15]
	s_and_b64 exec, exec, s[10:11]
	s_cbranch_execz .LBB29_8
; %bb.298:                              ;   in Loop: Header=BB29_10 Depth=1
	v_accvgpr_read_b32 v2, a14
	v_accvgpr_read_b32 v4, a16
	v_add_u32_e32 v2, v2, v99
	v_or_b32_e32 v3, v4, v97
	v_cmp_gt_i32_e32 vcc, s36, v2
	v_cmp_gt_i32_e64 s[10:11], s3, v3
	s_and_b64 s[14:15], vcc, s[10:11]
	v_mov_b32_e32 v3, 0x47
	s_and_saveexec_b64 s[10:11], s[14:15]
	s_cbranch_execz .LBB29_300
; %bb.299:                              ;   in Loop: Header=BB29_10 Depth=1
	v_accvgpr_read_b32 v6, a11
	v_add_u32_e32 v3, v161, v6
	ds_read2st64_b32 v[4:5], v3 offset1:17
	v_add_u32_e32 v3, 0, v6
	ds_read2_b32 v[6:7], v3 offset0:64 offset1:65
	ds_read_b32 v8, v3 offset:4608
	v_accvgpr_read_b32 v12, a16
	v_mad_u64_u32 v[2:3], s[14:15], v2, s37, v[12:13]
	s_waitcnt lgkmcnt(2)
	v_cvt_f32_f16_e32 v10, v4
	v_cvt_f32_f16_sdwa v11, v4 dst_sel:DWORD dst_unused:UNUSED_PAD src0_sel:WORD_1
	v_cvt_f32_f16_e32 v4, v5
	v_cvt_f32_f16_sdwa v5, v5 dst_sel:DWORD dst_unused:UNUSED_PAD src0_sel:WORD_1
	v_lshl_add_u32 v2, v2, 6, v30
	s_waitcnt lgkmcnt(1)
	v_pk_fma_f32 v[10:11], v[6:7], v[10:11], 0 op_sel_hi:[0,1,0]
	v_ashrrev_i32_e32 v3, 31, v2
	s_waitcnt lgkmcnt(0)
	v_pk_fma_f32 v[4:5], v[8:9], v[4:5], v[10:11] op_sel_hi:[0,1,1]
	v_div_scale_f32 v6, s[14:15], v7, v7, v5
	v_rcp_f32_e32 v8, v6
	v_lshl_add_u64 v[2:3], v[2:3], 3, v[124:125]
	v_fma_f32 v9, -v6, v8, 1.0
	v_fmac_f32_e32 v8, v9, v8
	v_div_scale_f32 v9, vcc, v5, v7, v5
	v_mul_f32_e32 v10, v9, v8
	v_fma_f32 v11, -v6, v10, v9
	v_fmac_f32_e32 v10, v11, v8
	v_fma_f32 v6, -v6, v10, v9
	v_div_scale_f32 v9, s[14:15], v7, v7, v4
	v_rcp_f32_e32 v11, v9
	v_div_fmas_f32 v6, v6, v8, v10
	v_div_fixup_f32 v5, v6, v7, v5
	v_fma_f32 v6, -v9, v11, 1.0
	v_fmac_f32_e32 v11, v6, v11
	v_div_scale_f32 v6, vcc, v4, v7, v4
	v_mul_f32_e32 v8, v6, v11
	v_fma_f32 v10, -v9, v8, v6
	v_fmac_f32_e32 v8, v10, v11
	v_fma_f32 v6, -v9, v8, v6
	v_div_fmas_f32 v6, v6, v11, v8
	v_div_fixup_f32 v4, v6, v7, v4
	global_store_dwordx2 v[2:3], v[4:5], off
	v_mov_b32_e32 v3, 0
.LBB29_300:                             ;   in Loop: Header=BB29_10 Depth=1
	s_or_b64 exec, exec, s[10:11]
	v_cmp_gt_i32_e32 vcc, s97, v3
	s_mov_b64 s[10:11], -1
	s_and_saveexec_b64 s[14:15], vcc
; %bb.301:                              ;   in Loop: Header=BB29_10 Depth=1
	v_cmp_eq_u32_e32 vcc, 0, v3
	s_orn2_b64 s[10:11], vcc, exec
; %bb.302:                              ;   in Loop: Header=BB29_10 Depth=1
	s_or_b64 exec, exec, s[14:15]
	s_and_b64 exec, exec, s[10:11]
	s_cbranch_execz .LBB29_8
; %bb.303:                              ;   in Loop: Header=BB29_10 Depth=1
	v_accvgpr_read_b32 v2, a15
	v_accvgpr_read_b32 v4, a18
	v_add_u32_e32 v2, v2, v99
	v_or_b32_e32 v3, v4, v97
	v_cmp_gt_i32_e32 vcc, s36, v2
	v_cmp_gt_i32_e64 s[10:11], s3, v3
	s_and_b64 s[10:11], vcc, s[10:11]
	s_and_b64 exec, exec, s[10:11]
	s_cbranch_execz .LBB29_8
; %bb.304:                              ;   in Loop: Header=BB29_10 Depth=1
	v_accvgpr_read_b32 v6, a12
	v_add_u32_e32 v3, v161, v6
	ds_read2st64_b32 v[4:5], v3 offset1:17
	v_add_u32_e32 v3, 0, v6
	ds_read2_b32 v[6:7], v3 offset0:64 offset1:65
	ds_read_b32 v8, v3 offset:4608
	v_accvgpr_read_b32 v12, a18
	v_mad_u64_u32 v[2:3], s[10:11], v2, s37, v[12:13]
	s_waitcnt lgkmcnt(2)
	v_cvt_f32_f16_e32 v10, v4
	v_cvt_f32_f16_sdwa v11, v4 dst_sel:DWORD dst_unused:UNUSED_PAD src0_sel:WORD_1
	v_cvt_f32_f16_e32 v4, v5
	v_cvt_f32_f16_sdwa v5, v5 dst_sel:DWORD dst_unused:UNUSED_PAD src0_sel:WORD_1
	v_lshl_add_u32 v2, v2, 6, v30
	s_waitcnt lgkmcnt(1)
	v_pk_fma_f32 v[10:11], v[6:7], v[10:11], 0 op_sel_hi:[0,1,0]
	v_ashrrev_i32_e32 v3, 31, v2
	s_waitcnt lgkmcnt(0)
	v_pk_fma_f32 v[4:5], v[8:9], v[4:5], v[10:11] op_sel_hi:[0,1,1]
	v_div_scale_f32 v6, s[10:11], v7, v7, v5
	v_rcp_f32_e32 v8, v6
	v_lshl_add_u64 v[2:3], v[2:3], 3, v[124:125]
	v_fma_f32 v9, -v6, v8, 1.0
	v_fmac_f32_e32 v8, v9, v8
	v_div_scale_f32 v9, vcc, v5, v7, v5
	v_mul_f32_e32 v10, v9, v8
	v_fma_f32 v11, -v6, v10, v9
	v_fmac_f32_e32 v10, v11, v8
	v_fma_f32 v6, -v6, v10, v9
	v_div_scale_f32 v9, s[10:11], v7, v7, v4
	v_rcp_f32_e32 v11, v9
	v_div_fmas_f32 v6, v6, v8, v10
	v_div_fixup_f32 v5, v6, v7, v5
	v_fma_f32 v6, -v9, v11, 1.0
	v_fmac_f32_e32 v11, v6, v11
	v_div_scale_f32 v6, vcc, v4, v7, v4
	v_mul_f32_e32 v8, v6, v11
	v_fma_f32 v10, -v9, v8, v6
	v_fmac_f32_e32 v8, v10, v11
	v_fma_f32 v6, -v9, v8, v6
	v_div_fmas_f32 v6, v6, v11, v8
	v_div_fixup_f32 v4, v6, v7, v4
	global_store_dwordx2 v[2:3], v[4:5], off
	s_branch .LBB29_8
.LBB29_305:
	s_andn2_b64 vcc, exec, s[10:11]
	s_cbranch_vccnz .LBB29_379
; %bb.306:
	s_abs_i32 s0, s83
	v_cvt_f32_u32_e32 v2, s0
	s_sub_i32 s5, 0, s0
	s_abs_i32 s4, s56
	s_xor_b32 s1, s56, s83
	v_rcp_iflag_f32_e32 v2, v2
	s_ashr_i32 s1, s1, 31
	v_mov_b32_e32 v24, s98
	v_mul_f32_e32 v2, 0x4f7ffffe, v2
	v_cvt_u32_f32_e32 v2, v2
	s_nop 0
	v_readfirstlane_b32 s6, v2
	s_mul_i32 s5, s5, s6
	s_mul_hi_u32 s5, s6, s5
	s_add_i32 s6, s6, s5
	s_mul_hi_u32 s5, s4, s6
	s_mul_i32 s6, s5, s0
	s_sub_i32 s4, s4, s6
	s_add_i32 s7, s5, 1
	s_sub_i32 s6, s4, s0
	s_cmp_ge_u32 s4, s0
	s_cselect_b32 s5, s7, s5
	s_cselect_b32 s4, s6, s4
	s_add_i32 s6, s5, 1
	s_cmp_ge_u32 s4, s0
	s_cselect_b32 s0, s6, s5
	s_abs_i32 s4, s82
	v_cvt_f32_u32_e32 v2, s4
	s_xor_b32 s0, s0, s1
	s_sub_i32 s5, 0, s4
	s_sub_i32 s8, s0, s1
	v_rcp_iflag_f32_e32 v2, v2
	s_mul_i32 s0, s8, s83
	s_sub_i32 s0, s56, s0
	s_abs_i32 s6, s0
	v_mul_f32_e32 v2, 0x4f7ffffe, v2
	v_cvt_u32_f32_e32 v2, v2
	s_xor_b32 s1, s0, s82
	s_ashr_i32 s1, s1, 31
	v_readfirstlane_b32 s7, v2
	s_mul_i32 s5, s5, s7
	s_mul_hi_u32 s5, s7, s5
	s_add_i32 s7, s7, s5
	s_mul_hi_u32 s5, s6, s7
	s_mul_i32 s7, s5, s4
	s_sub_i32 s6, s6, s7
	s_add_i32 s9, s5, 1
	s_sub_i32 s7, s6, s4
	s_cmp_ge_u32 s6, s4
	s_cselect_b32 s5, s9, s5
	s_cselect_b32 s6, s7, s6
	s_add_i32 s7, s5, 1
	s_cmp_ge_u32 s6, s4
	s_cselect_b32 s4, s7, s5
	s_abs_i32 s5, s81
	v_cvt_f32_u32_e32 v2, s5
	s_xor_b32 s4, s4, s1
	s_sub_i32 s6, 0, s5
	s_sub_i32 s9, s4, s1
	v_rcp_iflag_f32_e32 v2, v2
	s_mul_i32 s1, s9, s82
	s_sub_i32 s1, s0, s1
	s_abs_i32 s4, s1
	v_mul_f32_e32 v2, 0x4f7ffffe, v2
	v_cvt_u32_f32_e32 v2, v2
	s_xor_b32 s0, s1, s81
	s_ashr_i32 s0, s0, 31
	v_readfirstlane_b32 s7, v2
	s_mul_i32 s6, s6, s7
	s_mul_hi_u32 s6, s7, s6
	s_add_i32 s7, s7, s6
	s_mul_hi_u32 s6, s4, s7
	s_mul_i32 s7, s6, s5
	s_sub_i32 s4, s4, s7
	s_add_i32 s10, s6, 1
	s_sub_i32 s7, s4, s5
	s_cmp_ge_u32 s4, s5
	s_cselect_b32 s6, s10, s6
	s_cselect_b32 s4, s7, s4
	s_add_i32 s7, s6, 1
	s_cmp_ge_u32 s4, s5
	s_cselect_b32 s4, s7, s6
	s_xor_b32 s4, s4, s0
	s_sub_i32 s0, s4, s0
	s_mul_i32 s4, s0, s81
	s_sub_i32 s1, s1, s4
	s_ashr_i32 s4, s1, 31
	s_abs_i32 s1, s1
	s_mul_hi_u32 s5, s1, s52
	s_mul_i32 s6, s5, s85
	s_sub_i32 s1, s1, s6
	s_xor_b32 s4, s4, s42
	s_add_i32 s6, s5, 1
	s_sub_i32 s7, s1, s85
	s_cmp_ge_u32 s1, s85
	s_cselect_b32 s5, s6, s5
	s_cselect_b32 s1, s7, s1
	s_add_i32 s6, s5, 1
	s_cmp_ge_u32 s1, s85
	s_cselect_b32 s1, s6, s5
	s_abs_i32 s11, s58
	v_cvt_f32_u32_e32 v2, s11
	s_xor_b32 s1, s1, s4
	s_sub_i32 s1, s1, s4
	s_cmp_eq_u64 s[26:27], 0
	v_rcp_iflag_f32_e32 v2, v2
	s_nop 0
	v_mul_f32_e32 v2, 0x4f7ffffe, v2
	v_cvt_u32_f32_e32 v2, v2
	s_nop 0
	v_readfirstlane_b32 s12, v2
	s_cbranch_scc1 .LBB29_308
; %bb.307:
	s_mul_i32 s4, s8, s80
	s_add_i32 s4, s1, s4
	s_ashr_i32 s5, s4, 31
	s_lshl_b64 s[4:5], s[4:5], 2
	s_add_u32 s4, s26, s4
	s_addc_u32 s5, s27, s5
	v_mov_b32_e32 v2, 0
	global_load_dword v2, v2, s[4:5]
	s_waitcnt vmcnt(0)
	v_ashrrev_i32_e32 v3, 31, v2
	v_lshrrev_b32_e32 v3, 26, v3
	v_add_u32_e32 v2, v2, v3
	v_ashrrev_i32_e32 v2, 6, v2
	v_min_i32_e32 v24, s98, v2
.LBB29_308:
	s_mul_i32 s4, s9, s3
	s_lshl_b32 s13, s0, 3
	s_add_i32 s0, s13, s4
	s_mul_i32 s4, s8, s55
	s_ashr_i32 s5, s4, 31
	s_add_u32 s4, s16, s4
	s_mul_i32 s0, s0, s54
	s_addc_u32 s5, s17, s5
	s_ashr_i32 s7, s0, 31
	s_add_u32 s6, s4, s0
	s_addc_u32 s7, s5, s7
	v_and_b32_e32 v54, 0x3ff, v0
	s_lshl_b32 s10, s1, 2
	v_bfe_u32 v0, v85, 3, 7
	v_add_u32_e32 v2, s10, v0
	v_or_b32_e32 v0, s13, v33
	v_cmp_le_i32_e64 s[0:1], s36, v2
	v_cmp_le_i32_e64 s[4:5], s3, v0
	s_mov_b32 s14, 0x10001
	v_lshl_add_u32 v55, v54, 2, 0
	v_cmp_gt_i32_e32 vcc, s3, v0
	s_or_b64 s[0:1], s[0:1], s[4:5]
	s_and_saveexec_b64 s[4:5], s[0:1]
	s_xor_b64 s[0:1], exec, s[4:5]
; %bb.309:
	s_movk_i32 s4, 0x190
	v_mad_u32_u24 v0, v61, s4, v55
	v_mov_b32_e32 v2, 0
	ds_write_b32 v0, v2
                                        ; implicit-def: $vgpr2
; %bb.310:
	s_or_saveexec_b64 s[0:1], s[0:1]
	v_mul_lo_u32 v0, v83, s14
	s_xor_b64 exec, exec, s[0:1]
	s_cbranch_execz .LBB29_312
; %bb.311:
	v_mul_lo_u32 v2, v2, s57
	v_mul_lo_u32 v3, v33, s61
	v_add3_u32 v2, v3, v54, v2
	v_ashrrev_i32_e32 v3, 31, v2
	v_lshl_add_u64 v[2:3], v[2:3], 3, s[6:7]
	global_load_dwordx2 v[2:3], v[2:3], off
	s_movk_i32 s4, 0x190
	s_waitcnt vmcnt(0)
	v_cvt_pk_f16_f32 v2, v2, v3
	v_pk_mul_f16 v2, v2, v0
	v_mad_u32_u24 v3, v61, s4, v55
	ds_write_b32 v3, v2
.LBB29_312:
	s_or_b64 exec, exec, s[0:1]
	v_lshrrev_b32_e32 v3, 3, v81
	v_and_b32_e32 v2, 7, v81
	v_add_u32_e32 v3, s10, v3
	v_or_b32_e32 v4, s13, v2
	v_cmp_le_i32_e64 s[0:1], s36, v3
	v_cmp_le_i32_e64 s[4:5], s3, v4
	s_or_b64 s[0:1], s[0:1], s[4:5]
	s_and_saveexec_b64 s[4:5], s[0:1]
	s_xor_b64 s[0:1], exec, s[4:5]
; %bb.313:
	s_movk_i32 s4, 0x190
	v_mad_u32_u24 v2, v81, s4, v55
	v_mov_b32_e32 v3, 0
	ds_write_b32 v2, v3
                                        ; implicit-def: $vgpr3
                                        ; implicit-def: $vgpr2
                                        ; implicit-def: $vgpr81
; %bb.314:
	s_andn2_saveexec_b64 s[0:1], s[0:1]
	s_cbranch_execz .LBB29_316
; %bb.315:
	v_mul_lo_u32 v3, v3, s57
	v_mul_lo_u32 v2, v2, s61
	v_add3_u32 v2, v2, v54, v3
	v_ashrrev_i32_e32 v3, 31, v2
	v_lshl_add_u64 v[2:3], v[2:3], 3, s[6:7]
	global_load_dwordx2 v[2:3], v[2:3], off
	s_movk_i32 s4, 0x190
	s_waitcnt vmcnt(0)
	v_cvt_pk_f16_f32 v2, v2, v3
	v_pk_mul_f16 v2, v2, v0
	v_mad_u32_u24 v3, v81, s4, v55
	ds_write_b32 v3, v2
.LBB29_316:
	s_or_b64 exec, exec, s[0:1]
	v_lshrrev_b32_e32 v2, 3, v79
	v_add_u32_e32 v2, s10, v2
	v_cmp_le_i32_e64 s[0:1], s36, v2
	s_xor_b64 s[4:5], vcc, -1
	s_or_b64 s[0:1], s[0:1], s[4:5]
	s_and_saveexec_b64 s[14:15], s[0:1]
	s_xor_b64 s[0:1], exec, s[14:15]
; %bb.317:
	s_movk_i32 s14, 0x190
	v_mad_u32_u24 v2, v79, s14, v55
	v_mov_b32_e32 v3, 0
	ds_write_b32 v2, v3
                                        ; implicit-def: $vgpr2
                                        ; implicit-def: $vgpr79
; %bb.318:
	s_andn2_saveexec_b64 s[0:1], s[0:1]
	s_cbranch_execz .LBB29_320
; %bb.319:
	v_mul_lo_u32 v2, v2, s57
	v_mul_lo_u32 v3, v33, s61
	v_add3_u32 v2, v3, v54, v2
	v_ashrrev_i32_e32 v3, 31, v2
	v_lshl_add_u64 v[2:3], v[2:3], 3, s[6:7]
	global_load_dwordx2 v[2:3], v[2:3], off
	s_movk_i32 s14, 0x190
	s_waitcnt vmcnt(0)
	v_cvt_pk_f16_f32 v2, v2, v3
	v_pk_mul_f16 v2, v2, v0
	v_mad_u32_u24 v3, v79, s14, v55
	ds_write_b32 v3, v2
.LBB29_320:
	s_or_b64 exec, exec, s[0:1]
	v_lshrrev_b32_e32 v3, 3, v77
	v_and_b32_e32 v2, 7, v77
	v_add_u32_e32 v3, s10, v3
	v_or_b32_e32 v4, s13, v2
	v_cmp_le_i32_e32 vcc, s36, v3
	v_cmp_le_i32_e64 s[0:1], s3, v4
	s_or_b64 s[0:1], vcc, s[0:1]
	s_and_saveexec_b64 s[14:15], s[0:1]
	s_xor_b64 s[0:1], exec, s[14:15]
; %bb.321:
	s_movk_i32 s14, 0x190
	v_mad_u32_u24 v2, v77, s14, v55
	v_mov_b32_e32 v3, 0
	ds_write_b32 v2, v3
                                        ; implicit-def: $vgpr3
                                        ; implicit-def: $vgpr2
                                        ; implicit-def: $vgpr77
; %bb.322:
	s_andn2_saveexec_b64 s[0:1], s[0:1]
	s_cbranch_execz .LBB29_324
; %bb.323:
	v_mul_lo_u32 v3, v3, s57
	v_mul_lo_u32 v2, v2, s61
	v_add3_u32 v2, v2, v54, v3
	v_ashrrev_i32_e32 v3, 31, v2
	v_lshl_add_u64 v[2:3], v[2:3], 3, s[6:7]
	global_load_dwordx2 v[2:3], v[2:3], off
	s_movk_i32 s14, 0x190
	s_waitcnt vmcnt(0)
	v_cvt_pk_f16_f32 v2, v2, v3
	v_pk_mul_f16 v2, v2, v0
	v_mad_u32_u24 v3, v77, s14, v55
	ds_write_b32 v3, v2
.LBB29_324:
	s_or_b64 exec, exec, s[0:1]
	v_lshrrev_b32_e32 v2, 3, v75
	v_add_u32_e32 v2, s10, v2
	v_cmp_le_i32_e32 vcc, s36, v2
	s_or_b64 s[0:1], vcc, s[4:5]
	s_and_saveexec_b64 s[14:15], s[0:1]
	s_xor_b64 s[0:1], exec, s[14:15]
; %bb.325:
	s_movk_i32 s14, 0x190
	v_mad_u32_u24 v2, v75, s14, v55
	v_mov_b32_e32 v3, 0
	ds_write_b32 v2, v3
                                        ; implicit-def: $vgpr2
                                        ; implicit-def: $vgpr75
; %bb.326:
	s_andn2_saveexec_b64 s[0:1], s[0:1]
	s_cbranch_execz .LBB29_328
; %bb.327:
	v_mul_lo_u32 v2, v2, s57
	v_mul_lo_u32 v3, v33, s61
	v_add3_u32 v2, v3, v54, v2
	v_ashrrev_i32_e32 v3, 31, v2
	v_lshl_add_u64 v[2:3], v[2:3], 3, s[6:7]
	global_load_dwordx2 v[2:3], v[2:3], off
	s_movk_i32 s14, 0x190
	s_waitcnt vmcnt(0)
	v_cvt_pk_f16_f32 v2, v2, v3
	v_pk_mul_f16 v2, v2, v0
	v_mad_u32_u24 v3, v75, s14, v55
	ds_write_b32 v3, v2
.LBB29_328:
	s_or_b64 exec, exec, s[0:1]
	v_lshrrev_b32_e32 v3, 3, v35
	v_and_b32_e32 v2, 7, v35
	v_add_u32_e32 v3, s10, v3
	v_or_b32_e32 v4, s13, v2
	v_cmp_le_i32_e32 vcc, s36, v3
	v_cmp_le_i32_e64 s[0:1], s3, v4
	s_or_b64 s[0:1], vcc, s[0:1]
	s_and_saveexec_b64 s[14:15], s[0:1]
	s_xor_b64 s[0:1], exec, s[14:15]
; %bb.329:
	s_movk_i32 s14, 0x190
	v_mad_u32_u24 v2, v35, s14, v55
	v_mov_b32_e32 v3, 0
	ds_write_b32 v2, v3
                                        ; implicit-def: $vgpr3
                                        ; implicit-def: $vgpr2
                                        ; implicit-def: $vgpr35
; %bb.330:
	s_andn2_saveexec_b64 s[0:1], s[0:1]
	s_cbranch_execz .LBB29_332
; %bb.331:
	v_mul_lo_u32 v3, v3, s57
	v_mul_lo_u32 v2, v2, s61
	v_add3_u32 v2, v2, v54, v3
	v_ashrrev_i32_e32 v3, 31, v2
	v_lshl_add_u64 v[2:3], v[2:3], 3, s[6:7]
	global_load_dwordx2 v[2:3], v[2:3], off
	s_movk_i32 s14, 0x190
	s_waitcnt vmcnt(0)
	v_cvt_pk_f16_f32 v2, v2, v3
	v_pk_mul_f16 v2, v2, v0
	v_mad_u32_u24 v3, v35, s14, v55
	ds_write_b32 v3, v2
.LBB29_332:
	s_or_b64 exec, exec, s[0:1]
	v_lshrrev_b32_e32 v2, 3, v31
	v_add_u32_e32 v2, s10, v2
	v_cmp_le_i32_e32 vcc, s36, v2
	s_or_b64 s[0:1], vcc, s[4:5]
	s_and_saveexec_b64 s[4:5], s[0:1]
	s_xor_b64 s[0:1], exec, s[4:5]
; %bb.333:
	s_movk_i32 s4, 0x190
	v_mad_u32_u24 v2, v31, s4, v55
	v_mov_b32_e32 v3, 0
	ds_write_b32 v2, v3
                                        ; implicit-def: $vgpr2
                                        ; implicit-def: $vgpr33
                                        ; implicit-def: $vgpr31
; %bb.334:
	s_andn2_saveexec_b64 s[0:1], s[0:1]
	s_cbranch_execz .LBB29_336
; %bb.335:
	v_mul_lo_u32 v2, v2, s57
	v_mul_lo_u32 v3, v33, s61
	v_add3_u32 v2, v3, v54, v2
	v_ashrrev_i32_e32 v3, 31, v2
	v_lshl_add_u64 v[2:3], v[2:3], 3, s[6:7]
	global_load_dwordx2 v[2:3], v[2:3], off
	s_movk_i32 s4, 0x190
	s_waitcnt vmcnt(0)
	v_cvt_pk_f16_f32 v2, v2, v3
	v_pk_mul_f16 v2, v2, v0
	v_mad_u32_u24 v3, v31, s4, v55
	ds_write_b32 v3, v2
.LBB29_336:
	s_or_b64 exec, exec, s[0:1]
	v_lshrrev_b32_e32 v3, 3, v1
	v_and_b32_e32 v2, 7, v1
	v_add_u32_e32 v3, s10, v3
	v_or_b32_e32 v4, s13, v2
	v_cmp_le_i32_e32 vcc, s36, v3
	v_cmp_le_i32_e64 s[0:1], s3, v4
	s_or_b64 s[0:1], vcc, s[0:1]
	s_and_saveexec_b64 s[4:5], s[0:1]
	s_xor_b64 s[0:1], exec, s[4:5]
; %bb.337:
	s_movk_i32 s4, 0x190
	v_mad_u32_u24 v1, v1, s4, v55
	v_mov_b32_e32 v2, 0
	ds_write_b32 v1, v2
                                        ; implicit-def: $vgpr3
                                        ; implicit-def: $vgpr2
                                        ; implicit-def: $vgpr1
; %bb.338:
	s_andn2_saveexec_b64 s[0:1], s[0:1]
	s_cbranch_execz .LBB29_340
; %bb.339:
	v_mul_lo_u32 v3, v3, s57
	v_mul_lo_u32 v2, v2, s61
	v_add3_u32 v2, v2, v54, v3
	v_ashrrev_i32_e32 v3, 31, v2
	v_lshl_add_u64 v[2:3], v[2:3], 3, s[6:7]
	global_load_dwordx2 v[2:3], v[2:3], off
	s_movk_i32 s4, 0x190
	v_mad_u32_u24 v1, v1, s4, v55
	s_waitcnt vmcnt(0)
	v_cvt_pk_f16_f32 v2, v2, v3
	v_pk_mul_f16 v2, v2, v0
	ds_write_b32 v1, v2
.LBB29_340:
	s_or_b64 exec, exec, s[0:1]
	v_lshrrev_b32_e32 v1, 5, v54
	v_lshl_add_u32 v25, v61, 1, v1
	v_lshrrev_b32_e32 v2, 3, v25
	v_and_b32_e32 v1, 7, v25
	v_add_u32_e32 v4, s10, v2
	v_or_b32_e32 v2, s13, v1
	v_cmp_le_i32_e64 s[0:1], s36, v4
	v_cmp_le_i32_e64 s[4:5], s3, v2
	v_and_b32_e32 v56, 31, v54
	v_cmp_gt_i32_e32 vcc, s3, v2
	s_or_b64 s[0:1], s[0:1], s[4:5]
	s_and_saveexec_b64 s[4:5], s[0:1]
	s_xor_b64 s[0:1], exec, s[4:5]
; %bb.341:
	v_mul_u32_u24_e32 v2, 0x190, v25
	v_lshlrev_b32_e32 v3, 2, v56
	v_add3_u32 v2, 0, v2, v3
	v_mov_b32_e32 v3, 0
	ds_write_b32 v2, v3 offset:256
                                        ; implicit-def: $vgpr4
; %bb.342:
	s_or_saveexec_b64 s[0:1], s[0:1]
	v_or_b32_e32 v3, 64, v56
	v_lshl_add_u32 v2, v56, 2, 0
	s_xor_b64 exec, exec, s[0:1]
	s_cbranch_execz .LBB29_344
; %bb.343:
	v_mul_lo_u32 v4, v4, s57
	v_mul_lo_u32 v5, v1, s61
	v_add3_u32 v4, v5, v3, v4
	v_ashrrev_i32_e32 v5, 31, v4
	v_lshl_add_u64 v[4:5], v[4:5], 3, s[6:7]
	global_load_dwordx2 v[4:5], v[4:5], off
	s_movk_i32 s3, 0x190
	s_waitcnt vmcnt(0)
	v_cvt_pk_f16_f32 v4, v4, v5
	v_pk_mul_f16 v4, v4, v0
	v_mad_u32_u24 v5, v25, s3, v2
	ds_write_b32 v5, v4 offset:256
.LBB29_344:
	s_or_b64 exec, exec, s[0:1]
	v_add_u32_e32 v4, 8, v25
	v_lshrrev_b32_e32 v5, 3, v4
	v_add_u32_e32 v5, s10, v5
	v_cmp_le_i32_e64 s[0:1], s36, v5
	s_xor_b64 s[4:5], vcc, -1
	s_sub_i32 s3, 0, s11
	s_or_b64 s[0:1], s[0:1], s[4:5]
	s_and_saveexec_b64 s[14:15], s[0:1]
	s_xor_b64 s[0:1], exec, s[14:15]
; %bb.345:
	v_mul_u32_u24_e32 v4, 0x190, v4
	v_lshlrev_b32_e32 v5, 2, v56
	v_add3_u32 v4, 0, v4, v5
	v_mov_b32_e32 v5, 0
	ds_write_b32 v4, v5 offset:256
                                        ; implicit-def: $vgpr5
                                        ; implicit-def: $vgpr4
; %bb.346:
	s_or_saveexec_b64 s[0:1], s[0:1]
	s_mul_i32 s3, s3, s12
	s_xor_b64 exec, exec, s[0:1]
	s_cbranch_execz .LBB29_348
; %bb.347:
	v_mul_lo_u32 v5, v5, s57
	v_mul_lo_u32 v6, v1, s61
	v_add3_u32 v6, v6, v3, v5
	v_ashrrev_i32_e32 v7, 31, v6
	v_lshl_add_u64 v[6:7], v[6:7], 3, s[6:7]
	global_load_dwordx2 v[6:7], v[6:7], off
	s_movk_i32 s13, 0x190
	v_mad_u32_u24 v4, v4, s13, v2
	s_waitcnt vmcnt(0)
	v_cvt_pk_f16_f32 v5, v6, v7
	v_pk_mul_f16 v5, v5, v0
	ds_write_b32 v4, v5 offset:256
.LBB29_348:
	s_or_b64 exec, exec, s[0:1]
	v_add_u32_e32 v4, 16, v25
	v_lshrrev_b32_e32 v5, 3, v4
	v_add_u32_e32 v5, s10, v5
	v_cmp_le_i32_e32 vcc, s36, v5
	s_mul_hi_u32 s13, s12, s3
	s_or_b64 s[0:1], vcc, s[4:5]
	s_and_saveexec_b64 s[14:15], s[0:1]
	s_xor_b64 s[0:1], exec, s[14:15]
; %bb.349:
	v_mul_u32_u24_e32 v4, 0x190, v4
	v_lshlrev_b32_e32 v5, 2, v56
	v_add3_u32 v4, 0, v4, v5
	v_mov_b32_e32 v5, 0
	ds_write_b32 v4, v5 offset:256
                                        ; implicit-def: $vgpr5
                                        ; implicit-def: $vgpr4
; %bb.350:
	s_or_saveexec_b64 s[0:1], s[0:1]
	s_abs_i32 s3, s8
	s_add_i32 s12, s12, s13
	s_xor_b64 exec, exec, s[0:1]
	s_cbranch_execz .LBB29_352
; %bb.351:
	v_mul_lo_u32 v5, v5, s57
	v_mul_lo_u32 v6, v1, s61
	v_add3_u32 v6, v6, v3, v5
	v_ashrrev_i32_e32 v7, 31, v6
	v_lshl_add_u64 v[6:7], v[6:7], 3, s[6:7]
	global_load_dwordx2 v[6:7], v[6:7], off
	s_movk_i32 s13, 0x190
	v_mad_u32_u24 v4, v4, s13, v2
	s_waitcnt vmcnt(0)
	v_cvt_pk_f16_f32 v5, v6, v7
	v_pk_mul_f16 v5, v5, v0
	ds_write_b32 v4, v5 offset:256
.LBB29_352:
	s_or_b64 exec, exec, s[0:1]
	v_add_u32_e32 v4, 24, v25
	v_lshrrev_b32_e32 v5, 3, v4
	v_add_u32_e32 v5, s10, v5
	v_cmp_le_i32_e32 vcc, s36, v5
	s_mul_hi_u32 s14, s3, s12
	s_or_b64 s[0:1], vcc, s[4:5]
	s_and_saveexec_b64 s[4:5], s[0:1]
	s_xor_b64 s[0:1], exec, s[4:5]
; %bb.353:
	v_mul_u32_u24_e32 v0, 0x190, v4
	v_lshlrev_b32_e32 v1, 2, v56
	v_add3_u32 v0, 0, v0, v1
	v_mov_b32_e32 v1, 0
	ds_write_b32 v0, v1 offset:256
                                        ; implicit-def: $vgpr5
                                        ; implicit-def: $vgpr1
                                        ; implicit-def: $vgpr3
                                        ; implicit-def: $vgpr0
                                        ; implicit-def: $vgpr4
                                        ; implicit-def: $vgpr2
; %bb.354:
	s_or_saveexec_b64 s[0:1], s[0:1]
	s_ashr_i32 s15, s8, 31
	s_xor_b64 exec, exec, s[0:1]
	s_cbranch_execz .LBB29_356
; %bb.355:
	v_mul_lo_u32 v5, v5, s57
	v_mul_lo_u32 v1, v1, s61
	v_add3_u32 v6, v1, v3, v5
	v_ashrrev_i32_e32 v7, 31, v6
	v_lshl_add_u64 v[6:7], v[6:7], 3, s[6:7]
	global_load_dwordx2 v[6:7], v[6:7], off
	s_movk_i32 s4, 0x190
	s_waitcnt vmcnt(0)
	v_cvt_pk_f16_f32 v1, v6, v7
	v_pk_mul_f16 v0, v1, v0
	v_mad_u32_u24 v1, v4, s4, v2
	ds_write_b32 v1, v0 offset:256
.LBB29_356:
	s_or_b64 exec, exec, s[0:1]
	s_mul_hi_u32 s0, s40, s8
	s_mul_i32 s1, s40, s15
	s_add_i32 s0, s0, s1
	s_mul_i32 s1, s41, s8
	s_add_i32 s0, s0, s1
	s_mul_i32 s1, s40, s8
	s_add_u32 s1, s18, s1
	s_mul_i32 s4, s9, s53
	s_addc_u32 s0, s19, s0
	s_ashr_i32 s5, s4, 31
	s_add_u32 s12, s1, s4
	s_mul_i32 s14, s14, s11
	s_addc_u32 s13, s0, s5
	s_sub_i32 s0, s3, s14
	s_sub_i32 s1, s0, s11
	s_cmp_ge_u32 s0, s11
	s_cselect_b32 s0, s1, s0
	s_sub_i32 s1, s0, s11
	s_cmp_ge_u32 s0, s11
	s_cselect_b32 s0, s1, s0
	s_xor_b32 s0, s0, s15
	s_sub_i32 s0, s0, s15
	s_ashr_i32 s1, s0, 31
	s_mul_i32 s1, s50, s1
	s_mul_hi_u32 s3, s50, s0
	s_add_i32 s1, s3, s1
	s_mul_i32 s3, s51, s0
	s_add_i32 s1, s1, s3
	s_mul_i32 s0, s50, s0
	s_add_u32 s4, s22, s0
	s_addc_u32 s5, s23, s1
	s_mul_hi_u32 s0, s48, s8
	s_mul_i32 s1, s48, s15
	s_add_i32 s0, s0, s1
	s_mul_i32 s1, s49, s8
	s_add_i32 s0, s0, s1
	s_mul_i32 s1, s48, s8
	s_add_u32 s1, s20, s1
	s_mul_i32 s9, s9, s43
	s_addc_u32 s0, s21, s0
	s_ashr_i32 s6, s9, 31
	s_add_u32 s3, s1, s9
	v_lshrrev_b32_e32 v26, 3, v54
	s_addc_u32 s11, s0, s6
	v_and_b32_e32 v27, 0x1ff0, v71
	s_movk_i32 s0, 0x190
	v_and_b32_e32 v57, 15, v54
	v_and_b32_e32 v2, 0x7e, v26
	v_mad_u32_u24 v0, v27, s0, 0
	v_mul_u32_u24_e32 v1, 0x190, v57
	v_lshlrev_b32_e32 v58, 2, v2
	v_add3_u32 v16, v0, v1, v58
	s_waitcnt lgkmcnt(0)
	s_barrier
	ds_read2_b64 v[12:15], v16 offset1:4
	ds_read2_b64 v[8:11], v16 offset0:8 offset1:12
	ds_read2_b64 v[4:7], v16 offset0:16 offset1:20
	;; [unrolled: 1-line block ×5, first 2 shown]
	v_add_u32_e32 v68, -1, v24
	v_cmp_ge_i32_e32 vcc, s76, v68
	v_add_u32_e32 v64, v71, v26
	s_and_b64 vcc, exec, vcc
	v_cmp_gt_u32_e64 s[0:1], 4, v25
	v_add_u32_e32 v66, 32, v64
	v_lshrrev_b32_e32 v67, 4, v54
	v_mul_lo_u32 v26, s38, v64
	v_lshlrev_b32_e32 v24, 4, v57
	v_lshrrev_b32_e32 v62, 2, v54
	v_and_or_b32 v63, v54, 8, v27
	v_and_b32_e32 v60, 8, v71
	v_lshlrev_b32_e32 v59, 1, v57
	s_waitcnt lgkmcnt(0)
	s_barrier
	s_cbranch_vccnz .LBB29_363
; %bb.357:
	v_add_u32_e32 v27, s10, v25
	v_mul_hi_u32 v28, s44, v27
	v_add_u32_e32 v28, v27, v28
	v_lshrrev_b32_e32 v28, s45, v28
	v_mul_lo_u32 v28, v28, s36
	v_sub_u32_e32 v27, v27, v28
	v_lshlrev_b32_e32 v42, 2, v54
	v_mul_u32_u24_e32 v29, 0x90, v25
	v_and_b32_e32 v28, 0x7c, v42
	v_mad_i64_i32 v[30:31], s[6:7], v27, s46, 0
	v_add3_u32 v70, 0, v29, v28
	v_lshl_add_u64 v[30:31], v[30:31], 1, s[4:5]
	v_mov_b32_e32 v29, 0
	v_lshl_add_u64 v[30:31], v[30:31], 0, v[28:29]
	v_and_b32_e32 v28, 28, v42
	v_mul_u32_u24_e32 v44, 0x110, v66
	v_lshlrev_b32_e32 v42, 2, v28
	s_movk_i32 s8, 0x90
	v_and_b32_e32 v43, 16, v65
	v_mul_u32_u24_e32 v47, 0x110, v64
	v_add3_u32 v74, 0, v44, v42
	v_and_b32_e32 v53, 0xfc, v62
	v_lshrrev_b32_e32 v44, 3, v63
	v_add3_u32 v72, 0, v47, v42
	v_add_u32_e32 v42, v53, v43
	v_mad_u32_u24 v44, v44, s8, 0
	v_mul_u32_u24_e32 v52, 0x110, v43
	v_add_u16_e32 v43, v53, v43
	v_lshl_add_u32 v42, v42, 1, v44
	v_lshrrev_b16_e32 v43, 1, v43
	v_add_u32_e32 v79, 64, v42
	v_add_u32_e32 v80, 0x44, v42
	v_mbcnt_hi_u32_b32 v42, -1, v73
	v_lshl_add_u32 v81, v43, 2, v44
	v_and_b32_e32 v43, 64, v42
	v_add_u32_e32 v43, 64, v43
	v_xor_b32_e32 v44, 32, v42
	v_cmp_lt_i32_e32 vcc, v44, v43
	v_lshl_add_u32 v45, v61, 2, v67
	v_mul_lo_u32 v34, s38, v45
	v_cndmask_b32_e32 v44, v42, v44, vcc
	s_lshl_b32 s6, s38, 4
	v_lshlrev_b32_e32 v83, 2, v44
	v_xor_b32_e32 v44, 16, v42
	v_add_u32_e32 v36, s6, v34
	v_cmp_lt_i32_e32 vcc, v44, v43
	v_add_u32_e32 v38, s6, v36
	v_add_u32_e32 v40, s6, v38
	v_cndmask_b32_e32 v42, v42, v44, vcc
	v_lshlrev_b32_e32 v86, 2, v42
	v_mul_lo_u32 v42, s34, v45
	s_lshl_b32 s6, s34, 4
	v_mul_u32_u24_e32 v46, 0x110, v45
	v_add_u32_e32 v44, s6, v42
	v_add3_u32 v75, 0, v46, v24
	v_add_u32_e32 v46, s6, v44
	v_mul_u32_u24_e32 v27, 0x110, v57
	v_add_u32_e32 v48, s6, v46
	v_or_b32_e32 v69, 3, v62
	s_movk_i32 s6, 0x220
	v_add3_u32 v51, 0, v27, v58
	v_mul_lo_u32 v32, s38, v66
	v_lshlrev_b32_e32 v50, 2, v57
	v_mul_u32_u24_e32 v53, 0x110, v53
	v_mul_u32_u24_e32 v69, 0x110, v69
	v_mad_u32_u24 v82, v60, s6, 0
	v_ashrrev_i32_e32 v33, 31, v32
	v_ashrrev_i32_e32 v35, 31, v34
	;; [unrolled: 1-line block ×6, first 2 shown]
	v_add_u32_e32 v76, 0x1100, v75
	v_add_u32_e32 v77, 0x2200, v75
	;; [unrolled: 1-line block ×3, first 2 shown]
	v_ashrrev_i32_e32 v43, 31, v42
	v_ashrrev_i32_e32 v45, 31, v44
	;; [unrolled: 1-line block ×4, first 2 shown]
	v_add3_u32 v95, v82, v53, v59
	v_add3_u32 v96, v82, v69, v59
	s_lshl_b32 s6, s76, 6
	v_mov_b32_e32 v69, 0xfeffffff
	v_lshlrev_b32_e32 v28, 2, v28
	v_add_u32_e32 v98, v51, v52
	v_lshlrev_b32_e32 v50, 2, v50
	v_add_u32_e32 v100, 0x4400, v81
	s_mov_b32 s14, 0x3fb8aa3b
	s_mov_b32 s15, 0xc2ce8ed0
	;; [unrolled: 1-line block ×5, first 2 shown]
	v_mov_b32_e32 v101, 0x7f800000
	v_mov_b32_e32 v102, v29
	;; [unrolled: 1-line block ×18, first 2 shown]
	s_ashr_i32 s7, s6, 31
	s_and_saveexec_b64 s[8:9], s[0:1]
	s_cbranch_execz .LBB29_359
.LBB29_358:
	v_lshl_add_u64 v[104:105], s[6:7], 1, v[30:31]
	global_load_dword v51, v[104:105], off
	s_waitcnt vmcnt(0)
	ds_write_b32 v70, v51 offset:17408
.LBB29_359:                             ; =>This Inner Loop Header: Depth=1
	s_or_b64 exec, exec, s[8:9]
	s_mul_hi_i32 s9, s6, s38
	s_mul_i32 s8, s6, s38
	s_lshl_b64 s[8:9], s[8:9], 2
	s_add_u32 s8, s12, s8
	s_addc_u32 s9, s13, s9
	v_lshl_add_u64 v[104:105], v[26:27], 2, s[8:9]
	v_lshl_add_u64 v[112:113], v[104:105], 0, v[28:29]
	;; [unrolled: 1-line block ×4, first 2 shown]
	global_load_dwordx4 v[104:107], v[112:113], off offset:256
	global_load_dwordx4 v[108:111], v[114:115], off offset:256
	v_add_u32_e32 v103, 0x2000, v98
	v_mov_b32_e32 v51, v29
	v_lshl_add_u64 v[116:117], v[36:37], 2, s[8:9]
	v_lshl_add_u64 v[118:119], v[38:39], 2, s[8:9]
	v_lshl_add_u64 v[120:121], v[40:41], 2, s[8:9]
	v_lshl_add_u64 v[116:117], v[116:117], 0, v[50:51]
	v_lshl_add_u64 v[122:123], v[118:119], 0, v[50:51]
	v_lshl_add_u64 v[120:121], v[120:121], 0, v[50:51]
	s_waitcnt vmcnt(1)
	ds_write_b128 v72, v[104:107]
	s_waitcnt vmcnt(0)
	ds_write_b128 v74, v[108:111]
	s_waitcnt lgkmcnt(0)
	s_barrier
	ds_read2_b64 v[104:107], v98 offset1:4
	ds_read2_b64 v[108:111], v103 offset0:64 offset1:68
	ds_read2_b64 v[112:115], v98 offset0:8 offset1:12
	s_waitcnt lgkmcnt(2)
	v_mfma_f32_16x16x16_f16 a[0:3], v[104:105], v[20:21], 0
	v_mfma_f32_16x16x16_f16 a[0:3], v[106:107], v[22:23], a[0:3]
	ds_read2_b64 v[104:107], v103 offset0:72 offset1:76
	s_waitcnt lgkmcnt(0)
	s_barrier
	v_mfma_f32_16x16x16_f16 a[4:7], v[108:109], v[20:21], 0
	v_lshl_add_u64 v[108:109], v[34:35], 2, s[8:9]
	v_lshl_add_u64 v[108:109], v[108:109], 0, v[50:51]
	v_mfma_f32_16x16x16_f16 a[0:3], v[112:113], v[16:17], a[0:3]
	s_mul_hi_i32 s9, s6, s34
	s_mul_i32 s8, s6, s34
	s_lshl_b64 s[8:9], s[8:9], 2
	v_mfma_f32_16x16x16_f16 a[4:7], v[110:111], v[22:23], a[4:7]
	global_load_dwordx4 v[108:111], v[108:109], off
	s_nop 0
	global_load_dwordx4 v[116:119], v[116:117], off
	s_add_u32 s8, s3, s8
	s_addc_u32 s9, s11, s9
	v_mfma_f32_16x16x16_f16 a[0:3], v[114:115], v[18:19], a[0:3]
	global_load_dwordx4 v[112:115], v[122:123], off
	s_nop 0
	global_load_dwordx4 v[120:123], v[120:121], off
	s_add_i32 s76, s76, 1
	s_add_i32 s6, s6, 64
	v_mfma_f32_16x16x16_f16 a[4:7], v[104:105], v[16:17], a[4:7]
	s_waitcnt vmcnt(3)
	ds_write_b128 v75, v[108:111]
	s_waitcnt vmcnt(2)
	ds_write_b128 v76, v[116:119]
	;; [unrolled: 2-line block ×4, first 2 shown]
	v_mfma_f32_16x16x16_f16 a[4:7], v[106:107], v[18:19], a[4:7]
	s_waitcnt lgkmcnt(0)
	s_barrier
	ds_read2_b64 v[104:107], v98 offset1:4
	ds_read2_b64 v[108:111], v103 offset0:64 offset1:68
	s_waitcnt lgkmcnt(1)
	v_mfma_f32_16x16x16_f16 a[0:3], v[104:105], v[12:13], a[0:3]
	v_lshl_add_u64 v[116:117], v[42:43], 2, s[8:9]
	v_lshl_add_u64 v[118:119], v[46:47], 2, s[8:9]
	v_lshl_add_u64 v[120:121], v[48:49], 2, s[8:9]
	v_mfma_f32_16x16x16_f16 a[0:3], v[106:107], v[14:15], a[0:3]
	ds_read2_b64 v[104:107], v98 offset0:8 offset1:12
	s_waitcnt lgkmcnt(1)
	v_mfma_f32_16x16x16_f16 a[4:7], v[108:109], v[12:13], a[4:7]
	v_mfma_f32_16x16x16_f16 a[4:7], v[110:111], v[14:15], a[4:7]
	ds_read2_b64 v[108:111], v103 offset0:72 offset1:76
	s_waitcnt lgkmcnt(1)
	v_mfma_f32_16x16x16_f16 a[0:3], v[104:105], v[8:9], a[0:3]
	v_mfma_f32_16x16x16_f16 a[0:3], v[106:107], v[10:11], a[0:3]
	ds_read2_b64 v[104:107], v98 offset0:16 offset1:20
	ds_read2_b64 v[112:115], v103 offset0:80 offset1:84
	s_waitcnt lgkmcnt(2)
	v_mfma_f32_16x16x16_f16 a[4:7], v[108:109], v[8:9], a[4:7]
	s_waitcnt lgkmcnt(1)
	v_mfma_f32_16x16x16_f16 a[0:3], v[104:105], v[4:5], a[0:3]
	v_mfma_f32_16x16x16_f16 a[4:7], v[110:111], v[10:11], a[4:7]
	ds_read2_b64 v[108:111], v98 offset0:24 offset1:28
	v_mfma_f32_16x16x16_f16 a[0:3], v[106:107], v[6:7], a[0:3]
	ds_read2_b64 v[104:107], v103 offset0:88 offset1:92
	s_waitcnt lgkmcnt(0)
	s_barrier
	v_mfma_f32_16x16x16_f16 a[4:7], v[112:113], v[4:5], a[4:7]
	v_lshl_add_u64 v[112:113], v[44:45], 2, s[8:9]
	v_mfma_f32_16x16x16_f16 a[4:7], v[114:115], v[6:7], a[4:7]
	ds_read2_b32 v[114:115], v100 offset1:1
	v_mfma_f32_16x16x16_f16 a[0:3], v[108:109], v[0:1], a[0:3]
	ds_read_b32 v103, v79 offset:17408
	ds_read_b32 v108, v80 offset:17408
	s_waitcnt lgkmcnt(2)
	v_cvt_f32_f16_e32 v109, v114
	v_cvt_f32_f16_sdwa v114, v114 dst_sel:DWORD dst_unused:UNUSED_PAD src0_sel:WORD_1
	v_mfma_f32_16x16x16_f16 a[4:7], v[104:105], v[0:1], a[4:7]
	v_cvt_f32_f16_e32 v104, v115
	v_cvt_f32_f16_sdwa v105, v115 dst_sel:DWORD dst_unused:UNUSED_PAD src0_sel:WORD_1
	s_waitcnt lgkmcnt(1)
	v_cvt_f32_f16_e32 v115, v103
	v_mfma_f32_16x16x16_f16 a[0:3], v[110:111], v[2:3], a[0:3]
	v_cvt_f32_f16_sdwa v103, v103 dst_sel:DWORD dst_unused:UNUSED_PAD src0_sel:WORD_1
	s_waitcnt lgkmcnt(0)
	v_cvt_f32_f16_e32 v110, v108
	v_cvt_f32_f16_sdwa v108, v108 dst_sel:DWORD dst_unused:UNUSED_PAD src0_sel:WORD_1
	v_mfma_f32_16x16x16_f16 a[4:7], v[106:107], v[2:3], a[4:7]
	s_nop 2
	v_accvgpr_read_b32 v106, a0
	v_accvgpr_read_b32 v107, a1
	;; [unrolled: 1-line block ×4, first 2 shown]
	v_add_f32_e32 v127, v106, v109
	v_add_f32_e32 v128, v107, v114
	v_accvgpr_read_b32 v123, a4
	v_accvgpr_read_b32 v124, a5
	v_add_f32_e32 v129, v111, v104
	v_add_f32_e32 v122, v122, v105
	;; [unrolled: 1-line block ×4, first 2 shown]
	v_accvgpr_read_b32 v125, a6
	v_accvgpr_read_b32 v126, a7
	v_add_f32_e32 v123, v123, v115
	v_add_f32_e32 v103, v124, v103
	;; [unrolled: 1-line block ×4, first 2 shown]
	v_max3_f32 v104, v69, v104, v105
	v_add_f32_e32 v124, v125, v110
	v_add_f32_e32 v125, v126, v108
	v_add_f32_e32 v108, 0x40051340, v123
	v_add_f32_e32 v109, 0x40051340, v103
	v_max3_f32 v104, v104, v106, v107
	v_add_f32_e32 v110, 0x40051340, v124
	v_add_f32_e32 v111, 0x40051340, v125
	v_max3_f32 v104, v104, v108, v109
	v_max3_f32 v106, v104, v110, v111
	ds_bpermute_b32 v107, v83, v106
	v_lshl_add_u64 v[104:105], v[116:117], 0, v[50:51]
	v_lshl_add_u64 v[108:109], v[112:113], 0, v[50:51]
	;; [unrolled: 1-line block ×4, first 2 shown]
	s_waitcnt lgkmcnt(0)
	v_max_f32_e32 v51, v107, v107
	v_max_f32_e32 v51, v106, v51
	global_load_dwordx4 v[104:107], v[104:105], off
	s_nop 0
	global_load_dwordx4 v[108:111], v[108:109], off
	s_nop 0
	;; [unrolled: 2-line block ×3, first 2 shown]
	global_load_dwordx4 v[116:119], v[116:117], off
	ds_bpermute_b32 v120, v86, v51
	s_waitcnt vmcnt(3)
	ds_write_b128 v75, v[104:107]
	s_waitcnt vmcnt(2)
	ds_write_b128 v76, v[108:111]
	;; [unrolled: 2-line block ×4, first 2 shown]
	s_waitcnt lgkmcnt(4)
	v_max_f32_e32 v120, v120, v120
	v_max_f32_e32 v51, v51, v120
	v_sub_f32_e32 v120, v127, v51
	v_sub_f32_e32 v121, v128, v51
	v_mul_f32_e32 v127, 0x3fb8aa3b, v120
	v_sub_f32_e32 v126, v129, v51
	v_mul_f32_e32 v128, 0x3fb8aa3b, v121
	v_fma_f32 v134, v120, s14, -v127
	v_rndne_f32_e32 v135, v127
	v_sub_f32_e32 v122, v122, v51
	v_mul_f32_e32 v129, 0x3fb8aa3b, v126
	v_fma_f32 v136, v121, s14, -v128
	v_rndne_f32_e32 v137, v128
	v_fmac_f32_e32 v134, 0x32a5705f, v120
	v_sub_f32_e32 v127, v127, v135
	v_sub_f32_e32 v123, v123, v51
	v_mul_f32_e32 v130, 0x3fb8aa3b, v122
	v_fma_f32 v138, v126, s14, -v129
	v_rndne_f32_e32 v139, v129
	v_fmac_f32_e32 v136, 0x32a5705f, v121
	v_sub_f32_e32 v128, v128, v137
	v_add_f32_e32 v127, v127, v134
	v_sub_f32_e32 v103, v103, v51
	v_mul_f32_e32 v131, 0x3fb8aa3b, v123
	v_fma_f32 v140, v122, s14, -v130
	v_rndne_f32_e32 v141, v130
	v_cvt_i32_f32_e32 v135, v135
	v_fmac_f32_e32 v138, 0x32a5705f, v126
	v_sub_f32_e32 v129, v129, v139
	v_add_f32_e32 v128, v128, v136
	v_exp_f32_e32 v127, v127
	v_sub_f32_e32 v124, v124, v51
	v_mul_f32_e32 v132, 0x3fb8aa3b, v103
	v_fma_f32 v142, v123, s14, -v131
	v_rndne_f32_e32 v143, v131
	v_cvt_i32_f32_e32 v137, v137
	v_fmac_f32_e32 v140, 0x32a5705f, v122
	v_sub_f32_e32 v130, v130, v141
	v_add_f32_e32 v129, v129, v138
	v_exp_f32_e32 v128, v128
	v_mul_f32_e32 v133, 0x3fb8aa3b, v124
	v_fma_f32 v144, v103, s14, -v132
	v_rndne_f32_e32 v145, v132
	v_cvt_i32_f32_e32 v139, v139
	v_fmac_f32_e32 v142, 0x32a5705f, v123
	v_sub_f32_e32 v131, v131, v143
	v_add_f32_e32 v130, v130, v140
	v_exp_f32_e32 v129, v129
	v_fma_f32 v146, v124, s14, -v133
	v_rndne_f32_e32 v147, v133
	v_cvt_i32_f32_e32 v141, v141
	v_fmac_f32_e32 v144, 0x32a5705f, v103
	v_sub_f32_e32 v132, v132, v145
	v_add_f32_e32 v131, v131, v142
	v_exp_f32_e32 v130, v130
	v_cvt_i32_f32_e32 v143, v143
	v_fmac_f32_e32 v146, 0x32a5705f, v124
	v_sub_f32_e32 v133, v133, v147
	v_add_f32_e32 v132, v132, v144
	v_exp_f32_e32 v131, v131
	v_ldexp_f32 v127, v127, v135
	v_cmp_ngt_f32_e32 vcc, s15, v120
	v_cvt_i32_f32_e32 v145, v145
	v_add_f32_e32 v133, v133, v146
	v_exp_f32_e32 v132, v132
	v_ldexp_f32 v128, v128, v137
	v_cndmask_b32_e32 v127, 0, v127, vcc
	v_cmp_ngt_f32_e32 vcc, s15, v121
	v_cvt_i32_f32_e32 v147, v147
	v_exp_f32_e32 v133, v133
	v_ldexp_f32 v129, v129, v139
	v_cndmask_b32_e32 v128, 0, v128, vcc
	v_cmp_ngt_f32_e32 vcc, s15, v126
	v_ldexp_f32 v130, v130, v141
	v_ldexp_f32 v131, v131, v143
	v_cndmask_b32_e32 v129, 0, v129, vcc
	v_cmp_ngt_f32_e32 vcc, s15, v122
	v_ldexp_f32 v132, v132, v145
	v_ldexp_f32 v133, v133, v147
	v_cndmask_b32_e32 v130, 0, v130, vcc
	v_cmp_ngt_f32_e32 vcc, s15, v123
	v_sub_f32_e32 v125, v125, v51
	v_sub_f32_e32 v69, v69, v51
	v_cndmask_b32_e32 v131, 0, v131, vcc
	v_cmp_ngt_f32_e32 vcc, s15, v103
	s_waitcnt lgkmcnt(0)
	s_barrier
	v_cndmask_b32_e32 v132, 0, v132, vcc
	v_cmp_ngt_f32_e32 vcc, s15, v124
	s_nop 1
	v_cndmask_b32_e32 v133, 0, v133, vcc
	v_cmp_nlt_f32_e32 vcc, s16, v120
	s_nop 1
	v_cndmask_b32_e32 v120, v101, v127, vcc
	v_cmp_nlt_f32_e32 vcc, s16, v121
	;; [unrolled: 3-line block ×3, first 2 shown]
	v_mul_f32_e32 v128, 0x3fb8aa3b, v125
	s_nop 0
	v_cndmask_b32_e32 v126, v101, v129, vcc
	v_cmp_nlt_f32_e32 vcc, s16, v122
	v_fma_f32 v129, v125, s14, -v128
	v_fmac_f32_e32 v129, 0x32a5705f, v125
	v_cndmask_b32_e32 v122, v101, v130, vcc
	v_rndne_f32_e32 v130, v128
	v_cmp_nlt_f32_e32 vcc, s16, v123
	v_sub_f32_e32 v128, v128, v130
	v_add_f32_e32 v128, v128, v129
	v_cndmask_b32_e32 v123, v101, v131, vcc
	v_cmp_nlt_f32_e32 vcc, s16, v103
	v_cvt_i32_f32_e32 v129, v130
	v_mul_f32_e32 v130, 0x3fb8aa3b, v69
	v_cndmask_b32_e32 v127, v101, v132, vcc
	v_fma_f32 v131, v69, s14, -v130
	v_rndne_f32_e32 v132, v130
	v_fmac_f32_e32 v131, 0x32a5705f, v69
	v_sub_f32_e32 v130, v130, v132
	v_exp_f32_e32 v128, v128
	v_add_f32_e32 v130, v130, v131
	v_exp_f32_e32 v130, v130
	v_cvt_i32_f32_e32 v131, v132
	v_cmp_nlt_f32_e32 vcc, s16, v124
	v_ldexp_f32 v128, v128, v129
	v_add_f32_e32 v103, v120, v121
	v_cndmask_b32_e32 v124, v101, v133, vcc
	v_cmp_ngt_f32_e32 vcc, s15, v125
	v_ldexp_f32 v129, v130, v131
	v_add_f32_e32 v103, v126, v103
	v_cndmask_b32_e32 v128, 0, v128, vcc
	v_cmp_ngt_f32_e32 vcc, s15, v69
	v_add_f32_e32 v103, v122, v103
	v_add_f32_e32 v103, v123, v103
	v_cndmask_b32_e32 v129, 0, v129, vcc
	v_cmp_nlt_f32_e32 vcc, s16, v69
	v_add_f32_e32 v103, v127, v103
	v_add_f32_e32 v103, v124, v103
	v_cndmask_b32_e32 v129, v101, v129, vcc
	v_cmp_le_f32_e32 vcc, s17, v69
	s_nop 1
	v_cndmask_b32_e32 v129, 0, v129, vcc
	v_cvt_f16_f32_e32 v130, v129
	v_cmp_nlt_f32_e32 vcc, s16, v125
	s_nop 1
	v_cndmask_b32_e32 v125, v101, v128, vcc
	v_add_f32_e32 v69, v125, v103
	v_fmac_f32_e32 v69, v102, v129
	v_mul_u32_u24_e32 v102, 0x10001, v130
	v_pk_mul_f16 v99, v99, v102
	v_pk_mul_f16 v97, v97, v102
	;; [unrolled: 1-line block ×14, first 2 shown]
	ds_read_u16 v52, v95 offset:544
	ds_read_u16 v106, v95 offset:576
	ds_read_u16 v107, v95 offset:608
	ds_read_u16 v108, v95 offset:640
	ds_read_u16 v109, v95 offset:672
	ds_read_u16 v110, v95 offset:704
	ds_read_u16 v111, v95 offset:736
	ds_read_u16 v112, v95 offset:768
	ds_read_u16 v53, v96
	ds_read_u16 v113, v96 offset:32
	ds_read_u16 v114, v96 offset:64
	;; [unrolled: 1-line block ×7, first 2 shown]
	v_pk_mul_f16 v94, v94, v102
	v_pk_mul_f16 v93, v93, v102
	v_cvt_f32_f16_e32 v104, v99
	v_cvt_f32_f16_sdwa v99, v99 dst_sel:DWORD dst_unused:UNUSED_PAD src0_sel:WORD_1
	v_cvt_f32_f16_e32 v105, v97
	v_cvt_f32_f16_sdwa v97, v97 dst_sel:DWORD dst_unused:UNUSED_PAD src0_sel:WORD_1
	s_waitcnt lgkmcnt(7)
	v_perm_b32 v103, v53, v52, s18
	ds_read_u16 v52, v95
	ds_read_u16 v130, v95 offset:32
	ds_read_u16 v131, v95 offset:64
	;; [unrolled: 1-line block ×15, first 2 shown]
	s_waitcnt lgkmcnt(7)
	v_perm_b32 v102, v53, v52, s18
	v_cvt_pk_f16_f32 v53, v126, v122
	v_cvt_pk_f16_f32 v52, v120, v121
	v_accvgpr_write_b32 a0, v104
	v_accvgpr_write_b32 a1, v99
	;; [unrolled: 1-line block ×4, first 2 shown]
	v_cvt_pk_f16_f32 v105, v124, v125
	v_cvt_f32_f16_e32 v124, v93
	v_mfma_f32_16x16x16_f16 a[0:3], v[102:103], v[52:53], a[0:3]
	v_cvt_f32_f16_sdwa v93, v93 dst_sel:DWORD dst_unused:UNUSED_PAD src0_sel:WORD_1
	v_cvt_f32_f16_sdwa v125, v129 dst_sel:DWORD dst_unused:UNUSED_PAD src0_sel:WORD_1
	v_cmp_lt_i32_e32 vcc, s76, v68
	s_and_b64 vcc, exec, vcc
	s_nop 3
	v_accvgpr_read_b32 v102, a2
	v_accvgpr_read_b32 v103, a3
	v_cvt_f16_f32_e32 v102, v102
	v_cvt_f16_f32_e32 v103, v103
	v_accvgpr_read_b32 v97, a0
	v_accvgpr_read_b32 v99, a1
	v_cvt_f16_f32_e32 v97, v97
	v_cvt_f16_f32_e32 v99, v99
	v_cvt_f32_f16_e32 v120, v102
	v_cvt_f32_f16_e32 v121, v103
	ds_read_u16 v102, v95 offset:9248
	ds_read_u16 v122, v95 offset:9280
	;; [unrolled: 1-line block ×16, first 2 shown]
	s_waitcnt lgkmcnt(7)
	v_perm_b32 v103, v103, v102, s18
	ds_read_u16 v102, v95 offset:8704
	ds_read_u16 v156, v95 offset:8736
	;; [unrolled: 1-line block ×16, first 2 shown]
	v_cvt_f32_f16_e32 v97, v97
	v_cvt_f32_f16_e32 v99, v99
	s_waitcnt lgkmcnt(7)
	v_perm_b32 v102, v104, v102, s18
	v_cvt_pk_f16_f32 v104, v123, v127
	v_accvgpr_write_b32 a0, v97
	v_accvgpr_write_b32 a1, v99
	;; [unrolled: 1-line block ×4, first 2 shown]
	v_cvt_f32_f16_e32 v123, v94
	v_cvt_f32_f16_sdwa v94, v94 dst_sel:DWORD dst_unused:UNUSED_PAD src0_sel:WORD_1
	v_mfma_f32_16x16x16_f16 a[0:3], v[102:103], v[104:105], a[0:3]
	v_perm_b32 v103, v113, v106, s18
	v_perm_b32 v102, v137, v130, s18
	s_waitcnt lgkmcnt(0)
	s_barrier
	s_nop 3
	v_accvgpr_read_b32 v97, a0
	v_accvgpr_read_b32 v99, a1
	;; [unrolled: 1-line block ×4, first 2 shown]
	v_accvgpr_write_b32 a0, v123
	v_accvgpr_write_b32 a1, v94
	;; [unrolled: 1-line block ×4, first 2 shown]
	v_cvt_f32_f16_sdwa v123, v128 dst_sel:DWORD dst_unused:UNUSED_PAD src0_sel:WORD_1
	v_cvt_f32_f16_e32 v124, v129
	v_mfma_f32_16x16x16_f16 a[0:3], v[102:103], v[52:53], a[0:3]
	v_cvt_pk_f16_f32 v99, v97, v99
	v_cvt_pk_f16_f32 v97, v120, v121
	s_nop 5
	v_accvgpr_read_b32 v93, a0
	v_accvgpr_read_b32 v94, a1
	;; [unrolled: 1-line block ×4, first 2 shown]
	v_cvt_f16_f32_e32 v93, v93
	v_cvt_f16_f32_e32 v94, v94
	;; [unrolled: 1-line block ×4, first 2 shown]
	v_cvt_f32_f16_e32 v93, v93
	v_cvt_f32_f16_e32 v94, v94
	;; [unrolled: 1-line block ×4, first 2 shown]
	v_perm_b32 v103, v149, v122, s18
	v_perm_b32 v102, v163, v156, s18
	v_accvgpr_write_b32 a0, v93
	v_accvgpr_write_b32 a1, v94
	;; [unrolled: 1-line block ×4, first 2 shown]
	v_cvt_f32_f16_e32 v93, v128
	s_nop 0
	v_mfma_f32_16x16x16_f16 a[0:3], v[102:103], v[104:105], a[0:3]
	v_perm_b32 v103, v114, v107, s18
	v_perm_b32 v102, v138, v131, s18
	s_nop 5
	v_accvgpr_read_b32 v94, a0
	v_accvgpr_read_b32 v106, a1
	;; [unrolled: 1-line block ×4, first 2 shown]
	v_accvgpr_write_b32 a0, v93
	v_accvgpr_write_b32 a1, v123
	;; [unrolled: 1-line block ×4, first 2 shown]
	v_cvt_f32_f16_sdwa v124, v92 dst_sel:DWORD dst_unused:UNUSED_PAD src0_sel:WORD_1
	v_cvt_f32_f16_e32 v125, v91
	v_mfma_f32_16x16x16_f16 a[0:3], v[102:103], v[52:53], a[0:3]
	v_cvt_f32_f16_sdwa v91, v91 dst_sel:DWORD dst_unused:UNUSED_PAD src0_sel:WORD_1
	v_cvt_pk_f16_f32 v94, v94, v106
	s_nop 5
	v_accvgpr_read_b32 v93, a0
	v_accvgpr_read_b32 v102, a1
	;; [unrolled: 1-line block ×4, first 2 shown]
	v_cvt_f16_f32_e32 v93, v93
	v_cvt_f16_f32_e32 v102, v102
	;; [unrolled: 1-line block ×4, first 2 shown]
	v_cvt_f32_f16_e32 v93, v93
	v_cvt_f32_f16_e32 v114, v102
	;; [unrolled: 1-line block ×4, first 2 shown]
	v_perm_b32 v103, v150, v126, s18
	v_perm_b32 v102, v164, v157, s18
	v_accvgpr_write_b32 a0, v93
	v_accvgpr_write_b32 a1, v114
	v_accvgpr_write_b32 a2, v123
	v_accvgpr_write_b32 a3, v107
	v_cvt_f32_f16_e32 v123, v92
	v_perm_b32 v93, v115, v108, s18
	v_mfma_f32_16x16x16_f16 a[0:3], v[102:103], v[104:105], a[0:3]
	v_perm_b32 v92, v139, v132, s18
	s_nop 6
	v_accvgpr_read_b32 v102, a0
	v_accvgpr_read_b32 v103, a1
	;; [unrolled: 1-line block ×4, first 2 shown]
	v_accvgpr_write_b32 a0, v123
	v_accvgpr_write_b32 a1, v124
	;; [unrolled: 1-line block ×4, first 2 shown]
	v_cvt_f32_f16_sdwa v124, v90 dst_sel:DWORD dst_unused:UNUSED_PAD src0_sel:WORD_1
	v_cvt_f32_f16_e32 v125, v89
	v_mfma_f32_16x16x16_f16 a[0:3], v[92:93], v[52:53], a[0:3]
	v_cvt_f32_f16_sdwa v89, v89 dst_sel:DWORD dst_unused:UNUSED_PAD src0_sel:WORD_1
	s_nop 6
	v_accvgpr_read_b32 v91, a0
	v_accvgpr_read_b32 v92, a1
	;; [unrolled: 1-line block ×4, first 2 shown]
	v_cvt_f16_f32_e32 v91, v91
	v_cvt_f16_f32_e32 v92, v92
	;; [unrolled: 1-line block ×4, first 2 shown]
	v_cvt_f32_f16_e32 v91, v91
	v_cvt_f32_f16_e32 v115, v92
	;; [unrolled: 1-line block ×4, first 2 shown]
	v_perm_b32 v93, v151, v144, s18
	v_perm_b32 v92, v165, v158, s18
	v_accvgpr_write_b32 a0, v91
	v_accvgpr_write_b32 a1, v115
	;; [unrolled: 1-line block ×4, first 2 shown]
	v_cvt_f32_f16_e32 v123, v90
	v_perm_b32 v91, v116, v109, s18
	v_mfma_f32_16x16x16_f16 a[0:3], v[92:93], v[104:105], a[0:3]
	v_perm_b32 v90, v140, v133, s18
	s_nop 6
	v_accvgpr_read_b32 v92, a0
	v_accvgpr_read_b32 v93, a1
	;; [unrolled: 1-line block ×4, first 2 shown]
	v_accvgpr_write_b32 a0, v123
	v_accvgpr_write_b32 a1, v124
	;; [unrolled: 1-line block ×4, first 2 shown]
	v_cvt_f32_f16_sdwa v124, v88 dst_sel:DWORD dst_unused:UNUSED_PAD src0_sel:WORD_1
	v_cvt_f32_f16_e32 v125, v87
	v_mfma_f32_16x16x16_f16 a[0:3], v[90:91], v[52:53], a[0:3]
	v_cvt_f32_f16_sdwa v87, v87 dst_sel:DWORD dst_unused:UNUSED_PAD src0_sel:WORD_1
	s_nop 6
	v_accvgpr_read_b32 v89, a0
	v_accvgpr_read_b32 v90, a1
	;; [unrolled: 1-line block ×4, first 2 shown]
	v_cvt_f16_f32_e32 v89, v89
	v_cvt_f16_f32_e32 v90, v90
	;; [unrolled: 1-line block ×4, first 2 shown]
	v_cvt_f32_f16_e32 v89, v89
	v_cvt_f32_f16_e32 v116, v90
	v_cvt_f32_f16_e32 v123, v91
	v_cvt_f32_f16_e32 v109, v109
	v_perm_b32 v91, v152, v145, s18
	v_perm_b32 v90, v166, v159, s18
	v_accvgpr_write_b32 a0, v89
	v_accvgpr_write_b32 a1, v116
	;; [unrolled: 1-line block ×4, first 2 shown]
	v_cvt_f32_f16_e32 v123, v88
	v_perm_b32 v89, v117, v110, s18
	v_mfma_f32_16x16x16_f16 a[0:3], v[90:91], v[104:105], a[0:3]
	v_perm_b32 v88, v141, v134, s18
	s_nop 6
	v_accvgpr_read_b32 v90, a0
	v_accvgpr_read_b32 v91, a1
	;; [unrolled: 1-line block ×4, first 2 shown]
	v_accvgpr_write_b32 a0, v123
	v_accvgpr_write_b32 a1, v124
	v_accvgpr_write_b32 a2, v125
	v_accvgpr_write_b32 a3, v87
	v_cvt_f32_f16_e32 v124, v84
	v_cvt_f32_f16_sdwa v125, v84 dst_sel:DWORD dst_unused:UNUSED_PAD src0_sel:WORD_1
	v_mfma_f32_16x16x16_f16 a[0:3], v[88:89], v[52:53], a[0:3]
	v_perm_b32 v84, v142, v135, s18
	s_nop 6
	v_accvgpr_read_b32 v87, a0
	v_accvgpr_read_b32 v88, a1
	v_accvgpr_read_b32 v89, a2
	v_accvgpr_read_b32 v110, a3
	v_cvt_f16_f32_e32 v87, v87
	v_cvt_f16_f32_e32 v88, v88
	;; [unrolled: 1-line block ×4, first 2 shown]
	v_cvt_f32_f16_e32 v87, v87
	v_cvt_f32_f16_e32 v117, v88
	;; [unrolled: 1-line block ×4, first 2 shown]
	v_perm_b32 v89, v153, v146, s18
	v_perm_b32 v88, v167, v160, s18
	v_accvgpr_write_b32 a0, v87
	v_accvgpr_write_b32 a1, v117
	;; [unrolled: 1-line block ×4, first 2 shown]
	v_cvt_f32_f16_e32 v117, v85
	v_cvt_f32_f16_sdwa v123, v85 dst_sel:DWORD dst_unused:UNUSED_PAD src0_sel:WORD_1
	v_mfma_f32_16x16x16_f16 a[0:3], v[88:89], v[104:105], a[0:3]
	v_perm_b32 v85, v118, v111, s18
	s_nop 6
	v_accvgpr_read_b32 v87, a0
	v_accvgpr_read_b32 v88, a1
	;; [unrolled: 1-line block ×4, first 2 shown]
	v_accvgpr_write_b32 a0, v117
	v_accvgpr_write_b32 a1, v123
	;; [unrolled: 1-line block ×4, first 2 shown]
	v_cvt_f32_f16_e32 v124, v82
	v_cvt_f32_f16_sdwa v82, v82 dst_sel:DWORD dst_unused:UNUSED_PAD src0_sel:WORD_1
	v_mfma_f32_16x16x16_f16 a[0:3], v[84:85], v[52:53], a[0:3]
	v_cvt_f32_f16_e32 v125, v81
	v_cvt_f32_f16_sdwa v81, v81 dst_sel:DWORD dst_unused:UNUSED_PAD src0_sel:WORD_1
	s_nop 5
	v_accvgpr_read_b32 v84, a0
	v_accvgpr_read_b32 v85, a1
	;; [unrolled: 1-line block ×4, first 2 shown]
	v_cvt_f16_f32_e32 v84, v84
	v_cvt_f16_f32_e32 v85, v85
	;; [unrolled: 1-line block ×4, first 2 shown]
	v_cvt_f32_f16_e32 v118, v84
	v_cvt_f32_f16_e32 v123, v85
	;; [unrolled: 1-line block ×4, first 2 shown]
	v_perm_b32 v85, v154, v147, s18
	v_perm_b32 v84, v168, v161, s18
	v_accvgpr_write_b32 a0, v118
	v_accvgpr_write_b32 a1, v123
	;; [unrolled: 1-line block ×4, first 2 shown]
	s_nop 1
	v_mfma_f32_16x16x16_f16 a[0:3], v[84:85], v[104:105], a[0:3]
	v_perm_b32 v85, v119, v112, s18
	v_perm_b32 v84, v143, v136, s18
	s_nop 5
	v_accvgpr_read_b32 v111, a0
	v_accvgpr_read_b32 v117, a1
	;; [unrolled: 1-line block ×4, first 2 shown]
	v_accvgpr_write_b32 a0, v124
	v_accvgpr_write_b32 a1, v82
	;; [unrolled: 1-line block ×4, first 2 shown]
	s_nop 1
	v_mfma_f32_16x16x16_f16 a[0:3], v[84:85], v[52:53], a[0:3]
	s_nop 7
	v_accvgpr_read_b32 v52, a0
	v_accvgpr_read_b32 v53, a1
	;; [unrolled: 1-line block ×4, first 2 shown]
	v_cvt_f16_f32_e32 v52, v52
	v_cvt_f16_f32_e32 v53, v53
	v_cvt_f16_f32_e32 v81, v81
	v_cvt_f16_f32_e32 v82, v82
	v_cvt_f32_f16_e32 v84, v52
	v_cvt_f32_f16_e32 v85, v53
	;; [unrolled: 1-line block ×4, first 2 shown]
	v_perm_b32 v53, v155, v148, s18
	v_perm_b32 v52, v169, v162, s18
	v_accvgpr_write_b32 a0, v84
	v_accvgpr_write_b32 a1, v85
	;; [unrolled: 1-line block ×4, first 2 shown]
	v_cvt_pk_f16_f32 v85, v87, v88
	v_cvt_pk_f16_f32 v84, v89, v110
	v_mfma_f32_16x16x16_f16 a[0:3], v[52:53], v[104:105], a[0:3]
	v_cvt_pk_f16_f32 v88, v90, v91
	v_cvt_pk_f16_f32 v87, v109, v116
	;; [unrolled: 1-line block ×7, first 2 shown]
	s_nop 0
	v_accvgpr_read_b32 v52, a0
	v_accvgpr_read_b32 v53, a1
	;; [unrolled: 1-line block ×4, first 2 shown]
	v_cvt_pk_f16_f32 v53, v52, v53
	v_cvt_pk_f16_f32 v52, v81, v82
	;; [unrolled: 1-line block ×4, first 2 shown]
	s_cbranch_vccz .LBB29_364
; %bb.360:                              ;   in Loop: Header=BB29_359 Depth=1
	v_mov_b32_e32 v102, v69
	v_mov_b32_e32 v69, v51
	s_ashr_i32 s7, s6, 31
	s_and_saveexec_b64 s[8:9], s[0:1]
	s_cbranch_execnz .LBB29_358
	s_branch .LBB29_359
.LBB29_361:
                                        ; implicit-def: $sgpr56_sgpr57
	s_load_dwordx2 s[54:55], s[0:1], 0x74
	v_cvt_f32_u32_e32 v1, s33
	s_branch .LBB29_2
.LBB29_362:
                                        ; implicit-def: $sgpr60_sgpr61
	s_load_dwordx2 s[44:45], s[0:1], 0x5c
	s_branch .LBB29_5
.LBB29_363:
	v_mov_b32_e32 v51, 0xfeffffff
	v_mov_b32_e32 v69, 0
	;; [unrolled: 1-line block ×18, first 2 shown]
.LBB29_364:
	s_lshl_b32 s0, s76, 6
	s_ashr_i32 s1, s0, 31
	v_cmp_gt_u32_e32 vcc, 4, v25
	s_and_saveexec_b64 s[6:7], vcc
	s_cbranch_execz .LBB29_366
; %bb.365:
	v_or_b32_e32 v27, s10, v25
	v_mul_hi_u32 v28, s44, v27
	v_add_u32_e32 v28, v27, v28
	v_lshrrev_b32_e32 v28, s45, v28
	s_lshl_b64 s[8:9], s[0:1], 1
	v_mul_lo_u32 v28, v28, s36
	s_add_u32 s4, s4, s8
	v_sub_u32_e32 v27, v27, v28
	s_addc_u32 s5, s5, s9
	v_lshlrev_b32_e32 v28, 2, v54
	v_mad_i64_i32 v[30:31], s[8:9], v27, s46, 0
	v_and_b32_e32 v28, 0x7c, v28
	v_lshl_add_u64 v[30:31], v[30:31], 1, s[4:5]
	v_mov_b32_e32 v29, 0
	v_lshl_add_u64 v[30:31], v[30:31], 0, v[28:29]
	global_load_dword v27, v[30:31], off
	v_mul_u32_u24_e32 v25, 0x90, v25
	v_add3_u32 v25, 0, v25, v28
	s_waitcnt vmcnt(0)
	ds_write_b32 v25, v27 offset:17408
.LBB29_366:
	s_or_b64 exec, exec, s[6:7]
	s_mul_hi_i32 s5, s0, s38
	s_mul_i32 s4, s0, s38
	s_lshl_b64 s[4:5], s[4:5], 2
	s_add_u32 s4, s12, s4
	s_addc_u32 s5, s13, s5
	v_mul_lo_u32 v28, s38, v66
	v_ashrrev_i32_e32 v27, 31, v26
	v_lshlrev_b32_e32 v25, 4, v54
	v_ashrrev_i32_e32 v29, 31, v28
	v_lshl_add_u64 v[26:27], v[26:27], 2, s[4:5]
	v_and_b32_e32 v34, 0x70, v25
	v_mov_b32_e32 v35, 0
	v_lshl_add_u64 v[36:37], v[26:27], 0, v[34:35]
	v_lshl_add_u64 v[26:27], v[28:29], 2, s[4:5]
	;; [unrolled: 1-line block ×3, first 2 shown]
	global_load_dwordx4 v[26:29], v[36:37], off offset:256
	global_load_dwordx4 v[30:33], v[38:39], off offset:256
	v_and_b32_e32 v48, 16, v65
	s_movk_i32 s6, 0x110
	v_mul_u32_u24_e32 v37, 0x110, v64
	v_mad_u32_u24 v38, v57, s6, 0
	v_mul_u32_u24_e32 v39, 0x110, v48
	v_mul_u32_u24_e32 v25, 0x110, v66
	v_add3_u32 v37, 0, v37, v34
	v_add3_u32 v50, v38, v58, v39
	;; [unrolled: 1-line block ×3, first 2 shown]
	v_lshl_add_u32 v49, v61, 2, v67
	v_mul_lo_u32 v36, s38, v49
	v_add_u32_e32 v64, 0x2000, v50
	s_lshl_b32 s1, s38, 4
	v_add_u32_e32 v34, s1, v36
	v_add_u32_e32 v38, s1, v34
	v_ashrrev_i32_e32 v39, 31, v38
	s_mul_hi_i32 s9, s0, s34
	s_mul_i32 s8, s0, s34
	s_lshl_b64 s[8:9], s[8:9], 2
	s_add_u32 s8, s3, s8
	s_addc_u32 s9, s11, s9
	s_lshl_b32 s0, s34, 4
	s_waitcnt vmcnt(1)
	ds_write_b128 v37, v[26:29]
	s_waitcnt vmcnt(0)
	ds_write_b128 v25, v[30:33]
	s_waitcnt lgkmcnt(0)
	s_barrier
	ds_read2_b64 v[26:29], v50 offset1:4
	v_ashrrev_i32_e32 v37, 31, v36
	ds_read2_b64 v[30:33], v64 offset0:64 offset1:68
	v_mov_b32_e32 v25, v35
	v_lshl_add_u64 v[36:37], v[36:37], 2, s[4:5]
	v_ashrrev_i32_e32 v35, 31, v34
	s_waitcnt lgkmcnt(1)
	v_mfma_f32_16x16x16_f16 a[0:3], v[26:27], v[20:21], 0
	v_lshl_add_u64 v[40:41], v[36:37], 0, v[24:25]
	v_lshl_add_u64 v[26:27], v[34:35], 2, s[4:5]
	ds_read2_b64 v[34:37], v50 offset0:8 offset1:12
	v_mfma_f32_16x16x16_f16 a[0:3], v[28:29], v[22:23], a[0:3]
	v_lshl_add_u64 v[42:43], v[26:27], 0, v[24:25]
	ds_read2_b64 v[26:29], v64 offset0:72 offset1:76
	s_waitcnt lgkmcnt(0)
	v_mfma_f32_16x16x16_f16 a[4:7], v[30:31], v[20:21], 0
	v_add_u32_e32 v20, s1, v38
	v_ashrrev_i32_e32 v21, 31, v20
	v_lshl_add_u64 v[20:21], v[20:21], 2, s[4:5]
	v_mfma_f32_16x16x16_f16 a[0:3], v[34:35], v[16:17], a[0:3]
	v_lshl_add_u64 v[46:47], v[20:21], 0, v[24:25]
	s_barrier
	v_mfma_f32_16x16x16_f16 a[4:7], v[32:33], v[22:23], a[4:7]
	v_lshl_add_u64 v[22:23], v[38:39], 2, s[4:5]
	v_lshl_add_u64 v[44:45], v[22:23], 0, v[24:25]
	global_load_dwordx4 v[20:23], v[40:41], off
	global_load_dwordx4 v[30:33], v[42:43], off
	v_mfma_f32_16x16x16_f16 a[0:3], v[36:37], v[18:19], a[0:3]
	global_load_dwordx4 v[34:37], v[44:45], off
	global_load_dwordx4 v[38:41], v[46:47], off
	s_movk_i32 s1, 0x90
	s_movk_i32 s4, 0x4400
	v_mfma_f32_16x16x16_f16 a[4:7], v[26:27], v[16:17], a[4:7]
	v_mul_u32_u24_e32 v16, 0x110, v49
	v_add3_u32 v16, 0, v16, v24
	v_mbcnt_hi_u32_b32 v17, -1, v73
	v_mfma_f32_16x16x16_f16 a[4:7], v[28:29], v[18:19], a[4:7]
	s_mov_b32 s5, 0xc2ce8ed0
	v_or_b32_e32 v46, 3, v62
	v_mul_u32_u24_e32 v46, 0x110, v46
	s_waitcnt vmcnt(3)
	ds_write_b128 v16, v[20:23]
	s_waitcnt vmcnt(2)
	ds_write_b128 v16, v[30:33] offset:4352
	s_waitcnt vmcnt(1)
	ds_write_b128 v16, v[34:37] offset:8704
	;; [unrolled: 2-line block ×3, first 2 shown]
	s_waitcnt lgkmcnt(0)
	s_barrier
	ds_read2_b64 v[18:21], v50 offset1:4
	ds_read2_b64 v[26:29], v64 offset0:64 offset1:68
	s_waitcnt lgkmcnt(1)
	v_mfma_f32_16x16x16_f16 a[0:3], v[18:19], v[12:13], a[0:3]
	v_and_b32_e32 v38, 0xfc, v62
	v_add_u32_e32 v22, v38, v48
	v_and_b32_e32 v23, 64, v17
	s_waitcnt lgkmcnt(0)
	v_mfma_f32_16x16x16_f16 a[4:7], v[26:27], v[12:13], a[4:7]
	v_lshrrev_b32_e32 v12, 3, v63
	v_mfma_f32_16x16x16_f16 a[0:3], v[20:21], v[14:15], a[0:3]
	ds_read2_b64 v[18:21], v50 offset0:8 offset1:12
	ds_read2_b64 v[30:33], v64 offset0:72 offset1:76
	v_mfma_f32_16x16x16_f16 a[4:7], v[28:29], v[14:15], a[4:7]
	s_waitcnt lgkmcnt(1)
	v_mfma_f32_16x16x16_f16 a[0:3], v[18:19], v[8:9], a[0:3]
	s_waitcnt lgkmcnt(0)
	v_mfma_f32_16x16x16_f16 a[4:7], v[30:31], v[8:9], a[4:7]
	v_mad_u32_u24 v8, v12, s1, 0
	ds_read2_b64 v[12:15], v50 offset0:16 offset1:20
	v_add_u16_e32 v9, v38, v48
	v_mfma_f32_16x16x16_f16 a[0:3], v[20:21], v[10:11], a[0:3]
	ds_read2_b64 v[18:21], v64 offset0:80 offset1:84
	v_lshrrev_b16_e32 v9, 1, v9
	v_lshlrev_b32_e32 v9, 2, v9
	v_mfma_f32_16x16x16_f16 a[4:7], v[32:33], v[10:11], a[4:7]
	v_lshl_add_u32 v10, v22, 1, v8
	v_add_u32_e32 v22, 64, v23
	v_add_u32_e32 v23, 0x4400, v10
	s_waitcnt lgkmcnt(1)
	v_mfma_f32_16x16x16_f16 a[0:3], v[12:13], v[4:5], a[0:3]
	v_add3_u32 v12, v8, v9, s4
	ds_read2_b64 v[8:11], v50 offset0:24 offset1:28
	ds_read2_b64 v[26:29], v64 offset0:88 offset1:92
	s_waitcnt lgkmcnt(0)
	v_mfma_f32_16x16x16_f16 a[4:7], v[18:19], v[4:5], a[4:7]
	s_barrier
	ds_read2_b32 v[12:13], v12 offset1:1
	v_mfma_f32_16x16x16_f16 a[0:3], v[14:15], v[6:7], a[0:3]
	v_xor_b32_e32 v30, 32, v17
	v_cmp_lt_i32_e32 vcc, v30, v22
	s_mov_b32 s4, 0x3fb8aa3b
	v_mfma_f32_16x16x16_f16 a[4:7], v[20:21], v[6:7], a[4:7]
	ds_read2_b32 v[6:7], v23 offset0:16 offset1:17
	s_waitcnt lgkmcnt(1)
	v_cvt_f32_f16_e32 v5, v12
	v_cndmask_b32_e32 v4, v17, v30, vcc
	v_mfma_f32_16x16x16_f16 a[0:3], v[8:9], v[0:1], a[0:3]
	v_cvt_f32_f16_sdwa v8, v12 dst_sel:DWORD dst_unused:UNUSED_PAD src0_sel:WORD_1
	s_waitcnt lgkmcnt(0)
	v_cvt_f32_f16_e32 v9, v6
	v_cvt_f32_f16_sdwa v6, v6 dst_sel:DWORD dst_unused:UNUSED_PAD src0_sel:WORD_1
	v_mfma_f32_16x16x16_f16 a[4:7], v[26:27], v[0:1], a[4:7]
	v_cvt_f32_f16_e32 v0, v13
	v_cvt_f32_f16_sdwa v1, v13 dst_sel:DWORD dst_unused:UNUSED_PAD src0_sel:WORD_1
	v_lshlrev_b32_e32 v4, 2, v4
	v_mfma_f32_16x16x16_f16 a[0:3], v[10:11], v[2:3], a[0:3]
	v_cvt_f32_f16_e32 v10, v7
	v_cvt_f32_f16_sdwa v7, v7 dst_sel:DWORD dst_unused:UNUSED_PAD src0_sel:WORD_1
	s_mov_b32 s1, 0x42b17218
	v_mfma_f32_16x16x16_f16 a[4:7], v[28:29], v[2:3], a[4:7]
	v_mul_u32_u24_e32 v38, 0x110, v38
	s_nop 2
	v_accvgpr_read_b32 v2, a0
	v_accvgpr_read_b32 v3, a1
	v_accvgpr_read_b32 v11, a2
	v_accvgpr_read_b32 v12, a3
	v_add_f32_e32 v5, v2, v5
	v_add_f32_e32 v8, v3, v8
	v_accvgpr_read_b32 v13, a4
	v_accvgpr_read_b32 v14, a5
	v_add_f32_e32 v0, v11, v0
	v_add_f32_e32 v1, v12, v1
	;; [unrolled: 1-line block ×4, first 2 shown]
	v_accvgpr_read_b32 v15, a6
	v_accvgpr_read_b32 v18, a7
	v_add_f32_e32 v9, v13, v9
	v_add_f32_e32 v13, v14, v6
	;; [unrolled: 1-line block ×4, first 2 shown]
	v_max3_f32 v2, v51, v2, v3
	v_add_f32_e32 v10, v15, v10
	v_add_f32_e32 v7, v18, v7
	;; [unrolled: 1-line block ×4, first 2 shown]
	v_max3_f32 v2, v2, v6, v11
	v_add_f32_e32 v15, 0x40051340, v10
	v_add_f32_e32 v18, 0x40051340, v7
	v_max3_f32 v2, v2, v12, v14
	v_max3_f32 v2, v2, v15, v18
	ds_bpermute_b32 v6, v4, v2
	v_xor_b32_e32 v3, 16, v17
	v_cmp_lt_i32_e32 vcc, v3, v22
	s_waitcnt lgkmcnt(0)
	v_max_f32_e32 v6, v6, v6
	v_cndmask_b32_e32 v3, v17, v3, vcc
	v_lshlrev_b32_e32 v3, 2, v3
	v_max_f32_e32 v2, v2, v6
	ds_bpermute_b32 v6, v3, v2
	v_mov_b32_e32 v17, 0x7f800000
	s_waitcnt lgkmcnt(0)
	v_max_f32_e32 v6, v6, v6
	v_max_f32_e32 v2, v2, v6
	v_sub_f32_e32 v5, v5, v2
	v_sub_f32_e32 v6, v8, v2
	;; [unrolled: 1-line block ×3, first 2 shown]
	v_mul_f32_e32 v0, 0x3fb8aa3b, v5
	v_sub_f32_e32 v12, v1, v2
	v_mul_f32_e32 v1, 0x3fb8aa3b, v6
	v_fma_f32 v18, v5, s4, -v0
	v_rndne_f32_e32 v19, v0
	v_mul_f32_e32 v11, 0x3fb8aa3b, v8
	v_fma_f32 v20, v6, s4, -v1
	v_rndne_f32_e32 v21, v1
	v_fmac_f32_e32 v18, 0x32a5705f, v5
	v_sub_f32_e32 v0, v0, v19
	v_mul_f32_e32 v14, 0x3fb8aa3b, v12
	v_fma_f32 v22, v8, s4, -v11
	v_rndne_f32_e32 v23, v11
	v_fmac_f32_e32 v20, 0x32a5705f, v6
	v_sub_f32_e32 v1, v1, v21
	v_add_f32_e32 v0, v0, v18
	v_fma_f32 v26, v12, s4, -v14
	v_rndne_f32_e32 v27, v14
	v_cvt_i32_f32_e32 v19, v19
	v_fmac_f32_e32 v22, 0x32a5705f, v8
	v_sub_f32_e32 v11, v11, v23
	v_add_f32_e32 v1, v1, v20
	v_exp_f32_e32 v0, v0
	v_cvt_i32_f32_e32 v21, v21
	v_fmac_f32_e32 v26, 0x32a5705f, v12
	v_sub_f32_e32 v14, v14, v27
	v_add_f32_e32 v11, v11, v22
	v_exp_f32_e32 v1, v1
	v_cvt_i32_f32_e32 v23, v23
	v_add_f32_e32 v14, v14, v26
	v_exp_f32_e32 v11, v11
	v_sub_f32_e32 v9, v9, v2
	v_cvt_i32_f32_e32 v27, v27
	v_exp_f32_e32 v14, v14
	v_mul_f32_e32 v15, 0x3fb8aa3b, v9
	v_ldexp_f32 v0, v0, v19
	v_cmp_ngt_f32_e32 vcc, s5, v5
	v_fma_f32 v28, v9, s4, -v15
	v_rndne_f32_e32 v29, v15
	v_ldexp_f32 v1, v1, v21
	v_cndmask_b32_e32 v0, 0, v0, vcc
	v_cmp_ngt_f32_e32 vcc, s5, v6
	v_fmac_f32_e32 v28, 0x32a5705f, v9
	v_sub_f32_e32 v15, v15, v29
	v_ldexp_f32 v11, v11, v23
	v_cndmask_b32_e32 v1, 0, v1, vcc
	v_cmp_ngt_f32_e32 vcc, s5, v8
	v_add_f32_e32 v15, v15, v28
	v_ldexp_f32 v14, v14, v27
	v_cndmask_b32_e32 v18, 0, v11, vcc
	v_cmp_ngt_f32_e32 vcc, s5, v12
	v_cvt_i32_f32_e32 v29, v29
	v_exp_f32_e32 v15, v15
	v_cndmask_b32_e32 v14, 0, v14, vcc
	v_cmp_nlt_f32_e32 vcc, s1, v5
	v_sub_f32_e32 v13, v13, v2
	v_sub_f32_e32 v7, v7, v2
	v_cndmask_b32_e32 v0, v17, v0, vcc
	v_cmp_nlt_f32_e32 vcc, s1, v6
	v_ldexp_f32 v6, v15, v29
	s_nop 0
	v_cndmask_b32_e32 v11, v17, v1, vcc
	v_cmp_nlt_f32_e32 vcc, s1, v8
	v_mul_f32_e32 v8, 0x3fb8aa3b, v13
	v_add_f32_e32 v5, v0, v11
	v_cndmask_b32_e32 v1, v17, v18, vcc
	v_cmp_nlt_f32_e32 vcc, s1, v12
	v_add_f32_e32 v5, v1, v5
	v_cvt_pk_f16_f32 v0, v0, v11
	v_cndmask_b32_e32 v12, v17, v14, vcc
	v_cmp_ngt_f32_e32 vcc, s5, v9
	v_rndne_f32_e32 v14, v8
	v_cvt_i32_f32_e32 v40, v14
	v_cndmask_b32_e32 v6, 0, v6, vcc
	v_cmp_nlt_f32_e32 vcc, s1, v9
	v_fma_f32 v9, v13, s4, -v8
	v_fmac_f32_e32 v9, 0x32a5705f, v13
	v_sub_f32_e32 v8, v8, v14
	v_add_f32_e32 v8, v8, v9
	v_exp_f32_e32 v39, v8
	v_mul_lo_u32 v8, s34, v49
	v_ashrrev_i32_e32 v9, 31, v8
	v_lshl_add_u64 v[14:15], v[8:9], 2, s[8:9]
	v_add_u32_e32 v8, s0, v8
	v_ashrrev_i32_e32 v9, 31, v8
	v_lshl_add_u64 v[18:19], v[8:9], 2, s[8:9]
	v_add_u32_e32 v8, s0, v8
	v_ashrrev_i32_e32 v9, 31, v8
	v_lshl_add_u64 v[34:35], v[18:19], 0, v[24:25]
	v_lshl_add_u64 v[18:19], v[8:9], 2, s[8:9]
	v_add_u32_e32 v8, s0, v8
	v_ashrrev_i32_e32 v9, 31, v8
	v_lshl_add_u64 v[14:15], v[14:15], 0, v[24:25]
	v_lshl_add_u64 v[8:9], v[8:9], 2, s[8:9]
	;; [unrolled: 1-line block ×4, first 2 shown]
	global_load_dwordx4 v[18:21], v[14:15], off
	global_load_dwordx4 v[22:25], v[34:35], off
	;; [unrolled: 1-line block ×4, first 2 shown]
	v_sub_f32_e32 v9, v10, v2
	v_mul_f32_e32 v10, 0x3fb8aa3b, v9
	v_fma_f32 v14, v9, s4, -v10
	v_rndne_f32_e32 v15, v10
	v_fmac_f32_e32 v14, 0x32a5705f, v9
	v_sub_f32_e32 v10, v10, v15
	v_add_f32_e32 v10, v10, v14
	v_exp_f32_e32 v10, v10
	v_cvt_i32_f32_e32 v14, v15
	v_cndmask_b32_e32 v6, v17, v6, vcc
	v_ldexp_f32 v8, v39, v40
	v_cmp_ngt_f32_e32 vcc, s5, v13
	s_mov_b32 s0, 0xc1a00000
	v_add_f32_e32 v5, v12, v5
	v_cndmask_b32_e32 v8, 0, v8, vcc
	v_cmp_nlt_f32_e32 vcc, s1, v13
	v_add_f32_e32 v5, v6, v5
	s_waitcnt vmcnt(3)
	ds_write_b128 v16, v[18:21]
	s_waitcnt vmcnt(2)
	ds_write_b128 v16, v[22:25] offset:4352
	s_waitcnt vmcnt(1)
	ds_write_b128 v16, v[26:29] offset:8704
	;; [unrolled: 2-line block ×3, first 2 shown]
	v_cndmask_b32_e32 v34, v17, v8, vcc
	v_ldexp_f32 v8, v10, v14
	v_cmp_ngt_f32_e32 vcc, s5, v9
	v_add_f32_e32 v5, v34, v5
	s_waitcnt lgkmcnt(0)
	v_cndmask_b32_e32 v8, 0, v8, vcc
	v_cmp_nlt_f32_e32 vcc, s1, v9
	s_barrier
	s_nop 0
	v_cndmask_b32_e32 v35, v17, v8, vcc
	v_mul_f32_e32 v8, 0x3fb8aa3b, v7
	v_fma_f32 v9, v7, s4, -v8
	v_rndne_f32_e32 v10, v8
	v_fmac_f32_e32 v9, 0x32a5705f, v7
	v_sub_f32_e32 v8, v8, v10
	v_add_f32_e32 v8, v8, v9
	v_cvt_i32_f32_e32 v9, v10
	v_sub_f32_e32 v10, v51, v2
	v_mul_f32_e32 v13, 0x3fb8aa3b, v10
	v_fma_f32 v14, v10, s4, -v13
	v_rndne_f32_e32 v15, v13
	v_fmac_f32_e32 v14, 0x32a5705f, v10
	v_sub_f32_e32 v13, v13, v15
	v_exp_f32_e32 v8, v8
	v_add_f32_e32 v13, v13, v14
	v_exp_f32_e32 v13, v13
	v_cvt_i32_f32_e32 v14, v15
	v_ldexp_f32 v8, v8, v9
	v_cmp_ngt_f32_e32 vcc, s5, v7
	v_add_f32_e32 v5, v35, v5
	v_ldexp_f32 v9, v13, v14
	v_cndmask_b32_e32 v8, 0, v8, vcc
	v_cmp_ngt_f32_e32 vcc, s5, v10
	v_cvt_pk_f16_f32 v1, v1, v12
	s_nop 0
	v_cndmask_b32_e32 v9, 0, v9, vcc
	v_cmp_nlt_f32_e32 vcc, s1, v10
	s_nop 1
	v_cndmask_b32_e32 v9, v17, v9, vcc
	v_cmp_le_f32_e32 vcc, s0, v10
	s_movk_i32 s0, 0x220
	v_mad_u32_u24 v16, v60, s0, 0
	v_cndmask_b32_e32 v9, 0, v9, vcc
	v_cvt_f16_f32_e32 v10, v9
	v_cmp_nlt_f32_e32 vcc, s1, v7
	v_add3_u32 v20, v16, v38, v59
	v_add3_u32 v16, v16, v46, v59
	v_mul_u32_u24_e32 v7, 0x10001, v10
	v_cndmask_b32_e32 v36, v17, v8, vcc
	v_pk_mul_f16 v37, v99, v7
	v_pk_mul_f16 v39, v97, v7
	v_add_f32_e32 v5, v36, v5
	v_cvt_f32_f16_e32 v21, v37
	v_cvt_f32_f16_sdwa v22, v37 dst_sel:DWORD dst_unused:UNUSED_PAD src0_sel:WORD_1
	v_cvt_f32_f16_e32 v23, v39
	v_cvt_f32_f16_sdwa v24, v39 dst_sel:DWORD dst_unused:UNUSED_PAD src0_sel:WORD_1
	s_mov_b32 s0, 0x5040100
	ds_read_u16 v18, v20 offset:544
	ds_read_u16 v25, v20 offset:576
	;; [unrolled: 1-line block ×8, first 2 shown]
	ds_read_u16 v19, v16
	ds_read_u16 v32, v16 offset:32
	ds_read_u16 v33, v16 offset:64
	;; [unrolled: 1-line block ×7, first 2 shown]
	v_fmac_f32_e32 v5, v69, v9
	v_pk_mul_f16 v40, v94, v7
	v_pk_mul_f16 v41, v93, v7
	v_pk_mul_f16 v42, v92, v7
	v_pk_mul_f16 v43, v91, v7
	v_pk_mul_f16 v44, v90, v7
	v_pk_mul_f16 v45, v89, v7
	v_pk_mul_f16 v17, v88, v7
	v_pk_mul_f16 v15, v87, v7
	v_pk_mul_f16 v14, v85, v7
	v_pk_mul_f16 v13, v84, v7
	v_pk_mul_f16 v10, v82, v7
	v_pk_mul_f16 v9, v81, v7
	v_pk_mul_f16 v8, v53, v7
	v_pk_mul_f16 v7, v52, v7
	s_waitcnt lgkmcnt(7)
	v_perm_b32 v19, v19, v18, s0
	ds_read_u16 v18, v20
	ds_read_u16 v48, v20 offset:32
	ds_read_u16 v49, v20 offset:64
	;; [unrolled: 1-line block ×15, first 2 shown]
	s_waitcnt lgkmcnt(7)
	v_perm_b32 v18, v60, v18, s0
	v_accvgpr_write_b32 a0, v21
	v_accvgpr_write_b32 a1, v22
	;; [unrolled: 1-line block ×4, first 2 shown]
	v_cvt_pk_f16_f32 v21, v35, v36
	ds_bpermute_b32 v4, v4, v5
	v_mfma_f32_16x16x16_f16 a[0:3], v[18:19], v[0:1], a[0:3]
	s_nop 7
	v_accvgpr_read_b32 v18, a2
	v_accvgpr_read_b32 v19, a3
	v_cvt_f16_f32_e32 v18, v18
	v_cvt_f16_f32_e32 v19, v19
	v_accvgpr_read_b32 v11, a0
	v_accvgpr_read_b32 v12, a1
	v_cvt_f16_f32_e32 v11, v11
	v_cvt_f16_f32_e32 v12, v12
	v_cvt_f32_f16_e32 v22, v18
	v_cvt_f32_f16_e32 v23, v19
	ds_read_u16 v18, v20 offset:9248
	ds_read_u16 v24, v20 offset:9280
	;; [unrolled: 1-line block ×16, first 2 shown]
	s_waitcnt lgkmcnt(7)
	v_perm_b32 v19, v19, v18, s0
	ds_read_u16 v16, v20 offset:8704
	ds_read_u16 v83, v20 offset:8736
	;; [unrolled: 1-line block ×16, first 2 shown]
	v_cvt_f32_f16_e32 v11, v11
	v_cvt_f32_f16_e32 v12, v12
	s_waitcnt lgkmcnt(7)
	v_perm_b32 v18, v18, v16, s0
	v_cvt_pk_f16_f32 v20, v6, v34
	v_accvgpr_write_b32 a0, v11
	v_accvgpr_write_b32 a1, v12
	;; [unrolled: 1-line block ×4, first 2 shown]
	v_cvt_f32_f16_e32 v6, v40
	v_cvt_f32_f16_sdwa v11, v40 dst_sel:DWORD dst_unused:UNUSED_PAD src0_sel:WORD_1
	v_mfma_f32_16x16x16_f16 a[0:3], v[18:19], v[20:21], a[0:3]
	v_cvt_f32_f16_e32 v12, v41
	v_cvt_f32_f16_sdwa v16, v41 dst_sel:DWORD dst_unused:UNUSED_PAD src0_sel:WORD_1
	v_perm_b32 v19, v32, v25, s0
	v_perm_b32 v18, v62, v48, s0
	v_accvgpr_write_b32 a4, v6
	v_accvgpr_write_b32 a5, v11
	;; [unrolled: 1-line block ×4, first 2 shown]
	s_waitcnt lgkmcnt(0)
	s_barrier
	v_mfma_f32_16x16x16_f16 a[4:7], v[18:19], v[0:1], a[4:7]
	v_perm_b32 v19, v76, v24, s0
	v_perm_b32 v18, v90, v83, s0
	s_nop 5
	v_accvgpr_read_b32 v6, a4
	v_accvgpr_read_b32 v11, a5
	;; [unrolled: 1-line block ×4, first 2 shown]
	v_cvt_f16_f32_e32 v6, v6
	v_cvt_f16_f32_e32 v11, v11
	;; [unrolled: 1-line block ×4, first 2 shown]
	v_cvt_f32_f16_e32 v6, v6
	v_cvt_f32_f16_e32 v11, v11
	;; [unrolled: 1-line block ×4, first 2 shown]
	v_accvgpr_write_b32 a4, v6
	v_accvgpr_write_b32 a5, v11
	;; [unrolled: 1-line block ×4, first 2 shown]
	v_cvt_f32_f16_e32 v6, v42
	v_cvt_f32_f16_sdwa v11, v42 dst_sel:DWORD dst_unused:UNUSED_PAD src0_sel:WORD_1
	v_mfma_f32_16x16x16_f16 a[4:7], v[18:19], v[20:21], a[4:7]
	v_cvt_f32_f16_e32 v12, v43
	v_cvt_f32_f16_sdwa v16, v43 dst_sel:DWORD dst_unused:UNUSED_PAD src0_sel:WORD_1
	v_perm_b32 v19, v33, v26, s0
	v_perm_b32 v18, v63, v49, s0
	v_accvgpr_write_b32 a8, v6
	v_accvgpr_write_b32 a9, v11
	;; [unrolled: 1-line block ×4, first 2 shown]
	s_nop 1
	v_mfma_f32_16x16x16_f16 a[8:11], v[18:19], v[0:1], a[8:11]
	v_perm_b32 v19, v77, v60, s0
	v_perm_b32 v18, v91, v84, s0
	s_nop 5
	v_accvgpr_read_b32 v6, a8
	v_accvgpr_read_b32 v11, a9
	;; [unrolled: 1-line block ×4, first 2 shown]
	v_cvt_f16_f32_e32 v6, v6
	v_cvt_f16_f32_e32 v11, v11
	;; [unrolled: 1-line block ×4, first 2 shown]
	v_cvt_f32_f16_e32 v6, v6
	v_cvt_f32_f16_e32 v11, v11
	;; [unrolled: 1-line block ×4, first 2 shown]
	v_accvgpr_write_b32 a8, v6
	v_accvgpr_write_b32 a9, v11
	;; [unrolled: 1-line block ×4, first 2 shown]
	v_cvt_f32_f16_e32 v6, v44
	v_cvt_f32_f16_sdwa v11, v44 dst_sel:DWORD dst_unused:UNUSED_PAD src0_sel:WORD_1
	v_mfma_f32_16x16x16_f16 a[8:11], v[18:19], v[20:21], a[8:11]
	v_cvt_f32_f16_e32 v12, v45
	v_cvt_f32_f16_sdwa v16, v45 dst_sel:DWORD dst_unused:UNUSED_PAD src0_sel:WORD_1
	v_perm_b32 v19, v37, v27, s0
	v_perm_b32 v18, v64, v50, s0
	v_accvgpr_write_b32 a12, v6
	v_accvgpr_write_b32 a13, v11
	;; [unrolled: 1-line block ×4, first 2 shown]
	s_nop 1
	v_mfma_f32_16x16x16_f16 a[12:15], v[18:19], v[0:1], a[12:15]
	v_perm_b32 v19, v78, v70, s0
	v_perm_b32 v18, v92, v85, s0
	s_nop 5
	v_accvgpr_read_b32 v6, a12
	v_accvgpr_read_b32 v11, a13
	;; [unrolled: 1-line block ×4, first 2 shown]
	v_cvt_f16_f32_e32 v6, v6
	v_cvt_f16_f32_e32 v11, v11
	;; [unrolled: 1-line block ×4, first 2 shown]
	v_cvt_f32_f16_e32 v6, v6
	v_cvt_f32_f16_e32 v11, v11
	;; [unrolled: 1-line block ×4, first 2 shown]
	v_accvgpr_write_b32 a12, v6
	v_accvgpr_write_b32 a13, v11
	;; [unrolled: 1-line block ×4, first 2 shown]
	v_cvt_f32_f16_e32 v6, v17
	v_cvt_f32_f16_sdwa v11, v17 dst_sel:DWORD dst_unused:UNUSED_PAD src0_sel:WORD_1
	v_cvt_f32_f16_e32 v12, v15
	v_cvt_f32_f16_sdwa v15, v15 dst_sel:DWORD dst_unused:UNUSED_PAD src0_sel:WORD_1
	v_perm_b32 v17, v38, v28, s0
	v_perm_b32 v16, v66, v51, s0
	v_accvgpr_write_b32 a16, v6
	v_accvgpr_write_b32 a17, v11
	;; [unrolled: 1-line block ×4, first 2 shown]
	v_mfma_f32_16x16x16_f16 a[12:15], v[18:19], v[20:21], a[12:15]
	s_nop 0
	v_mfma_f32_16x16x16_f16 a[16:19], v[16:17], v[0:1], a[16:19]
	v_perm_b32 v17, v79, v72, s0
	v_perm_b32 v16, v93, v86, s0
	s_nop 5
	v_accvgpr_read_b32 v6, a16
	v_accvgpr_read_b32 v11, a17
	;; [unrolled: 1-line block ×4, first 2 shown]
	v_cvt_f16_f32_e32 v6, v6
	v_cvt_f16_f32_e32 v11, v11
	;; [unrolled: 1-line block ×4, first 2 shown]
	v_cvt_f32_f16_e32 v6, v6
	v_cvt_f32_f16_e32 v11, v11
	;; [unrolled: 1-line block ×4, first 2 shown]
	v_accvgpr_write_b32 a16, v6
	v_accvgpr_write_b32 a17, v11
	;; [unrolled: 1-line block ×4, first 2 shown]
	v_cvt_f32_f16_e32 v6, v14
	v_cvt_f32_f16_sdwa v11, v14 dst_sel:DWORD dst_unused:UNUSED_PAD src0_sel:WORD_1
	v_cvt_f32_f16_e32 v14, v13
	v_cvt_f32_f16_sdwa v15, v13 dst_sel:DWORD dst_unused:UNUSED_PAD src0_sel:WORD_1
	v_perm_b32 v13, v39, v29, s0
	v_perm_b32 v12, v67, v52, s0
	v_accvgpr_write_b32 a20, v6
	v_accvgpr_write_b32 a21, v11
	;; [unrolled: 1-line block ×4, first 2 shown]
	v_mfma_f32_16x16x16_f16 a[16:19], v[16:17], v[20:21], a[16:19]
	s_nop 0
	v_mfma_f32_16x16x16_f16 a[20:23], v[12:13], v[0:1], a[20:23]
	s_nop 7
	v_accvgpr_read_b32 v6, a20
	v_accvgpr_read_b32 v11, a21
	v_accvgpr_read_b32 v12, a22
	v_accvgpr_read_b32 v13, a23
	v_cvt_f16_f32_e32 v6, v6
	v_cvt_f16_f32_e32 v11, v11
	;; [unrolled: 1-line block ×4, first 2 shown]
	v_cvt_f32_f16_e32 v6, v6
	v_cvt_f32_f16_e32 v11, v11
	;; [unrolled: 1-line block ×4, first 2 shown]
	v_perm_b32 v13, v80, v73, s0
	v_perm_b32 v12, v94, v87, s0
	v_accvgpr_write_b32 a20, v6
	v_accvgpr_write_b32 a21, v11
	;; [unrolled: 1-line block ×4, first 2 shown]
	v_cvt_f32_f16_e32 v6, v10
	v_perm_b32 v11, v46, v30, s0
	v_mfma_f32_16x16x16_f16 a[20:23], v[12:13], v[20:21], a[20:23]
	v_cvt_f32_f16_sdwa v12, v10 dst_sel:DWORD dst_unused:UNUSED_PAD src0_sel:WORD_1
	v_cvt_f32_f16_e32 v13, v9
	v_cvt_f32_f16_sdwa v9, v9 dst_sel:DWORD dst_unused:UNUSED_PAD src0_sel:WORD_1
	v_perm_b32 v10, v68, v53, s0
	v_accvgpr_write_b32 a24, v6
	v_accvgpr_write_b32 a25, v12
	;; [unrolled: 1-line block ×4, first 2 shown]
	s_nop 1
	v_mfma_f32_16x16x16_f16 a[24:27], v[10:11], v[0:1], a[24:27]
	s_nop 7
	v_accvgpr_read_b32 v6, a24
	v_accvgpr_read_b32 v9, a25
	;; [unrolled: 1-line block ×4, first 2 shown]
	v_cvt_f16_f32_e32 v6, v6
	v_cvt_f16_f32_e32 v9, v9
	;; [unrolled: 1-line block ×4, first 2 shown]
	v_cvt_f32_f16_e32 v6, v6
	v_cvt_f32_f16_e32 v9, v9
	;; [unrolled: 1-line block ×4, first 2 shown]
	v_perm_b32 v11, v81, v74, s0
	v_perm_b32 v10, v95, v88, s0
	v_accvgpr_write_b32 a24, v6
	v_accvgpr_write_b32 a25, v9
	;; [unrolled: 1-line block ×4, first 2 shown]
	v_cvt_f32_f16_e32 v9, v8
	v_cvt_f32_f16_sdwa v8, v8 dst_sel:DWORD dst_unused:UNUSED_PAD src0_sel:WORD_1
	v_mfma_f32_16x16x16_f16 a[24:27], v[10:11], v[20:21], a[24:27]
	v_cvt_f32_f16_e32 v10, v7
	v_cvt_f32_f16_sdwa v11, v7 dst_sel:DWORD dst_unused:UNUSED_PAD src0_sel:WORD_1
	v_perm_b32 v7, v47, v31, s0
	v_perm_b32 v6, v69, v59, s0
	v_accvgpr_write_b32 a28, v9
	v_accvgpr_write_b32 a29, v8
	v_accvgpr_write_b32 a30, v10
	v_accvgpr_write_b32 a31, v11
	s_nop 1
	v_mfma_f32_16x16x16_f16 a[28:31], v[6:7], v[0:1], a[28:31]
	s_nop 7
	v_accvgpr_read_b32 v0, a28
	v_accvgpr_read_b32 v1, a29
	;; [unrolled: 1-line block ×4, first 2 shown]
	v_cvt_f16_f32_e32 v0, v0
	v_cvt_f16_f32_e32 v1, v1
	;; [unrolled: 1-line block ×4, first 2 shown]
	v_cvt_f32_f16_e32 v8, v0
	v_cvt_f32_f16_e32 v9, v1
	;; [unrolled: 1-line block ×4, first 2 shown]
	v_perm_b32 v1, v82, v75, s0
	v_perm_b32 v0, v96, v89, s0
	v_accvgpr_write_b32 a28, v8
	v_accvgpr_write_b32 a29, v9
	;; [unrolled: 1-line block ×4, first 2 shown]
	v_cmp_gt_u32_e64 s[0:1], 16, v54
	s_nop 0
	v_mfma_f32_16x16x16_f16 a[28:31], v[0:1], v[20:21], a[28:31]
	v_add_f32_e32 v0, v5, v4
	ds_bpermute_b32 v1, v3, v0
	s_and_saveexec_b64 s[4:5], s[0:1]
	s_cbranch_execz .LBB29_368
; %bb.367:
	s_waitcnt lgkmcnt(0)
	v_add_f32_e32 v0, v0, v1
	v_or_b32_e32 v1, v65, v54
	v_mad_u32_u24 v1, v1, s6, 0
	ds_write2_b32 v1, v2, v0 offset0:64 offset1:65
.LBB29_368:
	s_or_b64 exec, exec, s[4:5]
	v_and_b32_e32 v0, 1, v61
	v_cmp_eq_u32_e32 vcc, 0, v0
	v_cmp_eq_u32_e64 s[4:5], 1, v0
	s_waitcnt lgkmcnt(0)
	s_barrier
	s_and_saveexec_b64 s[6:7], s[4:5]
	s_xor_b64 s[4:5], exec, s[6:7]
	s_cbranch_execz .LBB29_370
; %bb.369:
	s_barrier
                                        ; implicit-def: $vgpr71
                                        ; implicit-def: $vgpr56
                                        ; implicit-def: $vgpr3
.LBB29_370:
	s_andn2_saveexec_b64 s[6:7], s[4:5]
	s_cbranch_execz .LBB29_376
; %bb.371:
	v_or_b32_e32 v1, v65, v56
	s_movk_i32 s3, 0x110
	v_mad_u32_u24 v0, v1, s3, 0
	ds_read_b64 v[4:5], v0 offset:256
	s_mov_b32 s3, 0x3fb8aa3b
	s_mov_b32 s8, 0x42b17218
	s_waitcnt lgkmcnt(0)
	s_barrier
	ds_bpermute_b32 v0, v3, v4
	v_max_f32_e32 v2, v4, v4
	s_waitcnt lgkmcnt(0)
	v_max_f32_e32 v0, v0, v0
	v_max_f32_e32 v0, v2, v0
	v_sub_f32_e32 v2, v4, v0
	v_mul_f32_e32 v4, 0x3fb8aa3b, v2
	v_fma_f32 v6, v2, s3, -v4
	v_rndne_f32_e32 v7, v4
	v_fmamk_f32 v6, v2, 0x32a5705f, v6
	v_sub_f32_e32 v4, v4, v7
	v_add_f32_e32 v4, v4, v6
	v_cvt_i32_f32_e32 v7, v7
	v_exp_f32_e32 v4, v4
	s_mov_b32 s3, 0xc2ce8ed0
	v_cmp_ngt_f32_e64 s[4:5], s3, v2
	v_mov_b32_e32 v6, 0x7f800000
	v_ldexp_f32 v4, v4, v7
	v_cndmask_b32_e64 v4, 0, v4, s[4:5]
	v_cmp_nlt_f32_e64 s[4:5], s8, v2
	s_nop 1
	v_cndmask_b32_e64 v2, v6, v4, s[4:5]
	v_mul_f32_e32 v4, v5, v2
	ds_bpermute_b32 v3, v3, v4
	v_cmp_gt_u32_e64 s[4:5], 32, v54
	s_waitcnt lgkmcnt(0)
	v_fmac_f32_e32 v3, v5, v2
	s_and_saveexec_b64 s[8:9], s[4:5]
; %bb.372:
	v_mul_u32_u24_e32 v1, 0x110, v1
	v_add_u32_e32 v1, 0, v1
	ds_write_b64 v1, v[2:3] offset:256
; %bb.373:
	s_or_b64 exec, exec, s[8:9]
	s_and_saveexec_b64 s[4:5], s[0:1]
	s_cbranch_execz .LBB29_375
; %bb.374:
	s_add_i32 s0, s33, s2
	s_lshl_b32 s0, s0, 5
	s_mov_b32 s1, 0
	s_lshl_b64 s[0:1], s[0:1], 3
	s_add_u32 s0, s30, s0
	v_or_b32_e32 v1, v71, v54
	s_addc_u32 s1, s31, s1
	v_lshlrev_b32_e32 v2, 3, v1
	v_mov_b32_e32 v1, v3
	global_store_dwordx2 v2, v[0:1], s[0:1]
.LBB29_375:
	s_or_b64 exec, exec, s[4:5]
.LBB29_376:
	s_or_b64 exec, exec, s[6:7]
	v_accvgpr_read_b32 v0, a28
	v_accvgpr_read_b32 v1, a29
	v_accvgpr_read_b32 v31, a3
	v_cvt_pk_f16_f32 v0, v0, v1
	v_or_b32_e32 v1, v65, v57
	v_accvgpr_read_b32 v30, a2
	v_accvgpr_read_b32 v29, a1
	;; [unrolled: 1-line block ×9, first 2 shown]
	v_mul_u32_u24_e32 v1, 0x110, v1
	v_accvgpr_read_b32 v26, a6
	v_accvgpr_read_b32 v25, a5
	;; [unrolled: 1-line block ×20, first 2 shown]
	v_cvt_pk_f16_f32 v30, v30, v31
	v_cvt_pk_f16_f32 v28, v28, v29
	s_mov_b32 s3, 0
	s_movk_i32 s4, 0x110
	v_add3_u32 v1, 0, v58, v1
	v_cvt_pk_f16_f32 v26, v26, v27
	v_cvt_pk_f16_f32 v24, v24, v25
	;; [unrolled: 1-line block ×13, first 2 shown]
	ds_write2_b32 v1, v28, v30 offset1:1
	ds_write2_b32 v1, v24, v26 offset0:8 offset1:9
	ds_write2_b32 v1, v20, v22 offset0:16 offset1:17
	;; [unrolled: 1-line block ×7, first 2 shown]
	s_waitcnt lgkmcnt(0)
	s_barrier
	s_and_saveexec_b64 s[0:1], vcc
	s_cbranch_execz .LBB29_378
; %bb.377:
	s_lshl_b32 s2, s2, 11
	s_lshl_b64 s[6:7], s[2:3], 3
	s_add_u32 s5, s30, s6
	s_addc_u32 s6, s31, s7
	s_lshl_b32 s2, s33, 6
	s_lshl_b64 s[2:3], s[2:3], 3
	s_add_u32 s2, s5, s2
	v_bfe_u32 v7, v61, 1, 4
	s_movk_i32 s5, 0x3e0
	v_and_or_b32 v2, v61, s5, v7
	v_mad_u32_u24 v0, v2, s4, v55
	ds_read2st64_b32 v[0:1], v0 offset1:17
	v_mad_u32_u24 v2, v2, s4, 0
	ds_read2st64_b32 v[2:3], v2 offset0:1 offset1:18
	v_lshrrev_b32_e32 v6, 1, v61
	s_movk_i32 s5, 0x7e0
	s_waitcnt lgkmcnt(1)
	v_cvt_f32_f16_e32 v4, v0
	v_cvt_f32_f16_sdwa v5, v0 dst_sel:DWORD dst_unused:UNUSED_PAD src0_sel:WORD_1
	v_cvt_f32_f16_e32 v0, v1
	v_cvt_f32_f16_sdwa v1, v1 dst_sel:DWORD dst_unused:UNUSED_PAD src0_sel:WORD_1
	v_lshlrev_b32_e32 v8, 5, v61
	s_waitcnt lgkmcnt(0)
	v_pk_fma_f32 v[4:5], v[2:3], v[4:5], 0 op_sel_hi:[0,1,0]
	v_mov_b32_e32 v2, v3
	v_pk_fma_f32 v[0:1], v[2:3], v[0:1], v[4:5] op_sel_hi:[0,1,1]
	v_add_u32_e32 v4, 2, v6
	v_lshlrev_b32_e32 v2, 1, v4
	v_and_b32_e32 v3, 15, v4
	v_and_or_b32 v5, v2, s5, v3
	v_mad_u32_u24 v2, v5, s4, v55
	ds_read2st64_b32 v[2:3], v2 offset1:17
	s_addc_u32 s3, s6, s3
	v_add_lshl_u32 v8, v8, v54, 3
	global_store_dwordx2 v8, v[0:1], s[2:3]
	v_mad_u32_u24 v0, v5, s4, 0
	ds_read2st64_b32 v[0:1], v0 offset0:1 offset1:18
	v_lshlrev_b32_e32 v8, 6, v4
	s_waitcnt lgkmcnt(1)
	v_cvt_f32_f16_e32 v4, v2
	v_cvt_f32_f16_sdwa v5, v2 dst_sel:DWORD dst_unused:UNUSED_PAD src0_sel:WORD_1
	v_cvt_f32_f16_e32 v2, v3
	v_cvt_f32_f16_sdwa v3, v3 dst_sel:DWORD dst_unused:UNUSED_PAD src0_sel:WORD_1
	v_add_lshl_u32 v8, v8, v54, 3
	s_waitcnt lgkmcnt(0)
	v_pk_fma_f32 v[4:5], v[0:1], v[4:5], 0 op_sel_hi:[0,1,0]
	v_mov_b32_e32 v0, v1
	v_pk_fma_f32 v[0:1], v[0:1], v[2:3], v[4:5] op_sel_hi:[0,1,1]
	v_add_u32_e32 v4, 4, v6
	v_lshlrev_b32_e32 v2, 1, v4
	v_and_b32_e32 v3, 15, v4
	v_and_or_b32 v5, v2, s5, v3
	v_mad_u32_u24 v2, v5, s4, v55
	ds_read2st64_b32 v[2:3], v2 offset1:17
	global_store_dwordx2 v8, v[0:1], s[2:3]
	v_mad_u32_u24 v0, v5, s4, 0
	ds_read2st64_b32 v[0:1], v0 offset0:1 offset1:18
	v_lshlrev_b32_e32 v8, 6, v4
	s_waitcnt lgkmcnt(1)
	v_cvt_f32_f16_e32 v4, v2
	v_cvt_f32_f16_sdwa v5, v2 dst_sel:DWORD dst_unused:UNUSED_PAD src0_sel:WORD_1
	v_cvt_f32_f16_e32 v2, v3
	v_cvt_f32_f16_sdwa v3, v3 dst_sel:DWORD dst_unused:UNUSED_PAD src0_sel:WORD_1
	v_add_lshl_u32 v8, v8, v54, 3
	s_waitcnt lgkmcnt(0)
	v_pk_fma_f32 v[4:5], v[0:1], v[4:5], 0 op_sel_hi:[0,1,0]
	v_mov_b32_e32 v0, v1
	v_pk_fma_f32 v[0:1], v[0:1], v[2:3], v[4:5] op_sel_hi:[0,1,1]
	v_add_u32_e32 v4, 6, v6
	v_lshlrev_b32_e32 v2, 1, v4
	v_and_b32_e32 v3, 15, v4
	v_and_or_b32 v5, v2, s5, v3
	v_mad_u32_u24 v2, v5, s4, v55
	ds_read2st64_b32 v[2:3], v2 offset1:17
	;; [unrolled: 20-line block ×6, first 2 shown]
	global_store_dwordx2 v8, v[0:1], s[2:3]
	v_mad_u32_u24 v0, v5, s4, 0
	ds_read2st64_b32 v[0:1], v0 offset0:1 offset1:18
	v_lshlrev_b32_e32 v8, 6, v4
	s_waitcnt lgkmcnt(1)
	v_cvt_f32_f16_e32 v4, v2
	v_cvt_f32_f16_sdwa v5, v2 dst_sel:DWORD dst_unused:UNUSED_PAD src0_sel:WORD_1
	v_cvt_f32_f16_e32 v2, v3
	v_cvt_f32_f16_sdwa v3, v3 dst_sel:DWORD dst_unused:UNUSED_PAD src0_sel:WORD_1
	v_add_lshl_u32 v8, v8, v54, 3
	s_waitcnt lgkmcnt(0)
	v_pk_fma_f32 v[4:5], v[0:1], v[4:5], 0 op_sel_hi:[0,1,0]
	v_mov_b32_e32 v0, v1
	v_pk_fma_f32 v[0:1], v[0:1], v[2:3], v[4:5] op_sel_hi:[0,1,1]
	v_add_u32_e32 v4, 16, v6
	v_lshlrev_b32_e32 v2, 1, v4
	v_and_or_b32 v5, v2, s5, v7
	v_mad_u32_u24 v2, v5, s4, v55
	ds_read2st64_b32 v[2:3], v2 offset1:17
	global_store_dwordx2 v8, v[0:1], s[2:3]
	v_mad_u32_u24 v0, v5, s4, 0
	ds_read2st64_b32 v[0:1], v0 offset0:1 offset1:18
	v_lshlrev_b32_e32 v7, 6, v4
	s_waitcnt lgkmcnt(1)
	v_cvt_f32_f16_e32 v4, v2
	v_cvt_f32_f16_sdwa v5, v2 dst_sel:DWORD dst_unused:UNUSED_PAD src0_sel:WORD_1
	v_cvt_f32_f16_e32 v2, v3
	v_cvt_f32_f16_sdwa v3, v3 dst_sel:DWORD dst_unused:UNUSED_PAD src0_sel:WORD_1
	v_add_lshl_u32 v7, v7, v54, 3
	s_waitcnt lgkmcnt(0)
	v_pk_fma_f32 v[4:5], v[0:1], v[4:5], 0 op_sel_hi:[0,1,0]
	v_mov_b32_e32 v0, v1
	v_pk_fma_f32 v[0:1], v[0:1], v[2:3], v[4:5] op_sel_hi:[0,1,1]
	v_add_u32_e32 v4, 18, v6
	v_lshlrev_b32_e32 v2, 1, v4
	v_and_b32_e32 v3, 15, v4
	v_and_or_b32 v5, v2, s5, v3
	v_mad_u32_u24 v2, v5, s4, v55
	ds_read2st64_b32 v[2:3], v2 offset1:17
	global_store_dwordx2 v7, v[0:1], s[2:3]
	v_mad_u32_u24 v0, v5, s4, 0
	ds_read2st64_b32 v[0:1], v0 offset0:1 offset1:18
	v_lshlrev_b32_e32 v7, 6, v4
	s_waitcnt lgkmcnt(1)
	v_cvt_f32_f16_e32 v4, v2
	v_cvt_f32_f16_sdwa v5, v2 dst_sel:DWORD dst_unused:UNUSED_PAD src0_sel:WORD_1
	v_cvt_f32_f16_e32 v2, v3
	v_cvt_f32_f16_sdwa v3, v3 dst_sel:DWORD dst_unused:UNUSED_PAD src0_sel:WORD_1
	v_add_lshl_u32 v7, v7, v54, 3
	s_waitcnt lgkmcnt(0)
	v_pk_fma_f32 v[4:5], v[0:1], v[4:5], 0 op_sel_hi:[0,1,0]
	v_mov_b32_e32 v0, v1
	v_pk_fma_f32 v[0:1], v[0:1], v[2:3], v[4:5] op_sel_hi:[0,1,1]
	v_add_u32_e32 v4, 20, v6
	v_lshlrev_b32_e32 v2, 1, v4
	v_and_b32_e32 v3, 15, v4
	v_and_or_b32 v5, v2, s5, v3
	v_mad_u32_u24 v2, v5, s4, v55
	ds_read2st64_b32 v[2:3], v2 offset1:17
	global_store_dwordx2 v7, v[0:1], s[2:3]
	v_mad_u32_u24 v0, v5, s4, 0
	ds_read2st64_b32 v[0:1], v0 offset0:1 offset1:18
	v_lshlrev_b32_e32 v7, 6, v4
	s_waitcnt lgkmcnt(1)
	v_cvt_f32_f16_e32 v4, v2
	v_cvt_f32_f16_sdwa v5, v2 dst_sel:DWORD dst_unused:UNUSED_PAD src0_sel:WORD_1
	v_cvt_f32_f16_e32 v2, v3
	v_cvt_f32_f16_sdwa v3, v3 dst_sel:DWORD dst_unused:UNUSED_PAD src0_sel:WORD_1
	v_add_lshl_u32 v7, v7, v54, 3
	s_waitcnt lgkmcnt(0)
	v_pk_fma_f32 v[4:5], v[0:1], v[4:5], 0 op_sel_hi:[0,1,0]
	v_mov_b32_e32 v0, v1
	v_pk_fma_f32 v[0:1], v[0:1], v[2:3], v[4:5] op_sel_hi:[0,1,1]
	v_add_u32_e32 v4, 22, v6
	v_lshlrev_b32_e32 v2, 1, v4
	v_and_b32_e32 v3, 15, v4
	v_and_or_b32 v5, v2, s5, v3
	v_mad_u32_u24 v2, v5, s4, v55
	ds_read2st64_b32 v[2:3], v2 offset1:17
	global_store_dwordx2 v7, v[0:1], s[2:3]
	v_mad_u32_u24 v0, v5, s4, 0
	ds_read2st64_b32 v[0:1], v0 offset0:1 offset1:18
	v_lshlrev_b32_e32 v7, 6, v4
	s_waitcnt lgkmcnt(1)
	v_cvt_f32_f16_e32 v4, v2
	v_cvt_f32_f16_sdwa v5, v2 dst_sel:DWORD dst_unused:UNUSED_PAD src0_sel:WORD_1
	v_cvt_f32_f16_e32 v2, v3
	v_cvt_f32_f16_sdwa v3, v3 dst_sel:DWORD dst_unused:UNUSED_PAD src0_sel:WORD_1
	v_add_lshl_u32 v7, v7, v54, 3
	s_waitcnt lgkmcnt(0)
	v_pk_fma_f32 v[4:5], v[0:1], v[4:5], 0 op_sel_hi:[0,1,0]
	v_mov_b32_e32 v0, v1
	v_pk_fma_f32 v[0:1], v[0:1], v[2:3], v[4:5] op_sel_hi:[0,1,1]
	v_add_u32_e32 v4, 24, v6
	v_lshlrev_b32_e32 v2, 1, v4
	v_and_b32_e32 v3, 15, v4
	v_and_or_b32 v5, v2, s5, v3
	v_mad_u32_u24 v2, v5, s4, v55
	ds_read2st64_b32 v[2:3], v2 offset1:17
	global_store_dwordx2 v7, v[0:1], s[2:3]
	v_mad_u32_u24 v0, v5, s4, 0
	ds_read2st64_b32 v[0:1], v0 offset0:1 offset1:18
	v_lshlrev_b32_e32 v7, 6, v4
	s_waitcnt lgkmcnt(1)
	v_cvt_f32_f16_e32 v4, v2
	v_cvt_f32_f16_sdwa v5, v2 dst_sel:DWORD dst_unused:UNUSED_PAD src0_sel:WORD_1
	v_cvt_f32_f16_e32 v2, v3
	v_cvt_f32_f16_sdwa v3, v3 dst_sel:DWORD dst_unused:UNUSED_PAD src0_sel:WORD_1
	v_add_lshl_u32 v7, v7, v54, 3
	s_waitcnt lgkmcnt(0)
	v_pk_fma_f32 v[4:5], v[0:1], v[4:5], 0 op_sel_hi:[0,1,0]
	v_mov_b32_e32 v0, v1
	v_pk_fma_f32 v[0:1], v[0:1], v[2:3], v[4:5] op_sel_hi:[0,1,1]
	v_add_u32_e32 v4, 26, v6
	v_lshlrev_b32_e32 v2, 1, v4
	v_and_b32_e32 v3, 15, v4
	v_and_or_b32 v5, v2, s5, v3
	v_mad_u32_u24 v2, v5, s4, v55
	ds_read2st64_b32 v[2:3], v2 offset1:17
	global_store_dwordx2 v7, v[0:1], s[2:3]
	v_mad_u32_u24 v0, v5, s4, 0
	ds_read2st64_b32 v[0:1], v0 offset0:1 offset1:18
	v_lshlrev_b32_e32 v7, 6, v4
	s_waitcnt lgkmcnt(1)
	v_cvt_f32_f16_e32 v4, v2
	v_cvt_f32_f16_sdwa v5, v2 dst_sel:DWORD dst_unused:UNUSED_PAD src0_sel:WORD_1
	v_cvt_f32_f16_e32 v2, v3
	v_cvt_f32_f16_sdwa v3, v3 dst_sel:DWORD dst_unused:UNUSED_PAD src0_sel:WORD_1
	v_add_lshl_u32 v7, v7, v54, 3
	s_waitcnt lgkmcnt(0)
	v_pk_fma_f32 v[4:5], v[0:1], v[4:5], 0 op_sel_hi:[0,1,0]
	v_mov_b32_e32 v0, v1
	v_pk_fma_f32 v[0:1], v[0:1], v[2:3], v[4:5] op_sel_hi:[0,1,1]
	v_add_u32_e32 v4, 28, v6
	v_lshlrev_b32_e32 v2, 1, v4
	v_and_b32_e32 v3, 15, v4
	v_and_or_b32 v5, v2, s5, v3
	v_mad_u32_u24 v2, v5, s4, v55
	ds_read2st64_b32 v[2:3], v2 offset1:17
	global_store_dwordx2 v7, v[0:1], s[2:3]
	v_mad_u32_u24 v0, v5, s4, 0
	ds_read2st64_b32 v[0:1], v0 offset0:1 offset1:18
	v_lshlrev_b32_e32 v7, 6, v4
	s_waitcnt lgkmcnt(1)
	v_cvt_f32_f16_e32 v4, v2
	v_cvt_f32_f16_sdwa v5, v2 dst_sel:DWORD dst_unused:UNUSED_PAD src0_sel:WORD_1
	v_cvt_f32_f16_e32 v2, v3
	v_cvt_f32_f16_sdwa v3, v3 dst_sel:DWORD dst_unused:UNUSED_PAD src0_sel:WORD_1
	v_add_lshl_u32 v7, v7, v54, 3
	s_waitcnt lgkmcnt(0)
	v_pk_fma_f32 v[4:5], v[0:1], v[4:5], 0 op_sel_hi:[0,1,0]
	v_mov_b32_e32 v0, v1
	v_pk_fma_f32 v[0:1], v[0:1], v[2:3], v[4:5] op_sel_hi:[0,1,1]
	v_add_u32_e32 v4, 30, v6
	v_lshlrev_b32_e32 v2, 1, v4
	v_and_b32_e32 v3, 15, v4
	v_and_or_b32 v5, v2, s5, v3
	v_mad_u32_u24 v2, v5, s4, v55
	ds_read2st64_b32 v[2:3], v2 offset1:17
	global_store_dwordx2 v7, v[0:1], s[2:3]
	v_mad_u32_u24 v0, v5, s4, 0
	ds_read2st64_b32 v[0:1], v0 offset0:1 offset1:18
	v_lshlrev_b32_e32 v6, 6, v4
	s_waitcnt lgkmcnt(1)
	v_cvt_f32_f16_e32 v4, v2
	v_cvt_f32_f16_sdwa v5, v2 dst_sel:DWORD dst_unused:UNUSED_PAD src0_sel:WORD_1
	v_cvt_f32_f16_e32 v2, v3
	v_cvt_f32_f16_sdwa v3, v3 dst_sel:DWORD dst_unused:UNUSED_PAD src0_sel:WORD_1
	v_add_lshl_u32 v6, v6, v54, 3
	s_waitcnt lgkmcnt(0)
	v_pk_fma_f32 v[4:5], v[0:1], v[4:5], 0 op_sel_hi:[0,1,0]
	v_mov_b32_e32 v0, v1
	v_pk_fma_f32 v[0:1], v[0:1], v[2:3], v[4:5] op_sel_hi:[0,1,1]
	global_store_dwordx2 v6, v[0:1], s[2:3]
.LBB29_378:
	s_or_b64 exec, exec, s[0:1]
	s_barrier
.LBB29_379:
	s_endpgm
	.section	.rodata,"a",@progbits
	.p2align	6, 0x0
	.amdhsa_kernel _ZL18flash_attn_ext_f16ILi192ELi128ELi4ELi8ELb0ELb0EEvPKcS1_S1_S1_S1_PKiPfP15HIP_vector_typeIfLj2EEffffjfiS5_IjLj3EEiiiiiiiiiiiliiliiiiil
		.amdhsa_group_segment_fixed_size 0
		.amdhsa_private_segment_fixed_size 0
		.amdhsa_kernarg_size 464
		.amdhsa_user_sgpr_count 2
		.amdhsa_user_sgpr_dispatch_ptr 0
		.amdhsa_user_sgpr_queue_ptr 0
		.amdhsa_user_sgpr_kernarg_segment_ptr 1
		.amdhsa_user_sgpr_dispatch_id 0
		.amdhsa_user_sgpr_kernarg_preload_length 0
		.amdhsa_user_sgpr_kernarg_preload_offset 0
		.amdhsa_user_sgpr_private_segment_size 0
		.amdhsa_uses_dynamic_stack 0
		.amdhsa_enable_private_segment 0
		.amdhsa_system_sgpr_workgroup_id_x 1
		.amdhsa_system_sgpr_workgroup_id_y 0
		.amdhsa_system_sgpr_workgroup_id_z 0
		.amdhsa_system_sgpr_workgroup_info 0
		.amdhsa_system_vgpr_workitem_id 1
		.amdhsa_next_free_vgpr 288
		.amdhsa_next_free_sgpr 99
		.amdhsa_accum_offset 256
		.amdhsa_reserve_vcc 1
		.amdhsa_float_round_mode_32 0
		.amdhsa_float_round_mode_16_64 0
		.amdhsa_float_denorm_mode_32 3
		.amdhsa_float_denorm_mode_16_64 3
		.amdhsa_dx10_clamp 1
		.amdhsa_ieee_mode 1
		.amdhsa_fp16_overflow 0
		.amdhsa_tg_split 0
		.amdhsa_exception_fp_ieee_invalid_op 0
		.amdhsa_exception_fp_denorm_src 0
		.amdhsa_exception_fp_ieee_div_zero 0
		.amdhsa_exception_fp_ieee_overflow 0
		.amdhsa_exception_fp_ieee_underflow 0
		.amdhsa_exception_fp_ieee_inexact 0
		.amdhsa_exception_int_div_zero 0
	.end_amdhsa_kernel
	.section	.text._ZL18flash_attn_ext_f16ILi192ELi128ELi4ELi8ELb0ELb0EEvPKcS1_S1_S1_S1_PKiPfP15HIP_vector_typeIfLj2EEffffjfiS5_IjLj3EEiiiiiiiiiiiliiliiiiil,"axG",@progbits,_ZL18flash_attn_ext_f16ILi192ELi128ELi4ELi8ELb0ELb0EEvPKcS1_S1_S1_S1_PKiPfP15HIP_vector_typeIfLj2EEffffjfiS5_IjLj3EEiiiiiiiiiiiliiliiiiil,comdat
.Lfunc_end29:
	.size	_ZL18flash_attn_ext_f16ILi192ELi128ELi4ELi8ELb0ELb0EEvPKcS1_S1_S1_S1_PKiPfP15HIP_vector_typeIfLj2EEffffjfiS5_IjLj3EEiiiiiiiiiiiliiliiiiil, .Lfunc_end29-_ZL18flash_attn_ext_f16ILi192ELi128ELi4ELi8ELb0ELb0EEvPKcS1_S1_S1_S1_PKiPfP15HIP_vector_typeIfLj2EEffffjfiS5_IjLj3EEiiiiiiiiiiiliiliiiiil
                                        ; -- End function
	.set _ZL18flash_attn_ext_f16ILi192ELi128ELi4ELi8ELb0ELb0EEvPKcS1_S1_S1_S1_PKiPfP15HIP_vector_typeIfLj2EEffffjfiS5_IjLj3EEiiiiiiiiiiiliiliiiiil.num_vgpr, 256
	.set _ZL18flash_attn_ext_f16ILi192ELi128ELi4ELi8ELb0ELb0EEvPKcS1_S1_S1_S1_PKiPfP15HIP_vector_typeIfLj2EEffffjfiS5_IjLj3EEiiiiiiiiiiiliiliiiiil.num_agpr, 32
	.set _ZL18flash_attn_ext_f16ILi192ELi128ELi4ELi8ELb0ELb0EEvPKcS1_S1_S1_S1_PKiPfP15HIP_vector_typeIfLj2EEffffjfiS5_IjLj3EEiiiiiiiiiiiliiliiiiil.numbered_sgpr, 99
	.set _ZL18flash_attn_ext_f16ILi192ELi128ELi4ELi8ELb0ELb0EEvPKcS1_S1_S1_S1_PKiPfP15HIP_vector_typeIfLj2EEffffjfiS5_IjLj3EEiiiiiiiiiiiliiliiiiil.num_named_barrier, 0
	.set _ZL18flash_attn_ext_f16ILi192ELi128ELi4ELi8ELb0ELb0EEvPKcS1_S1_S1_S1_PKiPfP15HIP_vector_typeIfLj2EEffffjfiS5_IjLj3EEiiiiiiiiiiiliiliiiiil.private_seg_size, 0
	.set _ZL18flash_attn_ext_f16ILi192ELi128ELi4ELi8ELb0ELb0EEvPKcS1_S1_S1_S1_PKiPfP15HIP_vector_typeIfLj2EEffffjfiS5_IjLj3EEiiiiiiiiiiiliiliiiiil.uses_vcc, 1
	.set _ZL18flash_attn_ext_f16ILi192ELi128ELi4ELi8ELb0ELb0EEvPKcS1_S1_S1_S1_PKiPfP15HIP_vector_typeIfLj2EEffffjfiS5_IjLj3EEiiiiiiiiiiiliiliiiiil.uses_flat_scratch, 0
	.set _ZL18flash_attn_ext_f16ILi192ELi128ELi4ELi8ELb0ELb0EEvPKcS1_S1_S1_S1_PKiPfP15HIP_vector_typeIfLj2EEffffjfiS5_IjLj3EEiiiiiiiiiiiliiliiiiil.has_dyn_sized_stack, 0
	.set _ZL18flash_attn_ext_f16ILi192ELi128ELi4ELi8ELb0ELb0EEvPKcS1_S1_S1_S1_PKiPfP15HIP_vector_typeIfLj2EEffffjfiS5_IjLj3EEiiiiiiiiiiiliiliiiiil.has_recursion, 0
	.set _ZL18flash_attn_ext_f16ILi192ELi128ELi4ELi8ELb0ELb0EEvPKcS1_S1_S1_S1_PKiPfP15HIP_vector_typeIfLj2EEffffjfiS5_IjLj3EEiiiiiiiiiiiliiliiiiil.has_indirect_call, 0
	.section	.AMDGPU.csdata,"",@progbits
; Kernel info:
; codeLenInByte = 53764
; TotalNumSgprs: 105
; NumVgprs: 256
; NumAgprs: 32
; TotalNumVgprs: 288
; ScratchSize: 0
; MemoryBound: 0
; FloatMode: 240
; IeeeMode: 1
; LDSByteSize: 0 bytes/workgroup (compile time only)
; SGPRBlocks: 13
; VGPRBlocks: 35
; NumSGPRsForWavesPerEU: 105
; NumVGPRsForWavesPerEU: 288
; AccumOffset: 256
; Occupancy: 1
; WaveLimiterHint : 0
; COMPUTE_PGM_RSRC2:SCRATCH_EN: 0
; COMPUTE_PGM_RSRC2:USER_SGPR: 2
; COMPUTE_PGM_RSRC2:TRAP_HANDLER: 0
; COMPUTE_PGM_RSRC2:TGID_X_EN: 1
; COMPUTE_PGM_RSRC2:TGID_Y_EN: 0
; COMPUTE_PGM_RSRC2:TGID_Z_EN: 0
; COMPUTE_PGM_RSRC2:TIDIG_COMP_CNT: 1
; COMPUTE_PGM_RSRC3_GFX90A:ACCUM_OFFSET: 63
; COMPUTE_PGM_RSRC3_GFX90A:TG_SPLIT: 0
	.section	.text._ZL18flash_attn_ext_f16ILi192ELi128ELi4ELi8ELb1ELb0EEvPKcS1_S1_S1_S1_PKiPfP15HIP_vector_typeIfLj2EEffffjfiS5_IjLj3EEiiiiiiiiiiiliiliiiiil,"axG",@progbits,_ZL18flash_attn_ext_f16ILi192ELi128ELi4ELi8ELb1ELb0EEvPKcS1_S1_S1_S1_PKiPfP15HIP_vector_typeIfLj2EEffffjfiS5_IjLj3EEiiiiiiiiiiiliiliiiiil,comdat
	.globl	_ZL18flash_attn_ext_f16ILi192ELi128ELi4ELi8ELb1ELb0EEvPKcS1_S1_S1_S1_PKiPfP15HIP_vector_typeIfLj2EEffffjfiS5_IjLj3EEiiiiiiiiiiiliiliiiiil ; -- Begin function _ZL18flash_attn_ext_f16ILi192ELi128ELi4ELi8ELb1ELb0EEvPKcS1_S1_S1_S1_PKiPfP15HIP_vector_typeIfLj2EEffffjfiS5_IjLj3EEiiiiiiiiiiiliiliiiiil
	.p2align	8
	.type	_ZL18flash_attn_ext_f16ILi192ELi128ELi4ELi8ELb1ELb0EEvPKcS1_S1_S1_S1_PKiPfP15HIP_vector_typeIfLj2EEffffjfiS5_IjLj3EEiiiiiiiiiiiliiliiiiil,@function
_ZL18flash_attn_ext_f16ILi192ELi128ELi4ELi8ELb1ELb0EEvPKcS1_S1_S1_S1_PKiPfP15HIP_vector_typeIfLj2EEffffjfiS5_IjLj3EEiiiiiiiiiiiliiliiiiil: ; @_ZL18flash_attn_ext_f16ILi192ELi128ELi4ELi8ELb1ELb0EEvPKcS1_S1_S1_S1_PKiPfP15HIP_vector_typeIfLj2EEffffjfiS5_IjLj3EEiiiiiiiiiiiliiliiiiil
; %bb.0:
	s_add_u32 s8, s0, 0xd0
	s_addc_u32 s9, s1, 0
	s_getpc_b64 s[0:1]
	s_add_u32 s0, s0, _ZL14no_device_codePKciS0_iS0_@rel32@lo+4
	s_addc_u32 s1, s1, _ZL14no_device_codePKciS0_iS0_@rel32@hi+12
	v_mov_b32_e32 v0, 0x6cc
	s_mov_b32 s32, 0
	s_swappc_b64 s[30:31], s[0:1]
	.section	.rodata,"a",@progbits
	.p2align	6, 0x0
	.amdhsa_kernel _ZL18flash_attn_ext_f16ILi192ELi128ELi4ELi8ELb1ELb0EEvPKcS1_S1_S1_S1_PKiPfP15HIP_vector_typeIfLj2EEffffjfiS5_IjLj3EEiiiiiiiiiiiliiliiiiil
		.amdhsa_group_segment_fixed_size 0
		.amdhsa_private_segment_fixed_size 16
		.amdhsa_kernarg_size 464
		.amdhsa_user_sgpr_count 2
		.amdhsa_user_sgpr_dispatch_ptr 0
		.amdhsa_user_sgpr_queue_ptr 0
		.amdhsa_user_sgpr_kernarg_segment_ptr 1
		.amdhsa_user_sgpr_dispatch_id 0
		.amdhsa_user_sgpr_kernarg_preload_length 0
		.amdhsa_user_sgpr_kernarg_preload_offset 0
		.amdhsa_user_sgpr_private_segment_size 0
		.amdhsa_uses_dynamic_stack 0
		.amdhsa_enable_private_segment 1
		.amdhsa_system_sgpr_workgroup_id_x 1
		.amdhsa_system_sgpr_workgroup_id_y 0
		.amdhsa_system_sgpr_workgroup_id_z 0
		.amdhsa_system_sgpr_workgroup_info 0
		.amdhsa_system_vgpr_workitem_id 0
		.amdhsa_next_free_vgpr 52
		.amdhsa_next_free_sgpr 34
		.amdhsa_accum_offset 52
		.amdhsa_reserve_vcc 1
		.amdhsa_float_round_mode_32 0
		.amdhsa_float_round_mode_16_64 0
		.amdhsa_float_denorm_mode_32 3
		.amdhsa_float_denorm_mode_16_64 3
		.amdhsa_dx10_clamp 1
		.amdhsa_ieee_mode 1
		.amdhsa_fp16_overflow 0
		.amdhsa_tg_split 0
		.amdhsa_exception_fp_ieee_invalid_op 0
		.amdhsa_exception_fp_denorm_src 0
		.amdhsa_exception_fp_ieee_div_zero 0
		.amdhsa_exception_fp_ieee_overflow 0
		.amdhsa_exception_fp_ieee_underflow 0
		.amdhsa_exception_fp_ieee_inexact 0
		.amdhsa_exception_int_div_zero 0
	.end_amdhsa_kernel
	.section	.text._ZL18flash_attn_ext_f16ILi192ELi128ELi4ELi8ELb1ELb0EEvPKcS1_S1_S1_S1_PKiPfP15HIP_vector_typeIfLj2EEffffjfiS5_IjLj3EEiiiiiiiiiiiliiliiiiil,"axG",@progbits,_ZL18flash_attn_ext_f16ILi192ELi128ELi4ELi8ELb1ELb0EEvPKcS1_S1_S1_S1_PKiPfP15HIP_vector_typeIfLj2EEffffjfiS5_IjLj3EEiiiiiiiiiiiliiliiiiil,comdat
.Lfunc_end30:
	.size	_ZL18flash_attn_ext_f16ILi192ELi128ELi4ELi8ELb1ELb0EEvPKcS1_S1_S1_S1_PKiPfP15HIP_vector_typeIfLj2EEffffjfiS5_IjLj3EEiiiiiiiiiiiliiliiiiil, .Lfunc_end30-_ZL18flash_attn_ext_f16ILi192ELi128ELi4ELi8ELb1ELb0EEvPKcS1_S1_S1_S1_PKiPfP15HIP_vector_typeIfLj2EEffffjfiS5_IjLj3EEiiiiiiiiiiiliiliiiiil
                                        ; -- End function
	.set _ZL18flash_attn_ext_f16ILi192ELi128ELi4ELi8ELb1ELb0EEvPKcS1_S1_S1_S1_PKiPfP15HIP_vector_typeIfLj2EEffffjfiS5_IjLj3EEiiiiiiiiiiiliiliiiiil.num_vgpr, max(1, .L_ZL14no_device_codePKciS0_iS0_.num_vgpr)
	.set _ZL18flash_attn_ext_f16ILi192ELi128ELi4ELi8ELb1ELb0EEvPKcS1_S1_S1_S1_PKiPfP15HIP_vector_typeIfLj2EEffffjfiS5_IjLj3EEiiiiiiiiiiiliiliiiiil.num_agpr, max(0, .L_ZL14no_device_codePKciS0_iS0_.num_agpr)
	.set _ZL18flash_attn_ext_f16ILi192ELi128ELi4ELi8ELb1ELb0EEvPKcS1_S1_S1_S1_PKiPfP15HIP_vector_typeIfLj2EEffffjfiS5_IjLj3EEiiiiiiiiiiiliiliiiiil.numbered_sgpr, max(33, .L_ZL14no_device_codePKciS0_iS0_.numbered_sgpr)
	.set _ZL18flash_attn_ext_f16ILi192ELi128ELi4ELi8ELb1ELb0EEvPKcS1_S1_S1_S1_PKiPfP15HIP_vector_typeIfLj2EEffffjfiS5_IjLj3EEiiiiiiiiiiiliiliiiiil.num_named_barrier, max(0, .L_ZL14no_device_codePKciS0_iS0_.num_named_barrier)
	.set _ZL18flash_attn_ext_f16ILi192ELi128ELi4ELi8ELb1ELb0EEvPKcS1_S1_S1_S1_PKiPfP15HIP_vector_typeIfLj2EEffffjfiS5_IjLj3EEiiiiiiiiiiiliiliiiiil.private_seg_size, 0+max(.L_ZL14no_device_codePKciS0_iS0_.private_seg_size)
	.set _ZL18flash_attn_ext_f16ILi192ELi128ELi4ELi8ELb1ELb0EEvPKcS1_S1_S1_S1_PKiPfP15HIP_vector_typeIfLj2EEffffjfiS5_IjLj3EEiiiiiiiiiiiliiliiiiil.uses_vcc, or(1, .L_ZL14no_device_codePKciS0_iS0_.uses_vcc)
	.set _ZL18flash_attn_ext_f16ILi192ELi128ELi4ELi8ELb1ELb0EEvPKcS1_S1_S1_S1_PKiPfP15HIP_vector_typeIfLj2EEffffjfiS5_IjLj3EEiiiiiiiiiiiliiliiiiil.uses_flat_scratch, or(0, .L_ZL14no_device_codePKciS0_iS0_.uses_flat_scratch)
	.set _ZL18flash_attn_ext_f16ILi192ELi128ELi4ELi8ELb1ELb0EEvPKcS1_S1_S1_S1_PKiPfP15HIP_vector_typeIfLj2EEffffjfiS5_IjLj3EEiiiiiiiiiiiliiliiiiil.has_dyn_sized_stack, or(0, .L_ZL14no_device_codePKciS0_iS0_.has_dyn_sized_stack)
	.set _ZL18flash_attn_ext_f16ILi192ELi128ELi4ELi8ELb1ELb0EEvPKcS1_S1_S1_S1_PKiPfP15HIP_vector_typeIfLj2EEffffjfiS5_IjLj3EEiiiiiiiiiiiliiliiiiil.has_recursion, or(0, .L_ZL14no_device_codePKciS0_iS0_.has_recursion)
	.set _ZL18flash_attn_ext_f16ILi192ELi128ELi4ELi8ELb1ELb0EEvPKcS1_S1_S1_S1_PKiPfP15HIP_vector_typeIfLj2EEffffjfiS5_IjLj3EEiiiiiiiiiiiliiliiiiil.has_indirect_call, or(0, .L_ZL14no_device_codePKciS0_iS0_.has_indirect_call)
	.section	.AMDGPU.csdata,"",@progbits
; Kernel info:
; codeLenInByte = 48
; TotalNumSgprs: 40
; NumVgprs: 52
; NumAgprs: 0
; TotalNumVgprs: 52
; ScratchSize: 16
; MemoryBound: 0
; FloatMode: 240
; IeeeMode: 1
; LDSByteSize: 0 bytes/workgroup (compile time only)
; SGPRBlocks: 4
; VGPRBlocks: 6
; NumSGPRsForWavesPerEU: 40
; NumVGPRsForWavesPerEU: 52
; AccumOffset: 52
; Occupancy: 8
; WaveLimiterHint : 1
; COMPUTE_PGM_RSRC2:SCRATCH_EN: 1
; COMPUTE_PGM_RSRC2:USER_SGPR: 2
; COMPUTE_PGM_RSRC2:TRAP_HANDLER: 0
; COMPUTE_PGM_RSRC2:TGID_X_EN: 1
; COMPUTE_PGM_RSRC2:TGID_Y_EN: 0
; COMPUTE_PGM_RSRC2:TGID_Z_EN: 0
; COMPUTE_PGM_RSRC2:TIDIG_COMP_CNT: 0
; COMPUTE_PGM_RSRC3_GFX90A:ACCUM_OFFSET: 12
; COMPUTE_PGM_RSRC3_GFX90A:TG_SPLIT: 0
	.section	.text._ZL18flash_attn_ext_f16ILi256ELi256ELi4ELi8ELb0ELb0EEvPKcS1_S1_S1_S1_PKiPfP15HIP_vector_typeIfLj2EEffffjfiS5_IjLj3EEiiiiiiiiiiiliiliiiiil,"axG",@progbits,_ZL18flash_attn_ext_f16ILi256ELi256ELi4ELi8ELb0ELb0EEvPKcS1_S1_S1_S1_PKiPfP15HIP_vector_typeIfLj2EEffffjfiS5_IjLj3EEiiiiiiiiiiiliiliiiiil,comdat
	.globl	_ZL18flash_attn_ext_f16ILi256ELi256ELi4ELi8ELb0ELb0EEvPKcS1_S1_S1_S1_PKiPfP15HIP_vector_typeIfLj2EEffffjfiS5_IjLj3EEiiiiiiiiiiiliiliiiiil ; -- Begin function _ZL18flash_attn_ext_f16ILi256ELi256ELi4ELi8ELb0ELb0EEvPKcS1_S1_S1_S1_PKiPfP15HIP_vector_typeIfLj2EEffffjfiS5_IjLj3EEiiiiiiiiiiiliiliiiiil
	.p2align	8
	.type	_ZL18flash_attn_ext_f16ILi256ELi256ELi4ELi8ELb0ELb0EEvPKcS1_S1_S1_S1_PKiPfP15HIP_vector_typeIfLj2EEffffjfiS5_IjLj3EEiiiiiiiiiiiliiliiiiil,@function
_ZL18flash_attn_ext_f16ILi256ELi256ELi4ELi8ELb0ELb0EEvPKcS1_S1_S1_S1_PKiPfP15HIP_vector_typeIfLj2EEffffjfiS5_IjLj3EEiiiiiiiiiiiliiliiiiil: ; @_ZL18flash_attn_ext_f16ILi256ELi256ELi4ELi8ELb0ELb0EEvPKcS1_S1_S1_S1_PKiPfP15HIP_vector_typeIfLj2EEffffjfiS5_IjLj3EEiiiiiiiiiiiliiliiiiil
; %bb.0:
	s_load_dwordx2 s[4:5], s[0:1], 0x80
	s_load_dwordx4 s[36:39], s[0:1], 0x64
	s_load_dword s33, s[0:1], 0xd0
	s_mov_b32 s6, 0
	s_waitcnt lgkmcnt(0)
	s_abs_i32 s3, s5
	v_cvt_f32_u32_e32 v1, s3
	s_sub_i32 s9, 0, s3
	s_abs_i32 s8, s37
	s_xor_b32 s7, s37, s5
	v_rcp_iflag_f32_e32 v1, v1
	s_ashr_i32 s7, s7, 31
	v_mul_f32_e32 v1, 0x4f7ffffe, v1
	v_cvt_u32_f32_e32 v1, v1
	s_nop 0
	v_readfirstlane_b32 s10, v1
	s_mul_i32 s9, s9, s10
	s_mul_hi_u32 s9, s10, s9
	s_add_i32 s10, s10, s9
	s_mul_hi_u32 s9, s8, s10
	s_mul_i32 s10, s9, s3
	s_sub_i32 s8, s8, s10
	s_add_i32 s11, s9, 1
	s_sub_i32 s10, s8, s3
	s_cmp_ge_u32 s8, s3
	s_cselect_b32 s9, s11, s9
	s_cselect_b32 s8, s10, s8
	s_add_i32 s10, s9, 1
	s_cmp_ge_u32 s8, s3
	s_cselect_b32 s3, s10, s9
	s_add_i32 s4, s4, 63
	s_xor_b32 s3, s3, s7
	s_ashr_i32 s8, s4, 31
	s_sub_i32 s3, s3, s7
	s_lshr_b32 s7, s8, 26
	s_add_i32 s4, s4, s7
	s_ashr_i32 s81, s4, 6
	s_add_i32 s4, s36, 3
	s_lshr_b32 s77, s4, 2
	s_add_i32 s4, s3, 7
	s_ashr_i32 s7, s4, 31
	s_lshr_b32 s7, s7, 29
	s_add_i32 s4, s4, s7
	s_ashr_i32 s4, s4, 3
	s_mul_i32 s78, s77, s81
	s_mul_i32 s79, s78, s4
	;; [unrolled: 1-line block ×4, first 2 shown]
	s_ashr_i32 s11, s10, 31
	s_mul_i32 s4, s11, s2
	s_mul_hi_u32 s5, s10, s2
	s_add_i32 s7, s5, s4
	s_cmp_lg_u64 s[6:7], 0
	s_mul_i32 s6, s10, s2
	s_cbranch_scc0 .LBB31_315
; %bb.1:
	s_add_u32 s4, s33, 0
	s_addc_u32 s5, 0, 0
	s_xor_b64 s[8:9], s[4:5], 0
	v_cvt_f32_u32_e32 v1, s8
	v_cvt_f32_u32_e32 v2, s9
	s_sub_u32 s14, 0, s8
	s_subb_u32 s15, 0, s9
	v_fmamk_f32 v1, v2, 0x4f800000, v1
	v_rcp_f32_e32 v1, v1
	s_nop 0
	v_mul_f32_e32 v1, 0x5f7ffffc, v1
	v_mul_f32_e32 v2, 0x2f800000, v1
	v_trunc_f32_e32 v2, v2
	v_fmamk_f32 v1, v2, 0xcf800000, v1
	v_cvt_u32_f32_e32 v2, v2
	v_cvt_u32_f32_e32 v1, v1
	v_readfirstlane_b32 s16, v2
	v_readfirstlane_b32 s12, v1
	s_mul_i32 s13, s14, s16
	s_mul_hi_u32 s18, s14, s12
	s_mul_i32 s17, s15, s12
	s_add_i32 s13, s18, s13
	s_add_i32 s13, s13, s17
	s_mul_i32 s19, s14, s12
	s_mul_i32 s18, s12, s13
	s_mul_hi_u32 s20, s12, s19
	s_mul_hi_u32 s17, s12, s13
	s_add_u32 s18, s20, s18
	s_addc_u32 s17, 0, s17
	s_mul_hi_u32 s21, s16, s19
	s_mul_i32 s19, s16, s19
	s_add_u32 s18, s18, s19
	s_mul_hi_u32 s20, s16, s13
	s_addc_u32 s17, s17, s21
	s_addc_u32 s18, s20, 0
	s_mul_i32 s13, s16, s13
	s_add_u32 s13, s17, s13
	s_addc_u32 s17, 0, s18
	s_add_u32 s18, s12, s13
	s_cselect_b64 s[12:13], -1, 0
	s_cmp_lg_u64 s[12:13], 0
	s_addc_u32 s16, s16, s17
	s_mul_i32 s12, s14, s16
	s_mul_hi_u32 s13, s14, s18
	s_add_i32 s12, s13, s12
	s_mul_i32 s15, s15, s18
	s_add_i32 s12, s12, s15
	s_mul_i32 s14, s14, s18
	s_mul_hi_u32 s15, s16, s14
	s_mul_i32 s17, s16, s14
	s_mul_i32 s20, s18, s12
	s_mul_hi_u32 s14, s18, s14
	s_mul_hi_u32 s19, s18, s12
	s_add_u32 s14, s14, s20
	s_addc_u32 s19, 0, s19
	s_add_u32 s14, s14, s17
	s_mul_hi_u32 s13, s16, s12
	s_addc_u32 s14, s19, s15
	s_addc_u32 s13, s13, 0
	s_mul_i32 s12, s16, s12
	s_add_u32 s12, s14, s12
	s_addc_u32 s14, 0, s13
	s_add_u32 s17, s18, s12
	s_cselect_b64 s[12:13], -1, 0
	s_cmp_lg_u64 s[12:13], 0
	s_addc_u32 s16, s16, s14
	s_ashr_i32 s12, s7, 31
	s_add_u32 s14, s6, s12
	s_mov_b32 s13, s12
	s_addc_u32 s15, s7, s12
	s_xor_b64 s[14:15], s[14:15], s[12:13]
	s_mul_i32 s18, s14, s16
	s_mul_hi_u32 s19, s14, s17
	s_mul_hi_u32 s7, s14, s16
	s_add_u32 s18, s19, s18
	s_addc_u32 s7, 0, s7
	s_mul_hi_u32 s20, s15, s17
	s_mul_i32 s17, s15, s17
	s_add_u32 s17, s18, s17
	s_mul_hi_u32 s19, s15, s16
	s_addc_u32 s7, s7, s20
	s_addc_u32 s17, s19, 0
	s_mul_i32 s16, s15, s16
	s_add_u32 s7, s7, s16
	s_addc_u32 s20, 0, s17
	s_mul_i32 s16, s8, s20
	s_mul_hi_u32 s17, s8, s7
	s_add_i32 s16, s17, s16
	s_mul_i32 s17, s9, s7
	s_add_i32 s21, s16, s17
	s_sub_i32 s18, s15, s21
	s_mul_i32 s16, s8, s7
	s_sub_u32 s14, s14, s16
	s_cselect_b64 s[16:17], -1, 0
	s_cmp_lg_u64 s[16:17], 0
	s_subb_u32 s22, s18, s9
	s_sub_u32 s23, s14, s8
	s_cselect_b64 s[18:19], -1, 0
	s_cmp_lg_u64 s[18:19], 0
	s_subb_u32 s18, s22, 0
	s_cmp_ge_u32 s18, s9
	s_cselect_b32 s19, -1, 0
	s_cmp_ge_u32 s23, s8
	s_cselect_b32 s22, -1, 0
	s_cmp_eq_u32 s18, s9
	s_cselect_b32 s18, s22, s19
	s_add_u32 s19, s7, 1
	s_addc_u32 s22, s20, 0
	s_add_u32 s23, s7, 2
	s_addc_u32 s24, s20, 0
	s_cmp_lg_u32 s18, 0
	s_cselect_b32 s18, s23, s19
	s_cselect_b32 s19, s24, s22
	s_cmp_lg_u64 s[16:17], 0
	s_subb_u32 s15, s15, s21
	s_cmp_ge_u32 s15, s9
	s_cselect_b32 s16, -1, 0
	s_cmp_ge_u32 s14, s8
	s_cselect_b32 s8, -1, 0
	s_cmp_eq_u32 s15, s9
	s_cselect_b32 s8, s8, s16
	s_cmp_lg_u32 s8, 0
	s_cselect_b32 s9, s19, s20
	s_cselect_b32 s8, s18, s7
	s_xor_b64 s[12:13], s[12:13], 0
	s_xor_b64 s[8:9], s[8:9], s[12:13]
	s_sub_u32 s56, s8, s12
	s_load_dwordx2 s[54:55], s[0:1], 0x74
	v_cvt_f32_u32_e32 v1, s33
	s_cbranch_execnz .LBB31_3
.LBB31_2:
	v_rcp_iflag_f32_e32 v2, v1
	s_sub_i32 s4, 0, s33
	v_mul_f32_e32 v2, 0x4f7ffffe, v2
	v_cvt_u32_f32_e32 v2, v2
	s_nop 0
	v_readfirstlane_b32 s5, v2
	s_mul_i32 s4, s4, s5
	s_mul_hi_u32 s4, s5, s4
	s_add_i32 s5, s5, s4
	s_mul_hi_u32 s4, s6, s5
	s_mul_i32 s7, s4, s33
	s_sub_i32 s6, s6, s7
	s_add_i32 s5, s4, 1
	s_sub_i32 s7, s6, s33
	s_cmp_ge_u32 s6, s33
	s_cselect_b32 s4, s5, s4
	s_cselect_b32 s6, s7, s6
	s_add_i32 s5, s4, 1
	s_cmp_ge_u32 s6, s33
	s_cselect_b32 s56, s5, s4
.LBB31_3:
	s_add_i32 s4, s2, 1
	s_mul_i32 s5, s11, s4
	s_mul_hi_u32 s6, s10, s4
	s_add_i32 s9, s6, s5
	s_mov_b32 s8, 0
	s_cmp_lg_u64 s[8:9], 0
	s_mul_i32 s8, s10, s4
	s_cbranch_scc0 .LBB31_316
; %bb.4:
	s_add_u32 s4, s33, 0
	s_addc_u32 s5, 0, 0
	s_xor_b64 s[6:7], s[4:5], 0
	v_cvt_f32_u32_e32 v2, s6
	v_cvt_f32_u32_e32 v3, s7
	s_sub_u32 s12, 0, s6
	s_subb_u32 s13, 0, s7
	v_fmamk_f32 v2, v3, 0x4f800000, v2
	v_rcp_f32_e32 v2, v2
	s_nop 0
	v_mul_f32_e32 v2, 0x5f7ffffc, v2
	v_mul_f32_e32 v3, 0x2f800000, v2
	v_trunc_f32_e32 v3, v3
	v_fmamk_f32 v2, v3, 0xcf800000, v2
	v_cvt_u32_f32_e32 v3, v3
	v_cvt_u32_f32_e32 v2, v2
	v_readfirstlane_b32 s14, v3
	v_readfirstlane_b32 s10, v2
	s_mul_i32 s11, s12, s14
	s_mul_hi_u32 s16, s12, s10
	s_mul_i32 s15, s13, s10
	s_add_i32 s11, s16, s11
	s_add_i32 s11, s11, s15
	s_mul_i32 s17, s12, s10
	s_mul_i32 s16, s10, s11
	s_mul_hi_u32 s18, s10, s17
	s_mul_hi_u32 s15, s10, s11
	s_add_u32 s16, s18, s16
	s_addc_u32 s15, 0, s15
	s_mul_hi_u32 s19, s14, s17
	s_mul_i32 s17, s14, s17
	s_add_u32 s16, s16, s17
	s_mul_hi_u32 s18, s14, s11
	s_addc_u32 s15, s15, s19
	s_addc_u32 s16, s18, 0
	s_mul_i32 s11, s14, s11
	s_add_u32 s11, s15, s11
	s_addc_u32 s15, 0, s16
	s_add_u32 s16, s10, s11
	s_cselect_b64 s[10:11], -1, 0
	s_cmp_lg_u64 s[10:11], 0
	s_addc_u32 s14, s14, s15
	s_mul_i32 s10, s12, s14
	s_mul_hi_u32 s11, s12, s16
	s_add_i32 s10, s11, s10
	s_mul_i32 s13, s13, s16
	s_add_i32 s10, s10, s13
	s_mul_i32 s12, s12, s16
	s_mul_hi_u32 s13, s14, s12
	s_mul_i32 s15, s14, s12
	s_mul_i32 s18, s16, s10
	s_mul_hi_u32 s12, s16, s12
	s_mul_hi_u32 s17, s16, s10
	s_add_u32 s12, s12, s18
	s_addc_u32 s17, 0, s17
	s_add_u32 s12, s12, s15
	s_mul_hi_u32 s11, s14, s10
	s_addc_u32 s12, s17, s13
	s_addc_u32 s11, s11, 0
	s_mul_i32 s10, s14, s10
	s_add_u32 s10, s12, s10
	s_addc_u32 s12, 0, s11
	s_add_u32 s15, s16, s10
	s_cselect_b64 s[10:11], -1, 0
	s_cmp_lg_u64 s[10:11], 0
	s_addc_u32 s14, s14, s12
	s_ashr_i32 s10, s9, 31
	s_add_u32 s12, s8, s10
	s_mov_b32 s11, s10
	s_addc_u32 s13, s9, s10
	s_xor_b64 s[12:13], s[12:13], s[10:11]
	s_mul_i32 s16, s12, s14
	s_mul_hi_u32 s17, s12, s15
	s_mul_hi_u32 s9, s12, s14
	s_add_u32 s16, s17, s16
	s_addc_u32 s9, 0, s9
	s_mul_hi_u32 s18, s13, s15
	s_mul_i32 s15, s13, s15
	s_add_u32 s15, s16, s15
	s_mul_hi_u32 s17, s13, s14
	s_addc_u32 s9, s9, s18
	s_addc_u32 s15, s17, 0
	s_mul_i32 s14, s13, s14
	s_add_u32 s9, s9, s14
	s_addc_u32 s18, 0, s15
	s_mul_i32 s14, s6, s18
	s_mul_hi_u32 s15, s6, s9
	s_add_i32 s14, s15, s14
	s_mul_i32 s15, s7, s9
	s_add_i32 s19, s14, s15
	s_sub_i32 s16, s13, s19
	s_mul_i32 s14, s6, s9
	s_sub_u32 s12, s12, s14
	s_cselect_b64 s[14:15], -1, 0
	s_cmp_lg_u64 s[14:15], 0
	s_subb_u32 s20, s16, s7
	s_sub_u32 s21, s12, s6
	s_cselect_b64 s[16:17], -1, 0
	s_cmp_lg_u64 s[16:17], 0
	s_subb_u32 s16, s20, 0
	s_cmp_ge_u32 s16, s7
	s_cselect_b32 s17, -1, 0
	s_cmp_ge_u32 s21, s6
	s_cselect_b32 s20, -1, 0
	s_cmp_eq_u32 s16, s7
	s_cselect_b32 s16, s20, s17
	s_add_u32 s17, s9, 1
	s_addc_u32 s20, s18, 0
	s_add_u32 s21, s9, 2
	s_addc_u32 s22, s18, 0
	s_cmp_lg_u32 s16, 0
	s_cselect_b32 s16, s21, s17
	s_cselect_b32 s17, s22, s20
	s_cmp_lg_u64 s[14:15], 0
	s_subb_u32 s13, s13, s19
	s_cmp_ge_u32 s13, s7
	s_cselect_b32 s14, -1, 0
	s_cmp_ge_u32 s12, s6
	s_cselect_b32 s6, -1, 0
	s_cmp_eq_u32 s13, s7
	s_cselect_b32 s6, s6, s14
	s_cmp_lg_u32 s6, 0
	s_cselect_b32 s7, s17, s18
	s_cselect_b32 s6, s16, s9
	s_xor_b64 s[10:11], s[10:11], 0
	s_xor_b64 s[6:7], s[6:7], s[10:11]
	s_sub_u32 s6, s6, s10
	s_subb_u32 s7, s7, s11
	s_load_dwordx2 s[44:45], s[0:1], 0x5c
	v_mov_b64_e32 v[38:39], s[6:7]
	s_cbranch_execnz .LBB31_6
.LBB31_5:
	v_rcp_iflag_f32_e32 v1, v1
	s_sub_i32 s4, 0, s33
	v_mul_f32_e32 v1, 0x4f7ffffe, v1
	v_cvt_u32_f32_e32 v1, v1
	v_mul_lo_u32 v2, s4, v1
	v_mul_hi_u32 v2, v1, v2
	v_add_u32_e32 v1, v1, v2
	v_mul_hi_u32 v1, s8, v1
	v_mul_lo_u32 v3, v1, s33
	v_sub_u32_e32 v3, s8, v3
	v_add_u32_e32 v2, 1, v1
	v_subrev_u32_e32 v4, s33, v3
	v_cmp_le_u32_e32 vcc, s33, v3
	s_nop 1
	v_cndmask_b32_e32 v3, v3, v4, vcc
	v_cndmask_b32_e32 v1, v1, v2, vcc
	v_add_u32_e32 v2, 1, v1
	v_cmp_le_u32_e32 vcc, s33, v3
	s_nop 1
	v_cndmask_b32_e32 v38, v1, v2, vcc
.LBB31_6:
	s_abs_i32 s82, s81
	v_cvt_f32_u32_e32 v1, s82
	s_load_dwordx16 s[16:31], s[0:1], 0x0
	s_load_dword s4, s[0:1], 0x40
	s_load_dwordx2 s[52:53], s[0:1], 0x8c
	s_load_dwordx4 s[40:43], s[0:1], 0x98
	s_load_dwordx2 s[48:49], s[0:1], 0xa8
	s_load_dwordx2 s[58:59], s[0:1], 0xb8
	;; [unrolled: 1-line block ×3, first 2 shown]
	s_waitcnt lgkmcnt(0)
	s_ashr_i32 s38, s52, 2
	s_sub_i32 s6, 0, s82
	v_rcp_iflag_f32_e32 v1, v1
	s_abs_i32 s1, s56
	s_ashr_i32 s57, s39, 3
	s_ashr_i32 s76, s54, 3
	v_mul_f32_e32 v1, 0x4f7ffffe, v1
	v_cvt_u32_f32_e32 v1, v1
	s_ashr_i32 s46, s59, 1
	s_ashr_i32 s34, s42, 2
	;; [unrolled: 1-line block ×3, first 2 shown]
	v_readfirstlane_b32 s52, v1
	s_mul_i32 s6, s6, s52
	s_mul_hi_u32 s6, s52, s6
	s_add_i32 s52, s52, s6
	s_mul_hi_u32 s6, s1, s52
	s_mul_i32 s6, s6, s82
	s_sub_i32 s1, s1, s6
	s_ashr_i32 s42, s81, 31
	s_sub_i32 s6, s1, s82
	s_cmp_ge_u32 s1, s82
	s_cselect_b32 s1, s6, s1
	s_sub_i32 s6, s1, s82
	s_cmp_ge_u32 s1, s82
	s_cselect_b32 s1, s6, s1
	s_xor_b32 s1, s1, s0
	s_sub_i32 s72, s1, s0
	v_subrev_u32_e32 v1, s56, v38
	v_add_u32_e32 v1, s72, v1
	v_cvt_f16_f32_e32 v88, s4
	v_cmp_ge_i32_e32 vcc, s56, v38
	v_cmp_gt_i32_e64 s[0:1], s81, v1
	s_or_b64 s[0:1], s[0:1], vcc
	v_bfe_u32 v83, v0, 10, 10
	s_mov_b32 s5, 0
	v_min_i32_e32 v180, s81, v1
	v_cmp_lt_i32_e64 s[10:11], s56, v38
	s_and_b64 vcc, exec, s[0:1]
	v_bfe_u32 v41, v0, 10, 3
	v_lshlrev_b32_e32 v215, 3, v83
	v_lshlrev_b32_e32 v214, 4, v83
	v_lshrrev_b32_e32 v99, 10, v0
	v_add_u32_e32 v87, 4, v83
	v_add_u32_e32 v86, 8, v83
	;; [unrolled: 1-line block ×7, first 2 shown]
	s_cbranch_vccz .LBB31_9
; %bb.7:
	s_andn2_b64 vcc, exec, s[10:11]
	s_cbranch_vccz .LBB31_276
.LBB31_8:
	s_endpgm
.LBB31_9:
	v_and_b32_e32 v2, 0x7f0, v215
	s_movk_i32 s14, 0x210
	v_and_b32_e32 v4, 15, v0
	v_lshrrev_b32_e32 v6, 1, v0
	v_and_b32_e32 v40, 0x3ff, v0
	v_mad_u32_u24 v3, v2, s14, 0
	v_mul_u32_u24_e32 v5, 0x210, v4
	v_and_b32_e32 v6, 0x78, v6
	v_lshlrev_b32_e32 v1, 2, v40
	v_add3_u32 v101, v3, v5, v6
	v_bfe_u32 v3, v0, 5, 5
	v_lshl_add_u32 v103, v83, 1, v3
	s_movk_i32 s0, 0x90
	v_and_b32_e32 v42, 0x7c, v1
	v_mad_u32_u24 v3, v103, s0, 0
	v_mul_u32_u24_e32 v7, 0x180, v103
	v_lshlrev_b32_e32 v8, 2, v42
	v_add3_u32 v105, v3, v7, v8
	v_and_b32_e32 v7, 16, v214
	v_mul_u32_u24_e32 v8, 0x210, v7
	v_add_u32_e32 v107, 0, v6
	v_add3_u32 v111, v107, v5, v8
	v_bfe_u32 v5, v0, 2, 8
	v_and_b32_e32 v6, 60, v5
	v_and_or_b32 v2, v0, 8, v2
	v_add_u32_e32 v8, v6, v7
	v_lshrrev_b32_e32 v2, 3, v2
	v_add_u16_e32 v7, v6, v7
	v_mad_u32_u24 v2, v2, s0, 0
	v_lshrrev_b16_e32 v7, 1, v7
	v_lshl_add_u32 v200, v7, 2, v2
	v_and_b32_e32 v7, 8, v215
	v_or_b32_e32 v5, 3, v5
	s_movk_i32 s0, 0x420
	v_lshl_add_u32 v2, v8, 1, v2
	v_mul_u32_u24_e32 v5, 0x210, v5
	v_mad_u32_u24 v7, v7, s0, 0
	v_lshlrev_b32_e32 v8, 1, v4
	v_add3_u32 v202, v7, v5, v8
	v_bfe_u32 v5, v0, 10, 1
	v_cmp_eq_u32_e64 s[0:1], 0, v5
	v_and_b32_e32 v5, 0x400, v0
	v_mul_u32_u24_e32 v6, 0x210, v6
	v_cmp_ne_u32_e64 s[12:13], 0, v5
	v_bfe_u32 v5, v99, 1, 9
	v_add3_u32 v201, v7, v6, v8
	v_add_u32_e32 v6, 2, v5
	v_lshlrev_b32_e32 v7, 1, v6
	v_and_b32_e32 v8, 15, v6
	s_movk_i32 s15, 0x1e0
	v_and_or_b32 v7, v7, s15, v8
	v_add_u32_e32 v8, 4, v5
	v_lshlrev_b32_e32 v9, 1, v8
	v_and_b32_e32 v10, 15, v8
	v_and_or_b32 v9, v9, s15, v10
	v_add_u32_e32 v10, 6, v5
	v_lshlrev_b32_e32 v11, 1, v10
	v_and_b32_e32 v12, 15, v10
	;; [unrolled: 4-line block ×3, first 2 shown]
	v_and_or_b32 v13, v13, s15, v14
	v_add_u32_e32 v14, 10, v5
	s_cmp_eq_u64 s[24:25], 0
	v_lshlrev_b32_e32 v15, 1, v14
	v_and_b32_e32 v16, 15, v14
	s_cselect_b64 s[60:61], -1, 0
	s_cmp_lg_u64 s[26:27], 0
	v_and_or_b32 v15, v15, s15, v16
	v_add_u32_e32 v16, 12, v5
	s_cselect_b64 s[62:63], -1, 0
	s_lshl_b32 s4, s2, 5
	v_lshlrev_b32_e32 v17, 1, v16
	v_and_b32_e32 v18, 15, v16
	s_ashr_i32 s47, s46, 31
	s_ashr_i32 s39, s38, 31
	s_lshl_b32 s6, s38, 3
	s_ashr_i32 s35, s34, 31
	s_lshl_b32 s7, s34, 3
	s_lshl_b64 s[4:5], s[4:5], 3
	v_and_or_b32 v17, v17, s15, v18
	v_add_u32_e32 v18, 14, v5
	s_add_u32 s10, s30, s4
	v_lshlrev_b32_e32 v19, 1, v18
	v_and_b32_e32 v20, 15, v18
	s_addc_u32 s11, s31, s5
	v_and_or_b32 v19, v19, s15, v20
	v_add_u32_e32 v20, 18, v5
	s_abs_i32 s59, s80
	v_lshlrev_b32_e32 v21, 1, v20
	v_and_b32_e32 v22, 15, v20
	v_cvt_f32_u32_e32 v31, s59
	v_and_or_b32 v21, v21, s15, v22
	v_add_u32_e32 v22, 20, v5
	v_lshlrev_b32_e32 v23, 1, v22
	v_and_b32_e32 v24, 15, v22
	v_and_or_b32 v23, v23, s15, v24
	v_add_u32_e32 v24, 22, v5
	v_lshlrev_b32_e32 v25, 1, v24
	v_and_b32_e32 v26, 15, v24
	v_rcp_iflag_f32_e32 v31, v31
	v_and_or_b32 v25, v25, s15, v26
	v_add_u32_e32 v26, 24, v5
	v_lshlrev_b32_e32 v27, 1, v26
	v_and_b32_e32 v28, 15, v26
	v_and_or_b32 v27, v27, s15, v28
	v_add_u32_e32 v28, 26, v5
	v_lshlrev_b32_e32 v29, 1, v28
	v_and_b32_e32 v30, 15, v28
	v_mul_f32_e32 v31, 0x4f7ffffe, v31
	s_abs_i32 s83, s79
	v_and_or_b32 v29, v29, s15, v30
	v_add_u32_e32 v30, 28, v5
	v_cvt_f32_u32_e32 v36, s83
	v_cvt_u32_f32_e32 v31, v31
	v_lshlrev_b32_e32 v32, 1, v30
	v_and_b32_e32 v33, 15, v30
	v_and_or_b32 v32, v32, s15, v33
	v_add_u32_e32 v33, 30, v5
	v_lshlrev_b32_e32 v34, 1, v33
	v_and_b32_e32 v35, 15, v33
	s_sub_i32 s4, 0, s59
	v_and_or_b32 v34, v34, s15, v35
	v_rcp_iflag_f32_e32 v35, v36
	v_mul_lo_u32 v36, s4, v31
	v_mul_hi_u32 v36, v31, v36
	s_abs_i32 s85, s58
	v_add_u32_e32 v203, v31, v36
	v_cvt_f32_u32_e32 v36, s85
	v_mul_f32_e32 v31, 0x4f7ffffe, v35
	v_cvt_u32_f32_e32 v31, v31
	s_sub_i32 s4, 0, s83
	v_rcp_iflag_f32_e32 v36, v36
	v_add_u32_e32 v207, 64, v2
	v_mul_lo_u32 v37, s4, v31
	v_mul_hi_u32 v37, v31, v37
	v_mul_f32_e32 v36, 0x4f7ffffe, v36
	v_cvt_u32_f32_e32 v36, v36
	s_sub_i32 s4, 0, s85
	v_add_u32_e32 v204, v31, v37
	v_add_u32_e32 v208, 0x44, v2
	v_mul_lo_u32 v31, s4, v36
	v_mul_hi_u32 v31, v36, v31
	v_add_u32_e32 v205, v36, v31
	v_or_b32_e32 v31, v215, v40
	v_lshlrev_b32_e32 v44, 3, v31
	v_lshlrev_b32_e32 v31, 1, v40
	v_add_u32_e32 v2, v214, v40
	v_and_b32_e32 v46, 62, v31
	v_mul_u32_u24_e32 v209, 0x210, v2
	v_and_b32_e32 v2, 31, v0
	v_lshl_add_u32 v206, v46, 1, v3
	v_add_u32_e32 v3, v214, v2
	v_mul_u32_u24_e32 v210, 0x210, v3
	v_or_b32_e32 v3, v214, v4
	v_mul_u32_u24_e32 v211, 0x210, v3
	v_add_u32_e32 v3, 16, v5
	v_lshlrev_b32_e32 v80, 4, v2
	v_and_b32_e32 v2, 7, v8
	v_bfe_u32 v4, v83, 1, 4
	v_lshlrev_b32_e32 v5, 1, v3
	v_accvgpr_write_b32 a56, v2
	v_and_b32_e32 v2, 7, v10
	s_movk_i32 s65, 0xe0
	v_and_or_b32 v5, v5, s15, v4
	v_lshrrev_b32_e32 v3, 3, v3
	v_accvgpr_write_b32 a58, v2
	v_and_b32_e32 v2, 7, v14
	v_and_or_b32 v4, v99, s65, v4
	v_accvgpr_write_b32 a26, v3
	v_mad_u32_u24 v3, v5, s14, 0
	v_accvgpr_write_b32 a60, v2
	v_and_b32_e32 v2, 7, v16
	v_mad_u32_u24 v212, v4, s14, 0
	v_mad_u32_u24 v4, v7, s14, 0
	;; [unrolled: 1-line block ×4, first 2 shown]
	v_lshrrev_b32_e32 v11, 3, v12
	v_mad_u32_u24 v5, v21, s14, 0
	v_accvgpr_write_b32 a27, v3
	v_add_u32_e32 v3, v3, v1
	v_accvgpr_write_b32 a62, v2
	v_and_b32_e32 v2, 7, v18
	v_accvgpr_write_b32 a21, v11
	v_mad_u32_u24 v11, v13, s14, 0
	v_mad_u32_u24 v13, v17, s14, 0
	;; [unrolled: 1-line block ×3, first 2 shown]
	v_accvgpr_write_b32 a42, v3
	v_add_u32_e32 v3, v5, v1
	v_accvgpr_write_b32 a64, v2
	v_and_b32_e32 v2, 7, v20
	v_mad_u32_u24 v12, v15, s14, 0
	v_mad_u32_u24 v15, v19, s14, 0
	;; [unrolled: 1-line block ×3, first 2 shown]
	v_lshrrev_b32_e32 v21, 3, v26
	v_accvgpr_write_b32 a43, v3
	v_add_u32_e32 v3, v17, v1
	v_accvgpr_write_b32 a66, v2
	v_and_b32_e32 v2, 7, v22
	v_accvgpr_write_b32 a31, v21
	v_mad_u32_u24 v21, v27, s14, 0
	v_accvgpr_write_b32 a44, v3
	v_add_u32_e32 v3, v19, v1
	v_accvgpr_write_b32 a68, v2
	v_and_b32_e32 v2, 7, v24
	v_mad_u32_u24 v23, v29, s14, 0
	v_accvgpr_write_b32 a45, v3
	v_add_u32_e32 v3, v21, v1
	v_accvgpr_write_b32 a70, v2
	v_and_b32_e32 v2, 7, v28
	;; [unrolled: 5-line block ×3, first 2 shown]
	v_mov_b32_e32 v45, 0
	v_accvgpr_write_b32 a47, v3
	v_add_u32_e32 v3, v25, v1
	v_accvgpr_write_b32 a74, v2
	v_and_b32_e32 v2, 7, v33
	v_accvgpr_write_b32 a48, v3
	v_accvgpr_write_b32 a76, v2
	v_lshl_add_u64 v[2:3], s[10:11], 0, v[44:45]
	v_mov_b32_e32 v43, v45
	v_accvgpr_write_b32 a79, v3
	v_mul_lo_u32 v64, s34, v103
	v_accvgpr_write_b32 a78, v2
	v_lshl_add_u64 v[2:3], s[22:23], 0, v[42:43]
	v_ashrrev_i32_e32 v65, 31, v64
	v_accvgpr_write_b32 a81, v3
	v_add_u32_e32 v66, s7, v64
	v_accvgpr_write_b32 a80, v2
	v_lshl_add_u64 v[2:3], v[64:65], 2, s[20:21]
	v_ashrrev_i32_e32 v67, 31, v66
	v_accvgpr_write_b32 a83, v3
	v_add_u32_e32 v68, s7, v66
	;; [unrolled: 5-line block ×7, first 2 shown]
	v_accvgpr_write_b32 a92, v2
	v_lshl_add_u64 v[2:3], v[76:77], 2, s[20:21]
	v_ashrrev_i32_e32 v79, 31, v78
	v_accvgpr_write_b32 a95, v3
	s_abs_i32 s84, s78
	v_mul_lo_u32 v48, s38, v103
	v_accvgpr_write_b32 a18, v4
	v_add_u32_e32 v233, v4, v1
	v_add_u32_e32 v4, v7, v1
	v_accvgpr_write_b32 a94, v2
	v_lshl_add_u64 v[2:3], v[78:79], 2, s[20:21]
	v_cvt_f32_u32_e32 v35, s84
	v_ashrrev_i32_e32 v49, 31, v48
	v_accvgpr_write_b32 a36, v4
	v_add_u32_e32 v4, v9, v1
	v_accvgpr_write_b32 a97, v3
	v_add_u32_e32 v50, s6, v48
	;; [unrolled: 2-line block ×3, first 2 shown]
	v_accvgpr_write_b32 a96, v2
	v_lshl_add_u64 v[2:3], v[48:49], 2, s[18:19]
	v_ashrrev_i32_e32 v51, 31, v50
	v_accvgpr_write_b32 a38, v4
	v_add_u32_e32 v4, v12, v1
	v_accvgpr_write_b32 a99, v3
	v_add_u32_e32 v52, s6, v50
	v_mad_u32_u24 v26, v34, s14, 0
	v_accvgpr_write_b32 a39, v4
	v_add_u32_e32 v4, v13, v1
	v_accvgpr_write_b32 a98, v2
	v_lshl_add_u64 v[2:3], v[50:51], 2, s[18:19]
	v_rcp_iflag_f32_e32 v35, v35
	v_ashrrev_i32_e32 v53, 31, v52
	v_add_u32_e32 v231, 0, v1
	v_add_u32_e32 v232, v212, v1
	v_accvgpr_write_b32 a40, v4
	v_add_u32_e32 v4, v15, v1
	v_add_u32_e32 v1, v26, v1
	v_accvgpr_write_b32 a101, v3
	v_add_u32_e32 v54, s6, v52
	v_accvgpr_write_b32 a49, v1
	v_mbcnt_lo_u32_b32 v1, -1, 0
	v_accvgpr_write_b32 a100, v2
	v_lshl_add_u64 v[2:3], v[52:53], 2, s[18:19]
	v_ashrrev_i32_e32 v55, 31, v54
	v_mbcnt_hi_u32_b32 v248, -1, v1
	v_lshrrev_b32_e32 v1, 3, v8
	v_accvgpr_write_b32 a103, v3
	v_add_u32_e32 v56, s6, v54
	v_accvgpr_write_b32 a54, v1
	v_lshrrev_b32_e32 v1, 3, v10
	v_accvgpr_write_b32 a102, v2
	v_lshl_add_u64 v[2:3], v[54:55], 2, s[18:19]
	v_mul_f32_e32 v35, 0x4f7ffffe, v35
	v_ashrrev_i32_e32 v57, 31, v56
	v_accvgpr_write_b32 a55, v1
	v_lshrrev_b32_e32 v1, 3, v14
	v_accvgpr_write_b32 a105, v3
	v_cvt_u32_f32_e32 v35, v35
	v_add_u32_e32 v58, s6, v56
	v_accvgpr_write_b32 a57, v1
	v_lshrrev_b32_e32 v1, 3, v16
	v_accvgpr_write_b32 a104, v2
	v_lshl_add_u64 v[2:3], v[56:57], 2, s[18:19]
	v_ashrrev_i32_e32 v59, 31, v58
	v_accvgpr_write_b32 a59, v1
	v_lshrrev_b32_e32 v1, 3, v18
	v_accvgpr_write_b32 a107, v3
	v_add_u32_e32 v60, s6, v58
	v_accvgpr_write_b32 a61, v1
	v_lshrrev_b32_e32 v1, 3, v20
	v_accvgpr_write_b32 a106, v2
	v_lshl_add_u64 v[2:3], v[58:59], 2, s[18:19]
	v_ashrrev_i32_e32 v61, 31, v60
	v_accvgpr_write_b32 a63, v1
	v_lshrrev_b32_e32 v1, 3, v22
	v_accvgpr_write_b32 a109, v3
	v_readfirstlane_b32 s64, v35
	v_add_u32_e32 v62, s6, v60
	s_sub_i32 s15, 0, s84
	v_accvgpr_write_b32 a65, v1
	v_lshrrev_b32_e32 v1, 3, v24
	v_accvgpr_write_b32 a108, v2
	v_lshl_add_u64 v[2:3], v[60:61], 2, s[18:19]
	v_ashrrev_i32_e32 v63, 31, v62
	s_mul_i32 s15, s15, s64
	v_accvgpr_write_b32 a67, v1
	v_lshrrev_b32_e32 v1, 3, v28
	v_accvgpr_write_b32 a111, v3
	s_mul_hi_u32 s15, s64, s15
	v_accvgpr_write_b32 a69, v1
	v_lshrrev_b32_e32 v1, 3, v30
	v_accvgpr_write_b32 a110, v2
	v_lshl_add_u64 v[2:3], v[62:63], 2, s[18:19]
	s_mov_b32 s73, 0x10001
	s_add_i32 s90, s64, s15
	s_lshl_b64 s[64:65], s[46:47], 1
	v_mad_u32_u24 v245, v83, s14, v231
	v_and_b32_e32 v226, 7, v87
	v_and_b32_e32 v98, 7, v85
	;; [unrolled: 1-line block ×4, first 2 shown]
	v_accvgpr_write_b32 a71, v1
	v_lshrrev_b32_e32 v1, 3, v33
	v_accvgpr_write_b32 a113, v3
	s_mul_i32 s86, s36, s37
	v_cmp_gt_u32_e64 s[4:5], 4, v103
	v_accvgpr_write_b32 a9, v215
	v_cmp_gt_u32_e64 s[6:7], 16, v40
	v_cmp_gt_u32_e64 s[8:9], 32, v40
	v_accvgpr_write_b32 a8, v214
	v_accvgpr_write_b32 a19, v7
	;; [unrolled: 1-line block ×15, first 2 shown]
	s_ashr_i32 s87, s80, 31
	s_ashr_i32 s88, s79, 31
	;; [unrolled: 1-line block ×3, first 2 shown]
	v_mov_b32_e32 v81, v45
	s_lshl_b64 s[66:67], s[34:35], 8
	s_lshl_b64 s[68:69], s[38:39], 8
	s_mov_b32 s47, 0x3fb8aa3b
	s_mov_b32 s65, 0xc2ce8ed0
	;; [unrolled: 1-line block ×5, first 2 shown]
	s_movk_i32 s94, 0x47
	s_mov_b64 s[70:71], 0x80
	v_accvgpr_write_b32 a17, v88
	v_mul_lo_u32 v249, v88, s73
	v_add_u32_e32 v250, 0x1080, v105
	v_add_u32_e32 v251, 0x2100, v105
	;; [unrolled: 1-line block ×7, first 2 shown]
	v_mul_u32_u24_e32 v246, 0x210, v83
	v_lshrrev_b32_e32 v104, 3, v87
	v_accvgpr_write_b32 a16, v87
	v_add_u32_e32 v218, 0x840, v245
	v_accvgpr_write_b32 a15, v86
	v_lshrrev_b32_e32 v102, 3, v86
	v_add_u32_e32 v219, 0x1080, v245
	v_lshrrev_b32_e32 v243, 3, v85
	v_accvgpr_write_b32 a14, v85
	v_add_u32_e32 v220, 0x18c0, v245
	v_accvgpr_write_b32 a13, v84
	v_lshrrev_b32_e32 v96, 3, v84
	v_add_u32_e32 v222, 0x2100, v245
	;; [unrolled: 6-line block ×3, first 2 shown]
	v_lshrrev_b32_e32 v238, 3, v39
	v_accvgpr_write_b32 a10, v39
	v_add_u32_e32 v237, 0x39c0, v245
	v_bfe_u32 v88, v99, 4, 6
	v_lshrrev_b32_e32 v230, 3, v6
	v_and_b32_e32 v82, 7, v6
	v_accvgpr_write_b32 a73, v1
	v_mov_b32_e32 v227, 0x7f800000
	v_and_b32_e32 v106, 7, v0
	v_bfe_u32 v110, v83, 1, 3
	v_mad_u64_u32 v[112:113], s[10:11], v41, s76, v[40:41]
	v_mad_u64_u32 v[114:115], s[10:11], v226, s76, v[40:41]
	;; [unrolled: 1-line block ×5, first 2 shown]
	v_accvgpr_write_b32 a112, v2
	s_branch .LBB31_12
.LBB31_10:                              ;   in Loop: Header=BB31_12 Depth=1
	s_or_b64 exec, exec, s[72:73]
	s_barrier
.LBB31_11:                              ;   in Loop: Header=BB31_12 Depth=1
	s_add_i32 s10, s56, s81
	s_abs_i32 s14, s10
	s_mul_hi_u32 s15, s14, s52
	s_mul_i32 s15, s15, s82
	s_sub_i32 s14, s14, s15
	s_ashr_i32 s11, s10, 31
	s_sub_i32 s15, s14, s82
	s_cmp_ge_u32 s14, s82
	s_cselect_b32 s14, s15, s14
	s_sub_i32 s15, s14, s82
	s_cmp_ge_u32 s14, s82
	s_cselect_b32 s14, s15, s14
	s_xor_b32 s14, s14, s11
	s_sub_i32 s11, s11, s14
	s_add_i32 s56, s10, s11
	v_subrev_u32_e32 v1, s56, v38
	v_cmp_lt_i32_e64 s[10:11], s56, v38
	v_cmp_le_i32_e32 vcc, s81, v1
	s_and_b64 s[14:15], vcc, s[10:11]
	v_min_i32_e32 v180, s81, v1
	s_mov_b32 s72, 0
	s_and_b64 vcc, exec, s[14:15]
	s_cbranch_vccz .LBB31_275
.LBB31_12:                              ; =>This Loop Header: Depth=1
                                        ;     Child Loop BB31_182 Depth 2
                                        ;     Child Loop BB31_50 Depth 2
	s_abs_i32 s11, s56
	v_mul_hi_u32 v1, s11, v203
	v_mul_lo_u32 v2, v1, s59
	v_sub_u32_e32 v2, s11, v2
	v_add_u32_e32 v3, 1, v1
	v_subrev_u32_e32 v4, s59, v2
	v_cmp_le_u32_e32 vcc, s59, v2
	s_ashr_i32 s10, s56, 31
	s_xor_b32 s10, s10, s87
	v_cndmask_b32_e32 v1, v1, v3, vcc
	v_cndmask_b32_e32 v2, v2, v4, vcc
	v_add_u32_e32 v3, 1, v1
	v_cmp_le_u32_e32 vcc, s59, v2
	s_nop 1
	v_cndmask_b32_e32 v1, v1, v3, vcc
	v_xor_b32_e32 v1, s10, v1
	v_subrev_u32_e32 v1, s10, v1
	v_mul_lo_u32 v2, v1, s80
	v_sub_u32_e32 v3, s56, v2
	v_sub_u32_e32 v4, 0, v3
	v_max_i32_e32 v4, v3, v4
	v_mul_hi_u32 v5, v4, v204
	v_mul_lo_u32 v6, v5, s83
	v_sub_u32_e32 v4, v4, v6
	v_add_u32_e32 v6, 1, v5
	v_subrev_u32_e32 v7, s83, v4
	v_cmp_le_u32_e32 vcc, s83, v4
	v_ashrrev_i32_e32 v2, 31, v3
	v_xor_b32_e32 v2, s88, v2
	v_cndmask_b32_e32 v5, v5, v6, vcc
	v_cndmask_b32_e32 v4, v4, v7, vcc
	v_add_u32_e32 v6, 1, v5
	v_cmp_le_u32_e32 vcc, s83, v4
	s_nop 1
	v_cndmask_b32_e32 v4, v5, v6, vcc
	v_xor_b32_e32 v4, v4, v2
	v_sub_u32_e32 v2, v4, v2
	v_mul_lo_u32 v4, v2, s79
	v_sub_u32_e32 v3, v3, v4
	v_sub_u32_e32 v5, 0, v3
	v_max_i32_e32 v5, v3, v5
	v_mul_hi_u32 v6, v5, s90
	v_mul_lo_u32 v7, v6, s84
	v_sub_u32_e32 v5, v5, v7
	v_add_u32_e32 v7, 1, v6
	v_subrev_u32_e32 v8, s84, v5
	v_cmp_le_u32_e32 vcc, s84, v5
	v_ashrrev_i32_e32 v4, 31, v3
	v_xor_b32_e32 v4, s89, v4
	v_cndmask_b32_e32 v6, v6, v7, vcc
	v_cndmask_b32_e32 v5, v5, v8, vcc
	v_add_u32_e32 v7, 1, v6
	v_cmp_le_u32_e32 vcc, s84, v5
	s_nop 1
	v_cndmask_b32_e32 v5, v6, v7, vcc
	v_xor_b32_e32 v5, v5, v4
	v_sub_u32_e32 v4, v5, v4
	v_mul_lo_u32 v5, v4, s78
	v_sub_u32_e32 v3, v3, v5
	v_sub_u32_e32 v6, 0, v3
	v_ashrrev_i32_e32 v5, 31, v3
	v_max_i32_e32 v3, v3, v6
	v_mul_hi_u32 v6, v3, s52
	v_mul_lo_u32 v7, v6, s82
	v_sub_u32_e32 v3, v3, v7
	v_add_u32_e32 v7, 1, v6
	v_subrev_u32_e32 v8, s82, v3
	v_cmp_le_u32_e32 vcc, s82, v3
	v_xor_b32_e32 v5, s42, v5
	s_nop 0
	v_cndmask_b32_e32 v6, v6, v7, vcc
	v_cndmask_b32_e32 v3, v3, v8, vcc
	v_add_u32_e32 v7, 1, v6
	v_cmp_le_u32_e32 vcc, s82, v3
	s_nop 1
	v_cndmask_b32_e32 v3, v6, v7, vcc
	v_xor_b32_e32 v3, v3, v5
	s_andn2_b64 vcc, exec, s[62:63]
	v_sub_u32_e32 v3, v3, v5
	s_cbranch_vccnz .LBB31_14
; %bb.13:                               ;   in Loop: Header=BB31_12 Depth=1
	v_mul_lo_u32 v5, v1, s77
	v_add_u32_e32 v6, v3, v5
	v_ashrrev_i32_e32 v7, 31, v6
	v_lshlrev_b64 v[6:7], 2, v[6:7]
	v_lshl_add_u64 v[6:7], s[26:27], 0, v[6:7]
	global_load_dword v5, v[6:7], off
	s_waitcnt vmcnt(0)
	v_ashrrev_i32_e32 v6, 31, v5
	v_lshrrev_b32_e32 v6, 26, v6
	v_add_u32_e32 v5, v5, v6
	v_ashrrev_i32_e32 v5, 6, v5
	v_min_i32_e32 v180, v180, v5
.LBB31_14:                              ;   in Loop: Header=BB31_12 Depth=1
	v_mul_lo_u32 v5, v2, s3
	v_lshlrev_b32_e32 v43, 3, v4
	v_add_u32_e32 v4, v43, v5
	v_mul_lo_u32 v6, v1, s55
	v_ashrrev_i32_e32 v7, 31, v6
	v_mul_lo_u32 v8, v4, s54
	v_lshl_add_u64 v[6:7], s[16:17], 0, v[6:7]
	v_ashrrev_i32_e32 v9, 31, v8
	v_ashrrev_i32_e32 v5, 31, v1
	v_lshl_add_u64 v[176:177], v[6:7], 0, v[8:9]
	v_mul_hi_u32 v6, s40, v1
	v_mul_lo_u32 v7, s40, v5
	v_add_u32_e32 v6, v6, v7
	v_mul_lo_u32 v7, s41, v1
	v_add_u32_e32 v167, v6, v7
	v_mul_lo_u32 v166, s40, v1
	v_mul_lo_u32 v168, v2, s53
	v_lshl_add_u64 v[6:7], s[18:19], 0, v[166:167]
	v_ashrrev_i32_e32 v169, 31, v168
	v_lshl_add_u64 v[162:163], v[6:7], 0, v[168:169]
	v_sub_u32_e32 v6, 0, v1
	v_max_i32_e32 v6, v1, v6
	v_mul_hi_u32 v7, v6, v205
	v_mul_lo_u32 v7, v7, s85
	v_sub_u32_e32 v6, v6, v7
	v_subrev_u32_e32 v7, s85, v6
	v_cmp_le_u32_e32 vcc, s85, v6
	v_mul_lo_u32 v172, s48, v1
	v_mul_lo_u32 v174, v2, s43
	v_cndmask_b32_e32 v6, v6, v7, vcc
	v_subrev_u32_e32 v7, s85, v6
	v_cmp_le_u32_e32 vcc, s85, v6
	v_ashrrev_i32_e32 v175, 31, v174
	v_lshlrev_b32_e32 v113, 2, v3
	v_cndmask_b32_e32 v6, v6, v7, vcc
	v_xor_b32_e32 v6, v6, v5
	v_sub_u32_e32 v6, v6, v5
	v_ashrrev_i32_e32 v7, 31, v6
	v_mul_lo_u32 v7, s50, v7
	v_mul_hi_u32 v8, s50, v6
	v_add_u32_e32 v7, v8, v7
	v_mul_lo_u32 v8, s51, v6
	v_mul_lo_u32 v170, s50, v6
	;; [unrolled: 1-line block ×3, first 2 shown]
	v_add_u32_e32 v6, v4, v6
	v_lshlrev_b32_e32 v44, 7, v6
	v_add_u32_e32 v171, v7, v8
	v_lshlrev_b64 v[6:7], 3, v[44:45]
	v_lshl_add_u64 v[156:157], s[28:29], 0, v[6:7]
	v_mul_hi_u32 v6, s48, v1
	v_mul_lo_u32 v5, s48, v5
	v_add_u32_e32 v5, v6, v5
	v_mul_lo_u32 v6, s49, v1
	v_add_u32_e32 v173, v5, v6
	v_ashrrev_i32_e32 v5, 31, v4
	v_lshlrev_b64 v[4:5], 2, v[4:5]
	v_lshl_add_u64 v[6:7], s[20:21], 0, v[172:173]
	v_lshl_add_u64 v[4:5], s[24:25], 0, v[4:5]
	v_bfe_u32 v1, v99, 3, 7
	v_lshl_add_u64 v[164:165], s[22:23], 0, v[170:171]
	v_lshl_add_u64 v[160:161], v[6:7], 0, v[174:175]
	v_cndmask_b32_e64 v159, v5, 0, s[60:61]
	v_cndmask_b32_e64 v158, v4, 0, s[60:61]
	s_cmp_lg_u32 s72, 0
	v_add_u32_e32 v115, v1, v113
	v_or_b32_e32 v117, v41, v43
	s_cbranch_scc0 .LBB31_52
; %bb.15:                               ;   in Loop: Header=BB31_12 Depth=1
	v_cmp_le_i32_e64 s[10:11], s36, v115
	v_cmp_le_i32_e64 s[14:15], s3, v117
	v_cmp_gt_i32_e32 vcc, s3, v117
	s_or_b64 s[10:11], s[10:11], s[14:15]
	s_and_saveexec_b64 s[14:15], s[10:11]
	s_xor_b64 s[10:11], exec, s[14:15]
; %bb.16:                               ;   in Loop: Header=BB31_12 Depth=1
	v_add_u32_e32 v1, v231, v246
	ds_write2st64_b32 v1, v45, v45 offset1:1
; %bb.17:                               ;   in Loop: Header=BB31_12 Depth=1
	s_andn2_saveexec_b64 s[10:11], s[10:11]
	s_cbranch_execz .LBB31_19
; %bb.18:                               ;   in Loop: Header=BB31_12 Depth=1
	v_mad_u64_u32 v[2:3], s[14:15], v115, s57, v[112:113]
	v_ashrrev_i32_e32 v3, 31, v2
	v_lshl_add_u64 v[2:3], v[2:3], 3, v[176:177]
	global_load_dwordx2 v[4:5], v[2:3], off
	s_nop 0
	global_load_dwordx2 v[2:3], v[2:3], off offset:512
	s_waitcnt vmcnt(1)
	v_cvt_pk_f16_f32 v1, v4, v5
	s_waitcnt vmcnt(0)
	v_cvt_pk_f16_f32 v2, v2, v3
	v_pk_mul_f16 v1, v1, v249
	v_pk_mul_f16 v2, v2, v249
	ds_write2st64_b32 v245, v1, v2 offset1:1
.LBB31_19:                              ;   in Loop: Header=BB31_12 Depth=1
	s_or_b64 exec, exec, s[10:11]
	v_add_u32_e32 v1, v104, v113
	v_or_b32_e32 v2, v226, v43
	v_cmp_le_i32_e64 s[10:11], s36, v1
	v_cmp_le_i32_e64 s[14:15], s3, v2
	s_or_b64 s[10:11], s[10:11], s[14:15]
	s_and_saveexec_b64 s[14:15], s[10:11]
	s_xor_b64 s[10:11], exec, s[14:15]
; %bb.20:                               ;   in Loop: Header=BB31_12 Depth=1
	v_add_u32_e32 v1, v231, v246
	v_add_u32_e32 v1, 64, v1
	ds_write2st64_b32 v1, v45, v45 offset0:8 offset1:9
                                        ; implicit-def: $vgpr1
; %bb.21:                               ;   in Loop: Header=BB31_12 Depth=1
	s_andn2_saveexec_b64 s[10:11], s[10:11]
	s_cbranch_execz .LBB31_23
; %bb.22:                               ;   in Loop: Header=BB31_12 Depth=1
	v_mad_u64_u32 v[2:3], s[14:15], v1, s57, v[114:115]
	v_ashrrev_i32_e32 v3, 31, v2
	v_lshl_add_u64 v[2:3], v[2:3], 3, v[176:177]
	global_load_dwordx2 v[4:5], v[2:3], off
	s_nop 0
	global_load_dwordx2 v[2:3], v[2:3], off offset:512
	s_waitcnt vmcnt(1)
	v_cvt_pk_f16_f32 v1, v4, v5
	s_waitcnt vmcnt(0)
	v_cvt_pk_f16_f32 v2, v2, v3
	v_pk_mul_f16 v1, v1, v249
	v_pk_mul_f16 v2, v2, v249
	ds_write2st64_b32 v218, v1, v2 offset1:1
.LBB31_23:                              ;   in Loop: Header=BB31_12 Depth=1
	s_or_b64 exec, exec, s[10:11]
	v_add_u32_e32 v1, v102, v113
	v_cmp_le_i32_e64 s[10:11], s36, v1
	s_xor_b64 s[14:15], vcc, -1
	s_or_b64 s[10:11], s[10:11], s[14:15]
	s_and_saveexec_b64 s[74:75], s[10:11]
	s_xor_b64 s[10:11], exec, s[74:75]
; %bb.24:                               ;   in Loop: Header=BB31_12 Depth=1
	v_add_u32_e32 v1, v231, v246
	v_add_u32_e32 v1, 0x80, v1
	ds_write2st64_b32 v1, v45, v45 offset0:16 offset1:17
                                        ; implicit-def: $vgpr1
; %bb.25:                               ;   in Loop: Header=BB31_12 Depth=1
	s_andn2_saveexec_b64 s[10:11], s[10:11]
	s_cbranch_execz .LBB31_27
; %bb.26:                               ;   in Loop: Header=BB31_12 Depth=1
	v_mad_u64_u32 v[2:3], s[74:75], v1, s57, v[112:113]
	v_ashrrev_i32_e32 v3, 31, v2
	v_lshl_add_u64 v[2:3], v[2:3], 3, v[176:177]
	global_load_dwordx2 v[4:5], v[2:3], off
	s_nop 0
	global_load_dwordx2 v[2:3], v[2:3], off offset:512
	s_waitcnt vmcnt(1)
	v_cvt_pk_f16_f32 v1, v4, v5
	s_waitcnt vmcnt(0)
	v_cvt_pk_f16_f32 v2, v2, v3
	v_pk_mul_f16 v1, v1, v249
	v_pk_mul_f16 v2, v2, v249
	ds_write2st64_b32 v219, v1, v2 offset1:1
.LBB31_27:                              ;   in Loop: Header=BB31_12 Depth=1
	s_or_b64 exec, exec, s[10:11]
	v_add_u32_e32 v1, v243, v113
	v_or_b32_e32 v2, v98, v43
	v_cmp_le_i32_e32 vcc, s36, v1
	v_cmp_le_i32_e64 s[10:11], s3, v2
	s_or_b64 s[10:11], vcc, s[10:11]
	s_and_saveexec_b64 s[74:75], s[10:11]
	s_xor_b64 s[10:11], exec, s[74:75]
; %bb.28:                               ;   in Loop: Header=BB31_12 Depth=1
	v_add_u32_e32 v1, v231, v246
	v_add_u32_e32 v1, 0xc0, v1
	ds_write2st64_b32 v1, v45, v45 offset0:24 offset1:25
                                        ; implicit-def: $vgpr1
; %bb.29:                               ;   in Loop: Header=BB31_12 Depth=1
	s_andn2_saveexec_b64 s[10:11], s[10:11]
	s_cbranch_execz .LBB31_31
; %bb.30:                               ;   in Loop: Header=BB31_12 Depth=1
	v_mad_u64_u32 v[2:3], s[74:75], v1, s57, v[116:117]
	v_ashrrev_i32_e32 v3, 31, v2
	v_lshl_add_u64 v[2:3], v[2:3], 3, v[176:177]
	global_load_dwordx2 v[4:5], v[2:3], off
	s_nop 0
	global_load_dwordx2 v[2:3], v[2:3], off offset:512
	s_waitcnt vmcnt(1)
	v_cvt_pk_f16_f32 v1, v4, v5
	s_waitcnt vmcnt(0)
	v_cvt_pk_f16_f32 v2, v2, v3
	v_pk_mul_f16 v1, v1, v249
	v_pk_mul_f16 v2, v2, v249
	ds_write2st64_b32 v220, v1, v2 offset1:1
.LBB31_31:                              ;   in Loop: Header=BB31_12 Depth=1
	s_or_b64 exec, exec, s[10:11]
	v_add_u32_e32 v1, v96, v113
	v_cmp_le_i32_e32 vcc, s36, v1
	s_or_b64 s[10:11], vcc, s[14:15]
	s_and_saveexec_b64 s[74:75], s[10:11]
	s_xor_b64 s[10:11], exec, s[74:75]
; %bb.32:                               ;   in Loop: Header=BB31_12 Depth=1
	v_add_u32_e32 v1, v231, v246
	ds_write2st64_b32 v1, v45, v45 offset0:33 offset1:34
                                        ; implicit-def: $vgpr1
; %bb.33:                               ;   in Loop: Header=BB31_12 Depth=1
	s_andn2_saveexec_b64 s[10:11], s[10:11]
	s_cbranch_execz .LBB31_35
; %bb.34:                               ;   in Loop: Header=BB31_12 Depth=1
	v_mad_u64_u32 v[2:3], s[74:75], v1, s57, v[112:113]
	v_ashrrev_i32_e32 v3, 31, v2
	v_lshl_add_u64 v[2:3], v[2:3], 3, v[176:177]
	global_load_dwordx2 v[4:5], v[2:3], off
	s_nop 0
	global_load_dwordx2 v[2:3], v[2:3], off offset:512
	s_waitcnt vmcnt(1)
	v_cvt_pk_f16_f32 v1, v4, v5
	s_waitcnt vmcnt(0)
	v_cvt_pk_f16_f32 v2, v2, v3
	v_pk_mul_f16 v1, v1, v249
	v_pk_mul_f16 v2, v2, v249
	ds_write2st64_b32 v222, v1, v2 offset1:1
.LBB31_35:                              ;   in Loop: Header=BB31_12 Depth=1
	s_or_b64 exec, exec, s[10:11]
	v_add_u32_e32 v1, v94, v113
	v_or_b32_e32 v2, v221, v43
	v_cmp_le_i32_e32 vcc, s36, v1
	v_cmp_le_i32_e64 s[10:11], s3, v2
	s_or_b64 s[10:11], vcc, s[10:11]
	s_and_saveexec_b64 s[74:75], s[10:11]
	s_xor_b64 s[10:11], exec, s[74:75]
; %bb.36:                               ;   in Loop: Header=BB31_12 Depth=1
	v_add_u32_e32 v1, v231, v246
	v_add_u32_e32 v1, 64, v1
	ds_write2st64_b32 v1, v45, v45 offset0:41 offset1:42
                                        ; implicit-def: $vgpr1
; %bb.37:                               ;   in Loop: Header=BB31_12 Depth=1
	s_andn2_saveexec_b64 s[10:11], s[10:11]
	s_cbranch_execz .LBB31_39
; %bb.38:                               ;   in Loop: Header=BB31_12 Depth=1
	v_mad_u64_u32 v[2:3], s[74:75], v1, s57, v[118:119]
	v_ashrrev_i32_e32 v3, 31, v2
	v_lshl_add_u64 v[2:3], v[2:3], 3, v[176:177]
	global_load_dwordx2 v[4:5], v[2:3], off
	s_nop 0
	global_load_dwordx2 v[2:3], v[2:3], off offset:512
	s_waitcnt vmcnt(1)
	v_cvt_pk_f16_f32 v1, v4, v5
	s_waitcnt vmcnt(0)
	v_cvt_pk_f16_f32 v2, v2, v3
	v_pk_mul_f16 v1, v1, v249
	v_pk_mul_f16 v2, v2, v249
	ds_write2st64_b32 v240, v1, v2 offset1:1
.LBB31_39:                              ;   in Loop: Header=BB31_12 Depth=1
	s_or_b64 exec, exec, s[10:11]
	v_add_u32_e32 v1, v239, v113
	v_cmp_le_i32_e32 vcc, s36, v1
	s_or_b64 s[10:11], vcc, s[14:15]
	s_and_saveexec_b64 s[14:15], s[10:11]
	s_xor_b64 s[10:11], exec, s[14:15]
; %bb.40:                               ;   in Loop: Header=BB31_12 Depth=1
	v_add_u32_e32 v1, v231, v246
	v_add_u32_e32 v1, 0x80, v1
	ds_write2st64_b32 v1, v45, v45 offset0:49 offset1:50
                                        ; implicit-def: $vgpr1
; %bb.41:                               ;   in Loop: Header=BB31_12 Depth=1
	s_andn2_saveexec_b64 s[10:11], s[10:11]
	s_cbranch_execz .LBB31_43
; %bb.42:                               ;   in Loop: Header=BB31_12 Depth=1
	v_mad_u64_u32 v[2:3], s[14:15], v1, s57, v[112:113]
	v_ashrrev_i32_e32 v3, 31, v2
	v_lshl_add_u64 v[2:3], v[2:3], 3, v[176:177]
	global_load_dwordx2 v[4:5], v[2:3], off
	s_nop 0
	global_load_dwordx2 v[2:3], v[2:3], off offset:512
	s_waitcnt vmcnt(1)
	v_cvt_pk_f16_f32 v1, v4, v5
	s_waitcnt vmcnt(0)
	v_cvt_pk_f16_f32 v2, v2, v3
	v_pk_mul_f16 v1, v1, v249
	v_pk_mul_f16 v2, v2, v249
	ds_write2st64_b32 v92, v1, v2 offset1:1
.LBB31_43:                              ;   in Loop: Header=BB31_12 Depth=1
	s_or_b64 exec, exec, s[10:11]
	v_add_u32_e32 v1, v238, v113
	v_or_b32_e32 v2, v90, v43
	v_cmp_le_i32_e32 vcc, s36, v1
	v_cmp_le_i32_e64 s[10:11], s3, v2
	s_or_b64 s[10:11], vcc, s[10:11]
	s_and_saveexec_b64 s[14:15], s[10:11]
	s_xor_b64 s[10:11], exec, s[14:15]
; %bb.44:                               ;   in Loop: Header=BB31_12 Depth=1
	v_add_u32_e32 v1, v231, v246
	v_add_u32_e32 v1, 0xc0, v1
	ds_write2st64_b32 v1, v45, v45 offset0:57 offset1:58
                                        ; implicit-def: $vgpr1
; %bb.45:                               ;   in Loop: Header=BB31_12 Depth=1
	s_andn2_saveexec_b64 s[10:11], s[10:11]
	s_cbranch_execz .LBB31_47
; %bb.46:                               ;   in Loop: Header=BB31_12 Depth=1
	v_mad_u64_u32 v[2:3], s[14:15], v1, s57, v[120:121]
	v_ashrrev_i32_e32 v3, 31, v2
	v_lshl_add_u64 v[2:3], v[2:3], 3, v[176:177]
	global_load_dwordx2 v[4:5], v[2:3], off
	s_nop 0
	global_load_dwordx2 v[2:3], v[2:3], off offset:512
	s_waitcnt vmcnt(1)
	v_cvt_pk_f16_f32 v1, v4, v5
	s_waitcnt vmcnt(0)
	v_cvt_pk_f16_f32 v2, v2, v3
	v_pk_mul_f16 v1, v1, v249
	v_pk_mul_f16 v2, v2, v249
	ds_write2st64_b32 v237, v1, v2 offset1:1
.LBB31_47:                              ;   in Loop: Header=BB31_12 Depth=1
	s_or_b64 exec, exec, s[10:11]
	s_waitcnt lgkmcnt(0)
	s_barrier
	ds_read2_b64 v[30:33], v101 offset1:4
	ds_read2_b64 v[26:29], v101 offset0:8 offset1:12
	ds_read2_b64 v[22:25], v101 offset0:16 offset1:20
	;; [unrolled: 1-line block ×7, first 2 shown]
	v_add_u32_e32 v181, -1, v180
	v_cmp_ge_i32_e32 vcc, s72, v181
	s_waitcnt lgkmcnt(0)
	s_barrier
	s_cbranch_vccnz .LBB31_53
; %bb.48:                               ;   in Loop: Header=BB31_12 Depth=1
	v_add_u32_e32 v1, v113, v103
	v_mul_hi_u32 v34, s44, v1
	v_add_u32_e32 v34, v1, v34
	v_lshrrev_b32_e32 v34, s45, v34
	v_mul_lo_u32 v34, v34, s36
	v_sub_u32_e32 v1, v1, v34
	v_mad_i64_i32 v[34:35], s[10:11], v1, s46, 0
	v_lshl_add_u64 v[34:35], v[34:35], 1, v[164:165]
	v_lshlrev_b32_e32 v44, 1, v46
	v_and_b32_e32 v1, 64, v248
	v_lshl_add_u64 v[178:179], v[34:35], 0, v[44:45]
	v_add_u32_e32 v1, 64, v1
	v_xor_b32_e32 v34, 32, v248
	v_cmp_lt_i32_e32 vcc, v34, v1
	s_lshl_b32 s10, s72, 6
	v_mov_b32_e32 v137, 0xfeffffff
	v_cndmask_b32_e32 v34, v248, v34, vcc
	v_lshlrev_b32_e32 v182, 2, v34
	v_xor_b32_e32 v34, 16, v248
	v_cmp_lt_i32_e32 vcc, v34, v1
	v_mov_b32_e32 v136, 0
	v_mov_b32_e32 v37, 0
	v_cndmask_b32_e32 v1, v248, v34, vcc
	v_lshlrev_b32_e32 v183, 2, v1
	v_mov_b32_e32 v34, 0
	v_mov_b32_e32 v36, 0
	;; [unrolled: 1-line block ×31, first 2 shown]
	s_ashr_i32 s11, s10, 31
	s_and_saveexec_b64 s[14:15], s[4:5]
	s_cbranch_execz .LBB31_50
.LBB31_49:                              ;   in Loop: Header=BB31_12 Depth=1
	v_lshl_add_u64 v[138:139], s[10:11], 1, v[178:179]
	global_load_dword v44, v[138:139], off
	s_waitcnt vmcnt(0)
	ds_write_b32 v206, v44 offset:33792
.LBB31_50:                              ;   Parent Loop BB31_12 Depth=1
                                        ; =>  This Inner Loop Header: Depth=2
	s_or_b64 exec, exec, s[14:15]
	s_mul_hi_i32 s15, s10, s38
	s_mul_i32 s14, s10, s38
	s_lshl_b64 s[14:15], s[14:15], 2
	v_lshl_add_u64 v[138:139], v[162:163], 0, s[14:15]
	v_lshl_add_u64 v[140:141], v[48:49], 2, v[138:139]
	v_lshlrev_b32_e32 v44, 2, v42
	v_lshl_add_u64 v[140:141], v[140:141], 0, v[44:45]
	v_lshl_add_u64 v[142:143], v[50:51], 2, v[138:139]
	;; [unrolled: 1-line block ×9, first 2 shown]
	global_load_dwordx4 v[138:141], v[140:141], off
	v_lshl_add_u64 v[142:143], v[142:143], 0, v[44:45]
	v_lshl_add_u64 v[144:145], v[144:145], 0, v[44:45]
	;; [unrolled: 1-line block ×6, first 2 shown]
	v_add_u32_e32 v100, 0x4000, v111
	s_mul_hi_i32 s15, s10, s34
	s_mul_i32 s14, s10, s34
	s_lshl_b64 s[14:15], s[14:15], 2
	s_add_i32 s72, s72, 1
	s_add_i32 s10, s10, 64
	s_waitcnt vmcnt(0)
	ds_write_b128 v105, v[138:141]
	global_load_dwordx4 v[138:141], v[142:143], off
	s_waitcnt vmcnt(0)
	ds_write_b128 v250, v[138:141]
	global_load_dwordx4 v[138:141], v[144:145], off
	;; [unrolled: 3-line block ×7, first 2 shown]
	s_waitcnt vmcnt(0)
	ds_write_b128 v247, v[138:141]
	s_waitcnt lgkmcnt(0)
	s_barrier
	ds_read2_b64 v[138:141], v111 offset1:4
	s_waitcnt lgkmcnt(0)
	v_mfma_f32_16x16x16_f16 a[0:3], v[138:139], v[30:31], 0
	v_mfma_f32_16x16x16_f16 a[0:3], v[140:141], v[32:33], a[0:3]
	ds_read2_b64 v[138:141], v111 offset0:8 offset1:12
	s_waitcnt lgkmcnt(0)
	v_mfma_f32_16x16x16_f16 a[0:3], v[138:139], v[26:27], a[0:3]
	v_mfma_f32_16x16x16_f16 a[0:3], v[140:141], v[28:29], a[0:3]
	ds_read2_b64 v[138:141], v111 offset0:16 offset1:20
	;; [unrolled: 4-line block ×8, first 2 shown]
	s_waitcnt lgkmcnt(0)
	v_mfma_f32_16x16x16_f16 a[4:7], v[138:139], v[30:31], 0
	s_nop 4
	v_accvgpr_read_b32 v121, a0
	v_mfma_f32_16x16x16_f16 a[4:7], v[140:141], v[32:33], a[4:7]
	ds_read2_b64 v[138:141], v100 offset0:72 offset1:76
	s_waitcnt lgkmcnt(0)
	v_mfma_f32_16x16x16_f16 a[4:7], v[138:139], v[26:27], a[4:7]
	v_mfma_f32_16x16x16_f16 a[4:7], v[140:141], v[28:29], a[4:7]
	ds_read2_b64 v[138:141], v100 offset0:80 offset1:84
	s_waitcnt lgkmcnt(0)
	v_mfma_f32_16x16x16_f16 a[4:7], v[138:139], v[22:23], a[4:7]
	;; [unrolled: 4-line block ×6, first 2 shown]
	v_mfma_f32_16x16x16_f16 a[4:7], v[140:141], v[8:9], a[4:7]
	ds_read2_b64 v[138:141], v100 offset0:120 offset1:124
	v_add_u32_e32 v100, 0x8400, v200
	s_waitcnt lgkmcnt(0)
	v_mfma_f32_16x16x16_f16 a[4:7], v[138:139], v[2:3], a[4:7]
	s_barrier
	ds_read2_b32 v[138:139], v100 offset1:1
	v_mfma_f32_16x16x16_f16 a[4:7], v[140:141], v[4:5], a[4:7]
	s_waitcnt lgkmcnt(0)
	v_cvt_f32_f16_e32 v100, v138
	v_cvt_f32_f16_sdwa v119, v138 dst_sel:DWORD dst_unused:UNUSED_PAD src0_sel:WORD_1
	v_add_f32_e32 v138, v121, v100
	v_accvgpr_read_b32 v100, a1
	v_add_f32_e32 v140, v100, v119
	v_cvt_f32_f16_e32 v100, v139
	v_cvt_f32_f16_sdwa v119, v139 dst_sel:DWORD dst_unused:UNUSED_PAD src0_sel:WORD_1
	v_accvgpr_read_b32 v121, a2
	v_accvgpr_read_b32 v143, a6
	v_add_f32_e32 v141, v121, v100
	v_accvgpr_read_b32 v100, a3
	v_add_f32_e32 v142, v100, v119
	ds_read_b32 v100, v207 offset:33792
	v_accvgpr_read_b32 v121, a4
	s_waitcnt lgkmcnt(0)
	v_cvt_f32_f16_e32 v119, v100
	v_cvt_f32_f16_sdwa v100, v100 dst_sel:DWORD dst_unused:UNUSED_PAD src0_sel:WORD_1
	v_add_f32_e32 v121, v121, v119
	v_accvgpr_read_b32 v119, a5
	v_add_f32_e32 v100, v119, v100
	ds_read_b32 v119, v208 offset:33792
	s_waitcnt lgkmcnt(0)
	v_cvt_f32_f16_e32 v139, v119
	v_cvt_f32_f16_sdwa v119, v119 dst_sel:DWORD dst_unused:UNUSED_PAD src0_sel:WORD_1
	v_add_f32_e32 v144, v143, v139
	v_accvgpr_read_b32 v139, a7
	v_add_f32_e32 v145, v139, v119
	v_add_f32_e32 v119, 0x40051340, v138
	;; [unrolled: 1-line block ×3, first 2 shown]
	v_max3_f32 v119, v137, v119, v139
	v_add_f32_e32 v139, 0x40051340, v141
	v_add_f32_e32 v143, 0x40051340, v142
	v_max3_f32 v119, v119, v139, v143
	v_add_f32_e32 v139, 0x40051340, v121
	v_add_f32_e32 v143, 0x40051340, v100
	;; [unrolled: 3-line block ×3, first 2 shown]
	v_max3_f32 v119, v119, v139, v143
	ds_bpermute_b32 v139, v182, v119
	s_waitcnt lgkmcnt(0)
	v_max_f32_e32 v139, v139, v139
	v_max_f32_e32 v119, v119, v139
	ds_bpermute_b32 v139, v183, v119
	s_waitcnt lgkmcnt(0)
	v_max_f32_e32 v139, v139, v139
	v_max_f32_e32 v119, v119, v139
	v_sub_f32_e32 v138, v138, v119
	v_mul_f32_e32 v139, 0x3fb8aa3b, v138
	v_fma_f32 v143, v138, s47, -v139
	v_rndne_f32_e32 v146, v139
	v_fmac_f32_e32 v143, 0x32a5705f, v138
	v_sub_f32_e32 v139, v139, v146
	v_add_f32_e32 v139, v139, v143
	v_exp_f32_e32 v139, v139
	v_cvt_i32_f32_e32 v143, v146
	v_cmp_ngt_f32_e32 vcc, s65, v138
	v_sub_f32_e32 v121, v121, v119
	v_sub_f32_e32 v100, v100, v119
	v_ldexp_f32 v139, v139, v143
	v_cndmask_b32_e32 v139, 0, v139, vcc
	v_cmp_nlt_f32_e32 vcc, s91, v138
	s_nop 1
	v_cndmask_b32_e32 v138, v227, v139, vcc
	v_sub_f32_e32 v139, v140, v119
	v_mul_f32_e32 v140, 0x3fb8aa3b, v139
	v_fma_f32 v143, v139, s47, -v140
	v_rndne_f32_e32 v146, v140
	v_fmac_f32_e32 v143, 0x32a5705f, v139
	v_sub_f32_e32 v140, v140, v146
	v_add_f32_e32 v140, v140, v143
	v_exp_f32_e32 v140, v140
	v_cvt_i32_f32_e32 v143, v146
	v_cmp_ngt_f32_e32 vcc, s65, v139
	v_ldexp_f32 v140, v140, v143
	s_nop 0
	v_cndmask_b32_e32 v140, 0, v140, vcc
	v_cmp_nlt_f32_e32 vcc, s91, v139
	s_nop 1
	v_cndmask_b32_e32 v139, v227, v140, vcc
	v_sub_f32_e32 v140, v141, v119
	v_mul_f32_e32 v141, 0x3fb8aa3b, v140
	v_fma_f32 v146, v140, s47, -v141
	v_rndne_f32_e32 v147, v141
	v_fmac_f32_e32 v146, 0x32a5705f, v140
	v_sub_f32_e32 v141, v141, v147
	v_add_f32_e32 v141, v141, v146
	v_exp_f32_e32 v141, v141
	v_cvt_i32_f32_e32 v146, v147
	v_cmp_ngt_f32_e32 vcc, s65, v140
	v_add_f32_e32 v143, v138, v139
	v_ldexp_f32 v141, v141, v146
	v_cndmask_b32_e32 v141, 0, v141, vcc
	v_cmp_nlt_f32_e32 vcc, s91, v140
	s_nop 1
	v_cndmask_b32_e32 v140, v227, v141, vcc
	v_sub_f32_e32 v141, v142, v119
	v_mul_f32_e32 v142, 0x3fb8aa3b, v141
	v_fma_f32 v146, v141, s47, -v142
	v_rndne_f32_e32 v147, v142
	v_fmac_f32_e32 v146, 0x32a5705f, v141
	v_sub_f32_e32 v142, v142, v147
	v_add_f32_e32 v142, v142, v146
	v_exp_f32_e32 v142, v142
	v_cvt_i32_f32_e32 v146, v147
	v_cmp_ngt_f32_e32 vcc, s65, v141
	v_add_f32_e32 v143, v140, v143
	v_ldexp_f32 v142, v142, v146
	v_cndmask_b32_e32 v142, 0, v142, vcc
	v_cmp_nlt_f32_e32 vcc, s91, v141
	s_nop 1
	v_cndmask_b32_e32 v141, v227, v142, vcc
	v_mul_f32_e32 v142, 0x3fb8aa3b, v121
	v_fma_f32 v146, v121, s47, -v142
	v_rndne_f32_e32 v147, v142
	v_fmac_f32_e32 v146, 0x32a5705f, v121
	v_sub_f32_e32 v142, v142, v147
	v_add_f32_e32 v142, v142, v146
	v_exp_f32_e32 v142, v142
	v_cvt_i32_f32_e32 v146, v147
	v_cmp_ngt_f32_e32 vcc, s65, v121
	v_add_f32_e32 v143, v141, v143
	v_ldexp_f32 v142, v142, v146
	v_cndmask_b32_e32 v142, 0, v142, vcc
	v_cmp_nlt_f32_e32 vcc, s91, v121
	s_nop 1
	v_cndmask_b32_e32 v142, v227, v142, vcc
	v_add_f32_e32 v121, v142, v143
	v_mul_f32_e32 v143, 0x3fb8aa3b, v100
	v_fma_f32 v146, v100, s47, -v143
	v_rndne_f32_e32 v147, v143
	v_fmac_f32_e32 v146, 0x32a5705f, v100
	v_sub_f32_e32 v143, v143, v147
	v_add_f32_e32 v143, v143, v146
	v_exp_f32_e32 v143, v143
	v_cvt_i32_f32_e32 v146, v147
	v_cmp_ngt_f32_e32 vcc, s65, v100
	v_ldexp_f32 v143, v143, v146
	s_nop 0
	v_cndmask_b32_e32 v143, 0, v143, vcc
	v_cmp_nlt_f32_e32 vcc, s91, v100
	s_nop 1
	v_cndmask_b32_e32 v143, v227, v143, vcc
	v_add_f32_e32 v100, v143, v121
	v_sub_f32_e32 v121, v144, v119
	v_mul_f32_e32 v144, 0x3fb8aa3b, v121
	v_fma_f32 v146, v121, s47, -v144
	v_rndne_f32_e32 v147, v144
	v_fmac_f32_e32 v146, 0x32a5705f, v121
	v_sub_f32_e32 v144, v144, v147
	v_add_f32_e32 v144, v144, v146
	v_exp_f32_e32 v144, v144
	v_cvt_i32_f32_e32 v146, v147
	v_cmp_ngt_f32_e32 vcc, s65, v121
	v_ldexp_f32 v144, v144, v146
	s_nop 0
	v_cndmask_b32_e32 v144, 0, v144, vcc
	v_cmp_nlt_f32_e32 vcc, s91, v121
	v_sub_f32_e32 v121, v145, v119
	v_mul_f32_e32 v145, 0x3fb8aa3b, v121
	v_fma_f32 v146, v121, s47, -v145
	v_rndne_f32_e32 v147, v145
	v_fmac_f32_e32 v146, 0x32a5705f, v121
	v_sub_f32_e32 v145, v145, v147
	v_add_f32_e32 v145, v145, v146
	v_exp_f32_e32 v145, v145
	v_cvt_i32_f32_e32 v146, v147
	v_cndmask_b32_e32 v144, v227, v144, vcc
	v_cmp_ngt_f32_e32 vcc, s65, v121
	v_add_f32_e32 v100, v144, v100
	v_ldexp_f32 v145, v145, v146
	v_cndmask_b32_e32 v145, 0, v145, vcc
	v_cmp_nlt_f32_e32 vcc, s91, v121
	s_nop 1
	v_cndmask_b32_e32 v145, v227, v145, vcc
	v_add_f32_e32 v121, v145, v100
	v_sub_f32_e32 v100, v137, v119
	v_mul_f32_e32 v137, 0x3fb8aa3b, v100
	v_fma_f32 v146, v100, s47, -v137
	v_rndne_f32_e32 v147, v137
	v_fmac_f32_e32 v146, 0x32a5705f, v100
	v_sub_f32_e32 v137, v137, v147
	v_add_f32_e32 v137, v137, v146
	v_exp_f32_e32 v137, v137
	v_cvt_i32_f32_e32 v146, v147
	v_cmp_ngt_f32_e32 vcc, s65, v100
	v_ldexp_f32 v137, v137, v146
	s_nop 0
	v_cndmask_b32_e32 v137, 0, v137, vcc
	v_cmp_nlt_f32_e32 vcc, s91, v100
	s_nop 1
	v_cndmask_b32_e32 v137, v227, v137, vcc
	v_cmp_le_f32_e32 vcc, s92, v100
	s_nop 1
	v_cndmask_b32_e32 v100, 0, v137, vcc
	v_fmac_f32_e32 v121, v136, v100
	v_cvt_f16_f32_e32 v100, v100
	v_cmp_lt_i32_e32 vcc, s72, v181
	s_and_b64 vcc, exec, vcc
	v_mul_u32_u24_e32 v146, 0x10001, v100
	v_pk_mul_f16 v137, v135, v146
	v_pk_mul_f16 v135, v130, v146
	;; [unrolled: 1-line block ×7, first 2 shown]
	v_lshl_add_u64 v[34:35], v[160:161], 0, s[14:15]
	v_pk_mul_f16 v136, v131, v146
	v_pk_mul_f16 v131, v128, v146
	;; [unrolled: 1-line block ×6, first 2 shown]
	v_lshl_add_u64 v[36:37], v[64:65], 2, v[34:35]
	v_pk_mul_f16 v100, v132, v146
	v_pk_mul_f16 v126, v126, v146
	v_pk_mul_f16 v109, v109, v146
	v_pk_mul_f16 v108, v108, v146
	v_pk_mul_f16 v89, v89, v146
	v_pk_mul_f16 v86, v86, v146
	v_pk_mul_f16 v39, v39, v146
	v_pk_mul_f16 v95, v95, v146
	v_pk_mul_f16 v91, v91, v146
	v_pk_mul_f16 v87, v87, v146
	v_pk_mul_f16 v84, v84, v146
	v_pk_mul_f16 v125, v125, v146
	v_pk_mul_f16 v124, v124, v146
	v_pk_mul_f16 v132, v129, v146
	v_pk_mul_f16 v129, v123, v146
	v_pk_mul_f16 v123, v93, v146
	v_pk_mul_f16 v122, v122, v146
	v_pk_mul_f16 v198, v134, v146
	v_pk_mul_f16 v93, v133, v146
	v_lshl_add_u64 v[36:37], v[36:37], 0, v[44:45]
	v_lshl_add_u64 v[146:147], v[66:67], 2, v[34:35]
	v_lshl_add_u64 v[148:149], v[68:69], 2, v[34:35]
	v_lshl_add_u64 v[150:151], v[70:71], 2, v[34:35]
	v_lshl_add_u64 v[152:153], v[72:73], 2, v[34:35]
	v_lshl_add_u64 v[154:155], v[74:75], 2, v[34:35]
	v_lshl_add_u64 v[184:185], v[76:77], 2, v[34:35]
	v_lshl_add_u64 v[34:35], v[78:79], 2, v[34:35]
	v_lshl_add_u64 v[186:187], v[34:35], 0, v[44:45]
	global_load_dwordx4 v[34:37], v[36:37], off
	v_lshl_add_u64 v[146:147], v[146:147], 0, v[44:45]
	v_lshl_add_u64 v[148:149], v[148:149], 0, v[44:45]
	;; [unrolled: 1-line block ×6, first 2 shown]
	v_cvt_f32_f16_e32 v44, v137
	v_cvt_f32_f16_sdwa v133, v137 dst_sel:DWORD dst_unused:UNUSED_PAD src0_sel:WORD_1
	v_cvt_f32_f16_e32 v134, v100
	v_cvt_f32_f16_sdwa v100, v100 dst_sel:DWORD dst_unused:UNUSED_PAD src0_sel:WORD_1
	v_accvgpr_write_b32 a0, v44
	v_accvgpr_write_b32 a1, v133
	;; [unrolled: 1-line block ×4, first 2 shown]
	s_waitcnt vmcnt(0)
	ds_write_b128 v105, v[34:37]
	global_load_dwordx4 v[34:37], v[146:147], off
	v_cvt_f32_f16_sdwa v147, v122 dst_sel:DWORD dst_unused:UNUSED_PAD src0_sel:WORD_1
	s_waitcnt vmcnt(0)
	ds_write_b128 v250, v[34:37]
	global_load_dwordx4 v[34:37], v[148:149], off
	v_cvt_f32_f16_e32 v148, v47
	v_cvt_f32_f16_sdwa v47, v47 dst_sel:DWORD dst_unused:UNUSED_PAD src0_sel:WORD_1
	v_cvt_f32_f16_e32 v149, v1
	v_cvt_f32_f16_sdwa v1, v1 dst_sel:DWORD dst_unused:UNUSED_PAD src0_sel:WORD_1
	s_waitcnt vmcnt(0)
	ds_write_b128 v251, v[34:37]
	global_load_dwordx4 v[34:37], v[150:151], off
	v_cvt_f32_f16_e32 v150, v198
	v_cvt_f32_f16_sdwa v151, v198 dst_sel:DWORD dst_unused:UNUSED_PAD src0_sel:WORD_1
	s_waitcnt vmcnt(0)
	ds_write_b128 v252, v[34:37]
	global_load_dwordx4 v[34:37], v[152:153], off
	v_cvt_f32_f16_e32 v152, v93
	v_cvt_f32_f16_sdwa v93, v93 dst_sel:DWORD dst_unused:UNUSED_PAD src0_sel:WORD_1
	v_cvt_f32_f16_e32 v153, v85
	v_cvt_f32_f16_sdwa v85, v85 dst_sel:DWORD dst_unused:UNUSED_PAD src0_sel:WORD_1
	s_waitcnt vmcnt(0)
	ds_write_b128 v253, v[34:37]
	global_load_dwordx4 v[34:37], v[154:155], off
	v_cvt_f32_f16_sdwa v154, v192 dst_sel:DWORD dst_unused:UNUSED_PAD src0_sel:WORD_1
	v_cvt_f32_f16_e32 v155, v191
	v_cvt_f32_f16_sdwa v191, v191 dst_sel:DWORD dst_unused:UNUSED_PAD src0_sel:WORD_1
	s_waitcnt vmcnt(0)
	ds_write_b128 v254, v[34:37]
	global_load_dwordx4 v[34:37], v[184:185], off
	s_waitcnt vmcnt(0)
	ds_write_b128 v255, v[34:37]
	global_load_dwordx4 v[34:37], v[186:187], off
	s_waitcnt vmcnt(0)
	ds_write_b128 v247, v[34:37]
	s_waitcnt lgkmcnt(0)
	s_barrier
	ds_read_u16 v34, v201 offset:528
	ds_read_u16 v35, v201 offset:1056
	ds_read_u16 v36, v202
	ds_read_u16 v137, v202 offset:32
	v_cvt_pk_f16_f32 v37, v140, v141
	s_waitcnt lgkmcnt(1)
	v_perm_b32 v35, v36, v35, s93
	ds_read_u16 v36, v201
	ds_read_u16 v146, v201 offset:32
	s_waitcnt lgkmcnt(1)
	v_perm_b32 v34, v34, v36, s93
	v_cvt_pk_f16_f32 v36, v138, v139
	ds_read_u16 v133, v201 offset:16896
	ds_read_u16 v134, v201 offset:17424
	;; [unrolled: 1-line block ×4, first 2 shown]
	v_mfma_f32_16x16x16_f16 a[0:3], v[34:35], v[36:37], a[0:3]
	s_waitcnt lgkmcnt(0)
	v_perm_b32 v139, v139, v138, s93
	v_perm_b32 v138, v134, v133, s93
	v_cvt_f32_f16_e32 v134, v126
	v_cvt_f32_f16_sdwa v126, v126 dst_sel:DWORD dst_unused:UNUSED_PAD src0_sel:WORD_1
	s_nop 2
	v_accvgpr_read_b32 v100, a3
	v_cvt_f16_f32_e32 v100, v100
	v_accvgpr_read_b32 v34, a0
	v_accvgpr_read_b32 v35, a1
	;; [unrolled: 1-line block ×3, first 2 shown]
	v_cvt_f16_f32_e32 v34, v34
	v_cvt_f16_f32_e32 v35, v35
	;; [unrolled: 1-line block ×3, first 2 shown]
	v_cvt_f32_f16_e32 v100, v100
	v_cvt_f32_f16_e32 v140, v34
	;; [unrolled: 1-line block ×4, first 2 shown]
	v_accvgpr_write_b32 a3, v100
	ds_read_u16 v100, v201 offset:560
	ds_read_u16 v133, v201 offset:1088
	v_cvt_pk_f16_f32 v35, v144, v145
	v_cvt_pk_f16_f32 v34, v142, v143
	v_accvgpr_write_b32 a0, v140
	v_accvgpr_write_b32 a1, v141
	;; [unrolled: 1-line block ×3, first 2 shown]
	v_cvt_f32_f16_e32 v140, v109
	v_cvt_f32_f16_sdwa v109, v109 dst_sel:DWORD dst_unused:UNUSED_PAD src0_sel:WORD_1
	v_mfma_f32_16x16x16_f16 a[0:3], v[138:139], v[34:35], a[0:3]
	s_waitcnt lgkmcnt(0)
	v_perm_b32 v139, v137, v133, s93
	v_perm_b32 v138, v100, v146, s93
	v_cvt_f32_f16_e32 v142, v130
	v_cvt_f32_f16_sdwa v130, v130 dst_sel:DWORD dst_unused:UNUSED_PAD src0_sel:WORD_1
	v_cvt_f32_f16_e32 v143, v129
	v_cvt_f32_f16_sdwa v129, v129 dst_sel:DWORD dst_unused:UNUSED_PAD src0_sel:WORD_1
	;; [unrolled: 2-line block ×3, first 2 shown]
	v_accvgpr_read_b32 v44, a0
	v_accvgpr_read_b32 v184, a1
	;; [unrolled: 1-line block ×4, first 2 shown]
	v_accvgpr_write_b32 a0, v134
	v_accvgpr_write_b32 a1, v126
	v_accvgpr_write_b32 a2, v140
	v_accvgpr_write_b32 a3, v109
	v_cvt_f32_f16_sdwa v140, v124 dst_sel:DWORD dst_unused:UNUSED_PAD src0_sel:WORD_1
	v_cvt_f32_f16_e32 v145, v127
	v_mfma_f32_16x16x16_f16 a[0:3], v[138:139], v[36:37], a[0:3]
	ds_read_u16 v134, v201 offset:16928
	ds_read_u16 v137, v201 offset:17456
	ds_read_u16 v138, v201 offset:17984
	ds_read_u16 v139, v202 offset:16928
	v_cvt_f32_f16_sdwa v127, v127 dst_sel:DWORD dst_unused:UNUSED_PAD src0_sel:WORD_1
	v_cvt_f32_f16_e32 v146, v122
	s_waitcnt lgkmcnt(0)
	v_perm_b32 v139, v139, v138, s93
	v_accvgpr_read_b32 v100, a0
	v_accvgpr_read_b32 v109, a1
	;; [unrolled: 1-line block ×4, first 2 shown]
	v_cvt_f16_f32_e32 v100, v100
	v_cvt_f16_f32_e32 v109, v109
	;; [unrolled: 1-line block ×4, first 2 shown]
	v_cvt_f32_f16_e32 v100, v100
	v_cvt_f32_f16_e32 v109, v109
	;; [unrolled: 1-line block ×4, first 2 shown]
	v_perm_b32 v138, v137, v134, s93
	v_accvgpr_write_b32 a0, v100
	v_accvgpr_write_b32 a1, v109
	;; [unrolled: 1-line block ×4, first 2 shown]
	ds_read_u16 v100, v201 offset:64
	ds_read_u16 v126, v201 offset:592
	;; [unrolled: 1-line block ×4, first 2 shown]
	v_mfma_f32_16x16x16_f16 a[0:3], v[138:139], v[34:35], a[0:3]
	v_cvt_f32_f16_e32 v134, v108
	v_cvt_f32_f16_sdwa v137, v108 dst_sel:DWORD dst_unused:UNUSED_PAD src0_sel:WORD_1
	v_cvt_f32_f16_e32 v138, v89
	v_cvt_f32_f16_sdwa v89, v89 dst_sel:DWORD dst_unused:UNUSED_PAD src0_sel:WORD_1
	s_waitcnt lgkmcnt(0)
	v_perm_b32 v109, v133, v109, s93
	v_perm_b32 v108, v126, v100, s93
	s_nop 0
	v_accvgpr_read_b32 v187, a0
	v_accvgpr_read_b32 v188, a1
	;; [unrolled: 1-line block ×4, first 2 shown]
	v_accvgpr_write_b32 a0, v134
	v_accvgpr_write_b32 a1, v137
	;; [unrolled: 1-line block ×4, first 2 shown]
	ds_read_u16 v126, v201 offset:16960
	ds_read_u16 v133, v201 offset:17488
	;; [unrolled: 1-line block ×4, first 2 shown]
	v_mfma_f32_16x16x16_f16 a[0:3], v[108:109], v[36:37], a[0:3]
	s_nop 7
	v_accvgpr_read_b32 v89, a0
	v_accvgpr_read_b32 v100, a1
	;; [unrolled: 1-line block ×4, first 2 shown]
	v_cvt_f16_f32_e32 v89, v89
	v_cvt_f16_f32_e32 v100, v100
	v_cvt_f16_f32_e32 v108, v108
	v_cvt_f16_f32_e32 v109, v109
	v_cvt_f32_f16_e32 v89, v89
	v_cvt_f32_f16_e32 v100, v100
	v_cvt_f32_f16_e32 v138, v108
	v_cvt_f32_f16_e32 v139, v109
	s_waitcnt lgkmcnt(0)
	v_perm_b32 v109, v137, v134, s93
	v_perm_b32 v108, v133, v126, s93
	v_accvgpr_write_b32 a0, v89
	v_accvgpr_write_b32 a1, v100
	;; [unrolled: 1-line block ×4, first 2 shown]
	v_cvt_f32_f16_e32 v126, v86
	v_cvt_f32_f16_sdwa v86, v86 dst_sel:DWORD dst_unused:UNUSED_PAD src0_sel:WORD_1
	v_mfma_f32_16x16x16_f16 a[0:3], v[108:109], v[34:35], a[0:3]
	ds_read_u16 v89, v201 offset:96
	ds_read_u16 v100, v201 offset:624
	;; [unrolled: 1-line block ×4, first 2 shown]
	v_cvt_f32_f16_e32 v133, v39
	v_cvt_f32_f16_sdwa v39, v39 dst_sel:DWORD dst_unused:UNUSED_PAD src0_sel:WORD_1
	v_cvt_f32_f16_e32 v134, v91
	v_cvt_f32_f16_sdwa v91, v91 dst_sel:DWORD dst_unused:UNUSED_PAD src0_sel:WORD_1
	s_waitcnt lgkmcnt(0)
	v_perm_b32 v109, v109, v108, s93
	v_perm_b32 v108, v100, v89, s93
	v_accvgpr_read_b32 v193, a0
	v_accvgpr_read_b32 v194, a1
	;; [unrolled: 1-line block ×4, first 2 shown]
	v_accvgpr_write_b32 a0, v126
	v_accvgpr_write_b32 a1, v86
	v_accvgpr_write_b32 a2, v133
	v_accvgpr_write_b32 a3, v39
	s_nop 1
	v_mfma_f32_16x16x16_f16 a[0:3], v[108:109], v[36:37], a[0:3]
	ds_read_u16 v108, v201 offset:16992
	ds_read_u16 v126, v201 offset:17520
	;; [unrolled: 1-line block ×4, first 2 shown]
	s_waitcnt lgkmcnt(2)
	v_perm_b32 v108, v126, v108, s93
	s_waitcnt lgkmcnt(0)
	v_perm_b32 v109, v133, v109, s93
	v_accvgpr_read_b32 v39, a0
	v_accvgpr_read_b32 v86, a1
	;; [unrolled: 1-line block ×4, first 2 shown]
	v_cvt_f16_f32_e32 v39, v39
	v_cvt_f16_f32_e32 v86, v86
	;; [unrolled: 1-line block ×4, first 2 shown]
	v_cvt_f32_f16_e32 v39, v39
	v_cvt_f32_f16_e32 v86, v86
	;; [unrolled: 1-line block ×4, first 2 shown]
	v_accvgpr_write_b32 a0, v39
	v_accvgpr_write_b32 a1, v86
	;; [unrolled: 1-line block ×4, first 2 shown]
	v_cvt_f32_f16_e32 v133, v95
	v_cvt_f32_f16_sdwa v95, v95 dst_sel:DWORD dst_unused:UNUSED_PAD src0_sel:WORD_1
	v_mfma_f32_16x16x16_f16 a[0:3], v[108:109], v[34:35], a[0:3]
	ds_read_u16 v100, v201 offset:128
	ds_read_u16 v108, v201 offset:656
	;; [unrolled: 1-line block ×4, first 2 shown]
	s_waitcnt lgkmcnt(2)
	v_perm_b32 v108, v108, v100, s93
	s_waitcnt lgkmcnt(0)
	v_perm_b32 v109, v126, v109, s93
	v_accvgpr_read_b32 v39, a0
	v_accvgpr_read_b32 v86, a1
	;; [unrolled: 1-line block ×4, first 2 shown]
	v_accvgpr_write_b32 a0, v133
	v_accvgpr_write_b32 a1, v95
	v_accvgpr_write_b32 a2, v134
	v_accvgpr_write_b32 a3, v91
	v_cvt_pk_f16_f32 v86, v39, v86
	v_cvt_pk_f16_f32 v39, v197, v89
	v_mfma_f32_16x16x16_f16 a[0:3], v[108:109], v[36:37], a[0:3]
	ds_read_u16 v126, v201 offset:17024
	ds_read_u16 v133, v201 offset:17552
	;; [unrolled: 1-line block ×4, first 2 shown]
	v_cvt_pk_f16_f32 v89, v195, v196
	s_waitcnt lgkmcnt(0)
	v_perm_b32 v109, v134, v109, s93
	s_nop 0
	v_accvgpr_read_b32 v91, a0
	v_accvgpr_read_b32 v95, a1
	;; [unrolled: 1-line block ×3, first 2 shown]
	v_cvt_f16_f32_e32 v91, v91
	v_cvt_f16_f32_e32 v95, v95
	;; [unrolled: 1-line block ×3, first 2 shown]
	v_accvgpr_read_b32 v108, a3
	v_cvt_f16_f32_e32 v108, v108
	v_cvt_f32_f16_e32 v91, v91
	v_cvt_f32_f16_e32 v95, v95
	;; [unrolled: 1-line block ×4, first 2 shown]
	v_perm_b32 v108, v133, v126, s93
	v_accvgpr_write_b32 a0, v91
	v_accvgpr_write_b32 a1, v95
	;; [unrolled: 1-line block ×3, first 2 shown]
	ds_read_u16 v91, v201 offset:160
	ds_read_u16 v95, v201 offset:688
	ds_read_u16 v100, v201 offset:1216
	ds_read_u16 v126, v202 offset:160
	v_accvgpr_write_b32 a3, v137
	v_cvt_f32_f16_e32 v133, v87
	v_cvt_f32_f16_sdwa v87, v87 dst_sel:DWORD dst_unused:UNUSED_PAD src0_sel:WORD_1
	v_mfma_f32_16x16x16_f16 a[0:3], v[108:109], v[34:35], a[0:3]
	v_cvt_f32_f16_e32 v134, v84
	v_cvt_f32_f16_sdwa v84, v84 dst_sel:DWORD dst_unused:UNUSED_PAD src0_sel:WORD_1
	s_waitcnt lgkmcnt(0)
	v_perm_b32 v139, v126, v100, s93
	v_perm_b32 v138, v95, v91, s93
	v_cvt_f32_f16_e32 v137, v125
	s_nop 1
	v_accvgpr_read_b32 v108, a0
	v_accvgpr_read_b32 v109, a1
	;; [unrolled: 1-line block ×4, first 2 shown]
	v_accvgpr_write_b32 a0, v133
	v_accvgpr_write_b32 a1, v87
	;; [unrolled: 1-line block ×4, first 2 shown]
	ds_read_u16 v100, v201 offset:17056
	ds_read_u16 v126, v201 offset:17584
	;; [unrolled: 1-line block ×4, first 2 shown]
	v_mfma_f32_16x16x16_f16 a[0:3], v[138:139], v[36:37], a[0:3]
	s_waitcnt lgkmcnt(2)
	v_perm_b32 v138, v126, v100, s93
	s_waitcnt lgkmcnt(0)
	v_perm_b32 v139, v134, v133, s93
	ds_read_u16 v100, v201 offset:192
	ds_read_u16 v126, v201 offset:720
	;; [unrolled: 1-line block ×4, first 2 shown]
	v_accvgpr_read_b32 v84, a0
	v_accvgpr_read_b32 v87, a1
	;; [unrolled: 1-line block ×4, first 2 shown]
	v_cvt_f16_f32_e32 v84, v84
	v_cvt_f16_f32_e32 v87, v87
	;; [unrolled: 1-line block ×4, first 2 shown]
	v_cvt_f32_f16_e32 v84, v84
	v_cvt_f32_f16_e32 v87, v87
	;; [unrolled: 1-line block ×4, first 2 shown]
	v_accvgpr_write_b32 a0, v84
	v_accvgpr_write_b32 a1, v87
	;; [unrolled: 1-line block ×4, first 2 shown]
	s_nop 1
	v_mfma_f32_16x16x16_f16 a[0:3], v[138:139], v[34:35], a[0:3]
	v_cvt_f32_f16_sdwa v138, v125 dst_sel:DWORD dst_unused:UNUSED_PAD src0_sel:WORD_1
	v_cvt_f32_f16_e32 v139, v124
	s_waitcnt lgkmcnt(0)
	v_perm_b32 v125, v134, v133, s93
	v_perm_b32 v124, v126, v100, s93
	s_nop 2
	v_accvgpr_read_b32 v87, a0
	v_accvgpr_read_b32 v91, a1
	;; [unrolled: 1-line block ×4, first 2 shown]
	v_accvgpr_write_b32 a0, v137
	v_accvgpr_write_b32 a1, v138
	;; [unrolled: 1-line block ×4, first 2 shown]
	ds_read_u16 v133, v201 offset:17088
	ds_read_u16 v134, v201 offset:17616
	;; [unrolled: 1-line block ×4, first 2 shown]
	v_mfma_f32_16x16x16_f16 a[0:3], v[124:125], v[36:37], a[0:3]
	v_cvt_pk_f16_f32 v87, v87, v91
	v_cvt_pk_f16_f32 v84, v95, v84
	;; [unrolled: 1-line block ×6, first 2 shown]
	s_nop 1
	v_accvgpr_read_b32 v100, a0
	v_cvt_f16_f32_e32 v100, v100
	v_accvgpr_read_b32 v124, a1
	v_accvgpr_read_b32 v125, a2
	;; [unrolled: 1-line block ×3, first 2 shown]
	v_cvt_f16_f32_e32 v124, v124
	v_cvt_f16_f32_e32 v125, v125
	v_cvt_f16_f32_e32 v126, v126
	v_cvt_f32_f16_e32 v100, v100
	v_cvt_f32_f16_e32 v139, v124
	;; [unrolled: 1-line block ×4, first 2 shown]
	s_waitcnt lgkmcnt(0)
	v_perm_b32 v125, v138, v137, s93
	v_perm_b32 v124, v134, v133, s93
	v_accvgpr_write_b32 a0, v100
	ds_read_u16 v100, v201 offset:224
	ds_read_u16 v133, v201 offset:752
	;; [unrolled: 1-line block ×4, first 2 shown]
	v_accvgpr_write_b32 a1, v139
	v_accvgpr_write_b32 a2, v140
	;; [unrolled: 1-line block ×3, first 2 shown]
	v_cvt_f32_f16_e32 v138, v136
	v_cvt_f32_f16_sdwa v136, v136 dst_sel:DWORD dst_unused:UNUSED_PAD src0_sel:WORD_1
	v_mfma_f32_16x16x16_f16 a[0:3], v[124:125], v[34:35], a[0:3]
	v_cvt_f32_f16_e32 v139, v135
	v_cvt_f32_f16_sdwa v140, v135 dst_sel:DWORD dst_unused:UNUSED_PAD src0_sel:WORD_1
	s_waitcnt lgkmcnt(0)
	v_perm_b32 v135, v137, v134, s93
	v_perm_b32 v134, v133, v100, s93
	s_nop 2
	v_accvgpr_read_b32 v124, a0
	v_accvgpr_read_b32 v125, a1
	;; [unrolled: 1-line block ×4, first 2 shown]
	v_accvgpr_write_b32 a0, v138
	v_accvgpr_write_b32 a1, v136
	;; [unrolled: 1-line block ×4, first 2 shown]
	ds_read_u16 v136, v201 offset:17120
	ds_read_u16 v138, v201 offset:17648
	;; [unrolled: 1-line block ×4, first 2 shown]
	v_mfma_f32_16x16x16_f16 a[0:3], v[134:135], v[36:37], a[0:3]
	v_cvt_pk_f16_f32 v125, v124, v125
	v_cvt_pk_f16_f32 v124, v213, v126
	;; [unrolled: 1-line block ×3, first 2 shown]
	s_nop 4
	v_accvgpr_read_b32 v100, a0
	v_cvt_f16_f32_e32 v133, v100
	v_accvgpr_read_b32 v100, a1
	v_cvt_f16_f32_e32 v134, v100
	;; [unrolled: 2-line block ×4, first 2 shown]
	v_cvt_f32_f16_e32 v100, v133
	v_cvt_f32_f16_e32 v133, v134
	;; [unrolled: 1-line block ×4, first 2 shown]
	s_waitcnt lgkmcnt(0)
	v_perm_b32 v135, v140, v139, s93
	v_perm_b32 v134, v138, v136, s93
	v_accvgpr_write_b32 a0, v100
	v_accvgpr_write_b32 a1, v133
	;; [unrolled: 1-line block ×4, first 2 shown]
	v_cvt_f32_f16_e32 v138, v132
	v_cvt_f32_f16_sdwa v139, v132 dst_sel:DWORD dst_unused:UNUSED_PAD src0_sel:WORD_1
	v_mfma_f32_16x16x16_f16 a[0:3], v[134:135], v[34:35], a[0:3]
	ds_read_u16 v100, v201 offset:256
	ds_read_u16 v134, v201 offset:784
	ds_read_u16 v133, v201 offset:1312
	ds_read_u16 v137, v202 offset:256
	v_cvt_f32_f16_e32 v140, v131
	v_cvt_f32_f16_sdwa v131, v131 dst_sel:DWORD dst_unused:UNUSED_PAD src0_sel:WORD_1
	s_waitcnt lgkmcnt(2)
	v_perm_b32 v132, v134, v100, s93
	s_waitcnt lgkmcnt(0)
	v_perm_b32 v133, v137, v133, s93
	v_accvgpr_read_b32 v135, a0
	v_accvgpr_read_b32 v215, a1
	;; [unrolled: 1-line block ×4, first 2 shown]
	v_accvgpr_write_b32 a0, v138
	v_accvgpr_write_b32 a1, v139
	;; [unrolled: 1-line block ×4, first 2 shown]
	ds_read_u16 v134, v201 offset:17152
	ds_read_u16 v137, v201 offset:17680
	;; [unrolled: 1-line block ×4, first 2 shown]
	v_mfma_f32_16x16x16_f16 a[0:3], v[132:133], v[36:37], a[0:3]
	s_nop 7
	v_accvgpr_read_b32 v100, a0
	v_accvgpr_read_b32 v131, a1
	;; [unrolled: 1-line block ×4, first 2 shown]
	v_cvt_f16_f32_e32 v100, v100
	v_cvt_f16_f32_e32 v131, v131
	;; [unrolled: 1-line block ×4, first 2 shown]
	v_cvt_f32_f16_e32 v100, v100
	v_cvt_f32_f16_e32 v131, v131
	;; [unrolled: 1-line block ×4, first 2 shown]
	s_waitcnt lgkmcnt(0)
	v_perm_b32 v133, v139, v138, s93
	v_perm_b32 v132, v137, v134, s93
	v_accvgpr_write_b32 a0, v100
	v_accvgpr_write_b32 a1, v131
	;; [unrolled: 1-line block ×4, first 2 shown]
	s_nop 1
	v_mfma_f32_16x16x16_f16 a[0:3], v[132:133], v[34:35], a[0:3]
	ds_read_u16 v100, v201 offset:288
	ds_read_u16 v133, v201 offset:816
	ds_read_u16 v134, v201 offset:1344
	ds_read_u16 v139, v202 offset:288
	s_waitcnt lgkmcnt(2)
	v_perm_b32 v140, v133, v100, s93
	s_waitcnt lgkmcnt(0)
	v_perm_b32 v141, v139, v134, s93
	v_accvgpr_read_b32 v131, a0
	v_accvgpr_read_b32 v132, a1
	;; [unrolled: 1-line block ×4, first 2 shown]
	v_accvgpr_write_b32 a0, v142
	v_accvgpr_write_b32 a1, v130
	;; [unrolled: 1-line block ×4, first 2 shown]
	s_nop 1
	v_mfma_f32_16x16x16_f16 a[0:3], v[140:141], v[36:37], a[0:3]
	ds_read_u16 v134, v201 offset:17184
	ds_read_u16 v139, v201 offset:17712
	;; [unrolled: 1-line block ×4, first 2 shown]
	s_waitcnt lgkmcnt(0)
	v_perm_b32 v141, v141, v140, s93
	s_nop 1
	v_accvgpr_read_b32 v100, a0
	v_accvgpr_read_b32 v129, a1
	;; [unrolled: 1-line block ×4, first 2 shown]
	v_cvt_f16_f32_e32 v100, v100
	v_cvt_f16_f32_e32 v129, v129
	;; [unrolled: 1-line block ×4, first 2 shown]
	v_cvt_f32_f16_e32 v100, v100
	v_cvt_f32_f16_e32 v129, v129
	;; [unrolled: 1-line block ×4, first 2 shown]
	v_perm_b32 v140, v139, v134, s93
	v_accvgpr_write_b32 a0, v100
	v_accvgpr_write_b32 a1, v129
	;; [unrolled: 1-line block ×4, first 2 shown]
	s_nop 1
	v_mfma_f32_16x16x16_f16 a[0:3], v[140:141], v[34:35], a[0:3]
	ds_read_u16 v100, v201 offset:320
	ds_read_u16 v133, v201 offset:848
	;; [unrolled: 1-line block ×4, first 2 shown]
	s_waitcnt lgkmcnt(2)
	v_perm_b32 v142, v133, v100, s93
	s_waitcnt lgkmcnt(0)
	v_perm_b32 v143, v141, v134, s93
	v_accvgpr_read_b32 v129, a0
	v_accvgpr_read_b32 v130, a1
	;; [unrolled: 1-line block ×4, first 2 shown]
	v_accvgpr_write_b32 a0, v144
	v_accvgpr_write_b32 a1, v128
	;; [unrolled: 1-line block ×4, first 2 shown]
	v_cvt_f32_f16_e32 v144, v123
	v_cvt_f32_f16_sdwa v145, v123 dst_sel:DWORD dst_unused:UNUSED_PAD src0_sel:WORD_1
	v_mfma_f32_16x16x16_f16 a[0:3], v[142:143], v[36:37], a[0:3]
	ds_read_u16 v134, v201 offset:17216
	ds_read_u16 v141, v201 offset:17744
	;; [unrolled: 1-line block ×4, first 2 shown]
	s_waitcnt lgkmcnt(0)
	v_perm_b32 v143, v143, v142, s93
	s_nop 1
	v_accvgpr_read_b32 v100, a0
	v_accvgpr_read_b32 v127, a1
	;; [unrolled: 1-line block ×4, first 2 shown]
	v_cvt_f16_f32_e32 v100, v100
	v_cvt_f16_f32_e32 v127, v127
	;; [unrolled: 1-line block ×4, first 2 shown]
	v_cvt_f32_f16_e32 v100, v100
	v_cvt_f32_f16_e32 v127, v127
	;; [unrolled: 1-line block ×4, first 2 shown]
	v_perm_b32 v142, v141, v134, s93
	v_accvgpr_write_b32 a0, v100
	v_accvgpr_write_b32 a1, v127
	;; [unrolled: 1-line block ×4, first 2 shown]
	s_nop 1
	v_mfma_f32_16x16x16_f16 a[0:3], v[142:143], v[34:35], a[0:3]
	ds_read_u16 v100, v201 offset:352
	ds_read_u16 v133, v201 offset:880
	;; [unrolled: 1-line block ×4, first 2 shown]
	s_waitcnt lgkmcnt(2)
	v_perm_b32 v122, v133, v100, s93
	s_waitcnt lgkmcnt(0)
	v_perm_b32 v123, v143, v134, s93
	v_accvgpr_read_b32 v127, a0
	v_accvgpr_read_b32 v128, a1
	;; [unrolled: 1-line block ×4, first 2 shown]
	v_accvgpr_write_b32 a0, v144
	v_accvgpr_write_b32 a1, v145
	;; [unrolled: 1-line block ×4, first 2 shown]
	ds_read_u16 v134, v201 offset:17248
	ds_read_u16 v143, v201 offset:17776
	ds_read_u16 v144, v201 offset:18304
	ds_read_u16 v145, v202 offset:17248
	v_mfma_f32_16x16x16_f16 a[0:3], v[122:123], v[36:37], a[0:3]
	s_nop 7
	v_accvgpr_read_b32 v100, a0
	v_accvgpr_read_b32 v133, a3
	v_cvt_f16_f32_e32 v100, v100
	v_cvt_f16_f32_e32 v133, v133
	v_accvgpr_read_b32 v122, a1
	v_accvgpr_read_b32 v123, a2
	v_cvt_f16_f32_e32 v122, v122
	v_cvt_f16_f32_e32 v123, v123
	v_cvt_f32_f16_e32 v100, v100
	v_cvt_f32_f16_e32 v133, v133
	v_cvt_f32_f16_e32 v146, v122
	v_cvt_f32_f16_e32 v147, v123
	s_waitcnt lgkmcnt(0)
	v_perm_b32 v123, v145, v144, s93
	v_perm_b32 v122, v143, v134, s93
	v_accvgpr_write_b32 a0, v100
	v_accvgpr_write_b32 a3, v133
	ds_read_u16 v100, v201 offset:384
	ds_read_u16 v133, v201 offset:912
	;; [unrolled: 1-line block ×4, first 2 shown]
	v_accvgpr_write_b32 a1, v146
	v_accvgpr_write_b32 a2, v147
	s_waitcnt lgkmcnt(2)
	v_perm_b32 v146, v133, v100, s93
	s_waitcnt lgkmcnt(0)
	v_perm_b32 v147, v145, v134, s93
	v_mfma_f32_16x16x16_f16 a[0:3], v[122:123], v[34:35], a[0:3]
	s_nop 7
	v_accvgpr_read_b32 v122, a0
	v_accvgpr_read_b32 v123, a1
	;; [unrolled: 1-line block ×4, first 2 shown]
	v_accvgpr_write_b32 a0, v148
	v_accvgpr_write_b32 a1, v47
	;; [unrolled: 1-line block ×4, first 2 shown]
	s_nop 1
	v_mfma_f32_16x16x16_f16 a[0:3], v[146:147], v[36:37], a[0:3]
	ds_read_u16 v134, v201 offset:17280
	ds_read_u16 v145, v201 offset:17808
	;; [unrolled: 1-line block ×4, first 2 shown]
	s_waitcnt lgkmcnt(0)
	v_perm_b32 v147, v147, v146, s93
	s_nop 1
	v_accvgpr_read_b32 v1, a0
	v_accvgpr_read_b32 v47, a1
	v_accvgpr_read_b32 v100, a2
	v_accvgpr_read_b32 v133, a3
	v_cvt_f16_f32_e32 v1, v1
	v_cvt_f16_f32_e32 v47, v47
	;; [unrolled: 1-line block ×4, first 2 shown]
	v_cvt_f32_f16_e32 v1, v1
	v_cvt_f32_f16_e32 v47, v47
	;; [unrolled: 1-line block ×4, first 2 shown]
	v_perm_b32 v146, v145, v134, s93
	v_accvgpr_write_b32 a0, v1
	v_accvgpr_write_b32 a1, v47
	;; [unrolled: 1-line block ×4, first 2 shown]
	s_nop 1
	v_mfma_f32_16x16x16_f16 a[0:3], v[146:147], v[34:35], a[0:3]
	ds_read_u16 v100, v201 offset:416
	ds_read_u16 v133, v201 offset:944
	;; [unrolled: 1-line block ×4, first 2 shown]
	s_waitcnt lgkmcnt(2)
	v_perm_b32 v148, v133, v100, s93
	s_waitcnt lgkmcnt(0)
	v_perm_b32 v149, v147, v134, s93
	v_accvgpr_read_b32 v1, a0
	v_accvgpr_read_b32 v47, a1
	;; [unrolled: 1-line block ×4, first 2 shown]
	v_accvgpr_write_b32 a0, v150
	v_accvgpr_write_b32 a1, v151
	;; [unrolled: 1-line block ×4, first 2 shown]
	v_cvt_f32_f16_e32 v152, v97
	v_cvt_f32_f16_sdwa v97, v97 dst_sel:DWORD dst_unused:UNUSED_PAD src0_sel:WORD_1
	v_mfma_f32_16x16x16_f16 a[0:3], v[148:149], v[36:37], a[0:3]
	ds_read_u16 v147, v201 offset:17312
	ds_read_u16 v148, v201 offset:17840
	;; [unrolled: 1-line block ×4, first 2 shown]
	s_waitcnt lgkmcnt(2)
	v_perm_b32 v148, v148, v147, s93
	s_waitcnt lgkmcnt(0)
	v_perm_b32 v149, v150, v149, s93
	v_accvgpr_read_b32 v93, a0
	v_accvgpr_read_b32 v100, a1
	;; [unrolled: 1-line block ×4, first 2 shown]
	v_cvt_f16_f32_e32 v93, v93
	v_cvt_f16_f32_e32 v100, v100
	;; [unrolled: 1-line block ×4, first 2 shown]
	v_cvt_f32_f16_e32 v93, v93
	v_cvt_f32_f16_e32 v100, v100
	;; [unrolled: 1-line block ×4, first 2 shown]
	v_accvgpr_write_b32 a0, v93
	v_accvgpr_write_b32 a1, v100
	;; [unrolled: 1-line block ×4, first 2 shown]
	s_nop 1
	v_mfma_f32_16x16x16_f16 a[0:3], v[148:149], v[34:35], a[0:3]
	ds_read_u16 v100, v201 offset:448
	ds_read_u16 v134, v201 offset:976
	;; [unrolled: 1-line block ×4, first 2 shown]
	s_waitcnt lgkmcnt(0)
	v_perm_b32 v151, v150, v149, s93
	v_perm_b32 v150, v134, v100, s93
	s_nop 0
	v_accvgpr_read_b32 v93, a0
	v_accvgpr_read_b32 v133, a1
	;; [unrolled: 1-line block ×4, first 2 shown]
	v_accvgpr_write_b32 a0, v152
	v_accvgpr_write_b32 a1, v97
	;; [unrolled: 1-line block ×4, first 2 shown]
	v_cvt_f32_f16_e32 v153, v192
	s_nop 0
	v_mfma_f32_16x16x16_f16 a[0:3], v[150:151], v[36:37], a[0:3]
	ds_read_u16 v149, v201 offset:17344
	ds_read_u16 v150, v201 offset:17872
	ds_read_u16 v151, v201 offset:18400
	ds_read_u16 v152, v202 offset:17344
	s_waitcnt lgkmcnt(2)
	v_perm_b32 v150, v150, v149, s93
	s_waitcnt lgkmcnt(0)
	v_perm_b32 v151, v152, v151, s93
	v_accvgpr_read_b32 v85, a0
	v_accvgpr_read_b32 v97, a1
	;; [unrolled: 1-line block ×4, first 2 shown]
	v_cvt_f16_f32_e32 v85, v85
	v_cvt_f16_f32_e32 v97, v97
	;; [unrolled: 1-line block ×4, first 2 shown]
	v_cvt_f32_f16_e32 v85, v85
	v_cvt_f32_f16_e32 v97, v97
	;; [unrolled: 1-line block ×4, first 2 shown]
	v_accvgpr_write_b32 a0, v85
	v_accvgpr_write_b32 a1, v97
	;; [unrolled: 1-line block ×4, first 2 shown]
	s_nop 1
	v_mfma_f32_16x16x16_f16 a[0:3], v[150:151], v[34:35], a[0:3]
	ds_read_u16 v100, v201 offset:480
	ds_read_u16 v150, v201 offset:1008
	;; [unrolled: 1-line block ×4, first 2 shown]
	s_waitcnt lgkmcnt(2)
	v_perm_b32 v150, v150, v100, s93
	s_waitcnt lgkmcnt(0)
	v_perm_b32 v151, v152, v151, s93
	v_accvgpr_read_b32 v85, a0
	v_accvgpr_read_b32 v97, a1
	;; [unrolled: 1-line block ×4, first 2 shown]
	v_accvgpr_write_b32 a0, v153
	v_accvgpr_write_b32 a1, v154
	;; [unrolled: 1-line block ×4, first 2 shown]
	s_nop 1
	v_mfma_f32_16x16x16_f16 a[0:3], v[150:151], v[36:37], a[0:3]
	ds_read_u16 v151, v201 offset:17376
	ds_read_u16 v153, v201 offset:17904
	;; [unrolled: 1-line block ×4, first 2 shown]
	s_waitcnt lgkmcnt(0)
	s_barrier
	s_nop 1
	v_accvgpr_read_b32 v100, a2
	v_accvgpr_read_b32 v36, a0
	;; [unrolled: 1-line block ×3, first 2 shown]
	v_cvt_f16_f32_e32 v150, v100
	v_accvgpr_read_b32 v100, a3
	v_cvt_f16_f32_e32 v36, v36
	v_cvt_f16_f32_e32 v37, v37
	;; [unrolled: 1-line block ×3, first 2 shown]
	v_cvt_f32_f16_e32 v150, v150
	v_cvt_f32_f16_e32 v100, v36
	;; [unrolled: 1-line block ×4, first 2 shown]
	v_perm_b32 v37, v155, v154, s93
	v_perm_b32 v36, v153, v151, s93
	v_accvgpr_write_b32 a0, v100
	v_accvgpr_write_b32 a1, v191
	;; [unrolled: 1-line block ×4, first 2 shown]
	s_nop 1
	v_mfma_f32_16x16x16_f16 a[0:3], v[36:37], v[34:35], a[0:3]
	s_nop 7
	v_accvgpr_read_b32 v34, a0
	v_accvgpr_read_b32 v35, a1
	;; [unrolled: 1-line block ×4, first 2 shown]
	v_cvt_pk_f16_f32 v34, v34, v35
	v_cvt_pk_f16_f32 v37, v36, v37
	;; [unrolled: 1-line block ×20, first 2 shown]
	s_cbranch_vccz .LBB31_54
; %bb.51:                               ;   in Loop: Header=BB31_50 Depth=2
	v_mov_b32_e32 v136, v121
	v_mov_b32_e32 v137, v119
	s_ashr_i32 s11, s10, 31
	s_and_saveexec_b64 s[14:15], s[4:5]
	s_cbranch_execnz .LBB31_49
	s_branch .LBB31_50
.LBB31_52:                              ;   in Loop: Header=BB31_12 Depth=1
	s_cbranch_execz .LBB31_11
	s_branch .LBB31_147
.LBB31_53:                              ;   in Loop: Header=BB31_12 Depth=1
	v_mov_b32_e32 v119, 0xfeffffff
	v_mov_b32_e32 v121, 0
	;; [unrolled: 1-line block ×34, first 2 shown]
.LBB31_54:                              ;   in Loop: Header=BB31_12 Depth=1
	s_lshl_b32 s10, s72, 6
	s_ashr_i32 s11, s10, 31
	s_and_saveexec_b64 s[14:15], s[4:5]
	s_cbranch_execz .LBB31_56
; %bb.55:                               ;   in Loop: Header=BB31_12 Depth=1
	v_or_b32_e32 v44, v113, v103
	v_mul_hi_u32 v100, s44, v44
	v_add_u32_e32 v100, v44, v100
	v_lshrrev_b32_e32 v100, s45, v100
	v_mul_lo_u32 v100, v100, s36
	s_lshl_b64 s[72:73], s[10:11], 1
	v_sub_u32_e32 v44, v44, v100
	v_lshl_add_u64 v[136:137], v[164:165], 0, s[72:73]
	v_mad_i64_i32 v[138:139], s[72:73], v44, s46, 0
	v_lshl_add_u64 v[136:137], v[138:139], 1, v[136:137]
	v_lshlrev_b32_e32 v44, 1, v46
	v_lshl_add_u64 v[136:137], v[136:137], 0, v[44:45]
	global_load_dword v44, v[136:137], off
	s_waitcnt vmcnt(0)
	ds_write_b32 v206, v44 offset:33792
.LBB31_56:                              ;   in Loop: Header=BB31_12 Depth=1
	s_or_b64 exec, exec, s[14:15]
	s_mul_hi_i32 s15, s10, s38
	s_mul_i32 s14, s10, s38
	s_lshl_b64 s[14:15], s[14:15], 2
	v_lshl_add_u64 v[136:137], v[162:163], 0, s[14:15]
	v_lshl_add_u64 v[138:139], v[48:49], 2, v[136:137]
	v_lshlrev_b32_e32 v44, 2, v42
	v_lshl_add_u64 v[138:139], v[138:139], 0, v[44:45]
	v_lshl_add_u64 v[140:141], v[50:51], 2, v[136:137]
	;; [unrolled: 1-line block ×9, first 2 shown]
	global_load_dwordx4 v[136:139], v[138:139], off
	v_lshl_add_u64 v[140:141], v[140:141], 0, v[44:45]
	v_lshl_add_u64 v[142:143], v[142:143], 0, v[44:45]
	;; [unrolled: 1-line block ×6, first 2 shown]
	v_add_u32_e32 v100, 0x4000, v111
	s_mul_hi_i32 s11, s10, s34
	s_mul_i32 s10, s10, s34
	s_lshl_b64 s[10:11], s[10:11], 2
	s_waitcnt vmcnt(0)
	ds_write_b128 v105, v[136:139]
	global_load_dwordx4 v[136:139], v[140:141], off
	s_waitcnt vmcnt(0)
	ds_write_b128 v250, v[136:139]
	global_load_dwordx4 v[136:139], v[142:143], off
	;; [unrolled: 3-line block ×7, first 2 shown]
	s_waitcnt vmcnt(0)
	ds_write_b128 v247, v[136:139]
	s_waitcnt lgkmcnt(0)
	s_barrier
	ds_read2_b64 v[136:139], v111 offset1:4
	s_waitcnt lgkmcnt(0)
	v_mfma_f32_16x16x16_f16 a[0:3], v[136:137], v[30:31], 0
	v_mfma_f32_16x16x16_f16 a[0:3], v[138:139], v[32:33], a[0:3]
	ds_read2_b64 v[136:139], v111 offset0:8 offset1:12
	s_waitcnt lgkmcnt(0)
	v_mfma_f32_16x16x16_f16 a[0:3], v[136:137], v[26:27], a[0:3]
	v_mfma_f32_16x16x16_f16 a[0:3], v[138:139], v[28:29], a[0:3]
	ds_read2_b64 v[136:139], v111 offset0:16 offset1:20
	;; [unrolled: 4-line block ×15, first 2 shown]
	s_waitcnt lgkmcnt(0)
	s_barrier
	v_mfma_f32_16x16x16_f16 a[4:7], v[6:7], v[2:3], a[4:7]
	v_add_u32_e32 v2, 0x8400, v200
	ds_read2_b32 v[2:3], v2 offset1:1
	v_mfma_f32_16x16x16_f16 a[4:7], v[8:9], v[4:5], a[4:7]
	v_accvgpr_read_b32 v5, a0
	s_waitcnt lgkmcnt(0)
	v_cvt_f32_f16_e32 v4, v2
	v_cvt_f32_f16_sdwa v2, v2 dst_sel:DWORD dst_unused:UNUSED_PAD src0_sel:WORD_1
	v_add_f32_e32 v9, v5, v4
	v_accvgpr_read_b32 v4, a1
	v_add_f32_e32 v11, v4, v2
	v_cvt_f32_f16_e32 v2, v3
	v_cvt_f32_f16_sdwa v3, v3 dst_sel:DWORD dst_unused:UNUSED_PAD src0_sel:WORD_1
	v_accvgpr_read_b32 v4, a2
	v_accvgpr_read_b32 v6, a6
	v_add_f32_e32 v12, v4, v2
	v_accvgpr_read_b32 v2, a3
	v_add_f32_e32 v10, v2, v3
	ds_read_b32 v2, v207 offset:33792
	v_accvgpr_read_b32 v4, a4
	v_add_f32_e32 v7, 0x40051340, v11
	v_add_f32_e32 v8, 0x40051340, v10
	s_waitcnt lgkmcnt(0)
	v_cvt_f32_f16_e32 v3, v2
	v_cvt_f32_f16_sdwa v2, v2 dst_sel:DWORD dst_unused:UNUSED_PAD src0_sel:WORD_1
	v_add_f32_e32 v5, v4, v3
	v_accvgpr_read_b32 v3, a5
	v_add_f32_e32 v4, v3, v2
	ds_read_b32 v2, v208 offset:33792
	s_waitcnt lgkmcnt(0)
	v_cvt_f32_f16_e32 v3, v2
	v_cvt_f32_f16_sdwa v2, v2 dst_sel:DWORD dst_unused:UNUSED_PAD src0_sel:WORD_1
	v_add_f32_e32 v3, v6, v3
	v_accvgpr_read_b32 v6, a7
	v_add_f32_e32 v2, v6, v2
	v_add_f32_e32 v6, 0x40051340, v9
	v_max3_f32 v6, v119, v6, v7
	v_add_f32_e32 v7, 0x40051340, v12
	v_max3_f32 v6, v6, v7, v8
	v_add_f32_e32 v7, 0x40051340, v5
	v_add_f32_e32 v8, 0x40051340, v4
	v_max3_f32 v6, v6, v7, v8
	v_add_f32_e32 v7, 0x40051340, v3
	v_add_f32_e32 v8, 0x40051340, v2
	v_max3_f32 v6, v6, v7, v8
	v_and_b32_e32 v7, 64, v248
	v_add_u32_e32 v8, 64, v7
	v_xor_b32_e32 v7, 32, v248
	v_cmp_lt_i32_e32 vcc, v7, v8
	s_nop 1
	v_cndmask_b32_e32 v7, v248, v7, vcc
	v_lshlrev_b32_e32 v7, 2, v7
	ds_bpermute_b32 v13, v7, v6
	s_waitcnt lgkmcnt(0)
	v_max_f32_e32 v13, v13, v13
	v_max_f32_e32 v6, v6, v13
	v_xor_b32_e32 v13, 16, v248
	v_cmp_lt_i32_e32 vcc, v13, v8
	s_nop 1
	v_cndmask_b32_e32 v8, v248, v13, vcc
	v_lshlrev_b32_e32 v8, 2, v8
	ds_bpermute_b32 v13, v8, v6
	s_waitcnt lgkmcnt(0)
	v_max_f32_e32 v13, v13, v13
	v_max_f32_e32 v6, v6, v13
	v_sub_f32_e32 v9, v9, v6
	v_mul_f32_e32 v13, 0x3fb8aa3b, v9
	v_fma_f32 v14, v9, s47, -v13
	v_rndne_f32_e32 v15, v13
	v_fmac_f32_e32 v14, 0x32a5705f, v9
	v_sub_f32_e32 v13, v13, v15
	v_add_f32_e32 v13, v13, v14
	v_exp_f32_e32 v13, v13
	v_cvt_i32_f32_e32 v14, v15
	v_cmp_ngt_f32_e32 vcc, s65, v9
	v_sub_f32_e32 v11, v11, v6
	v_sub_f32_e32 v12, v12, v6
	v_ldexp_f32 v13, v13, v14
	v_cndmask_b32_e32 v13, 0, v13, vcc
	v_cmp_nlt_f32_e32 vcc, s91, v9
	v_sub_f32_e32 v10, v10, v6
	v_sub_f32_e32 v5, v5, v6
	v_cndmask_b32_e32 v9, v227, v13, vcc
	v_mul_f32_e32 v13, 0x3fb8aa3b, v11
	v_fma_f32 v14, v11, s47, -v13
	v_rndne_f32_e32 v15, v13
	v_fmac_f32_e32 v14, 0x32a5705f, v11
	v_sub_f32_e32 v13, v13, v15
	v_add_f32_e32 v13, v13, v14
	v_exp_f32_e32 v13, v13
	v_cvt_i32_f32_e32 v14, v15
	v_cmp_ngt_f32_e32 vcc, s65, v11
	v_sub_f32_e32 v4, v4, v6
	v_sub_f32_e32 v3, v3, v6
	v_ldexp_f32 v13, v13, v14
	v_mul_f32_e32 v14, 0x3fb8aa3b, v12
	v_fma_f32 v15, v12, s47, -v14
	v_rndne_f32_e32 v16, v14
	v_fmac_f32_e32 v15, 0x32a5705f, v12
	v_sub_f32_e32 v14, v14, v16
	v_add_f32_e32 v14, v14, v15
	v_exp_f32_e32 v14, v14
	v_cvt_i32_f32_e32 v15, v16
	v_cndmask_b32_e32 v13, 0, v13, vcc
	v_cmp_nlt_f32_e32 vcc, s91, v11
	v_sub_f32_e32 v2, v2, v6
	v_ldexp_f32 v14, v14, v15
	v_cndmask_b32_e32 v11, v227, v13, vcc
	v_cmp_ngt_f32_e32 vcc, s65, v12
	v_add_f32_e32 v13, v9, v11
	s_nop 0
	v_cndmask_b32_e32 v14, 0, v14, vcc
	v_cmp_nlt_f32_e32 vcc, s91, v12
	s_nop 1
	v_cndmask_b32_e32 v15, v227, v14, vcc
	v_add_f32_e32 v12, v15, v13
	v_mul_f32_e32 v13, 0x3fb8aa3b, v10
	v_fma_f32 v14, v10, s47, -v13
	v_rndne_f32_e32 v16, v13
	v_fmac_f32_e32 v14, 0x32a5705f, v10
	v_sub_f32_e32 v13, v13, v16
	v_add_f32_e32 v13, v13, v14
	v_exp_f32_e32 v13, v13
	v_cvt_i32_f32_e32 v14, v16
	v_cmp_ngt_f32_e32 vcc, s65, v10
	v_ldexp_f32 v13, v13, v14
	s_nop 0
	v_cndmask_b32_e32 v13, 0, v13, vcc
	v_cmp_nlt_f32_e32 vcc, s91, v10
	s_nop 1
	v_cndmask_b32_e32 v16, v227, v13, vcc
	v_add_f32_e32 v10, v16, v12
	v_mul_f32_e32 v12, 0x3fb8aa3b, v5
	v_fma_f32 v13, v5, s47, -v12
	v_rndne_f32_e32 v14, v12
	v_fmac_f32_e32 v13, 0x32a5705f, v5
	v_sub_f32_e32 v12, v12, v14
	v_add_f32_e32 v12, v12, v13
	v_exp_f32_e32 v12, v12
	v_cvt_i32_f32_e32 v13, v14
	v_cmp_ngt_f32_e32 vcc, s65, v5
	v_ldexp_f32 v12, v12, v13
	;; [unrolled: 16-line block ×5, first 2 shown]
	s_nop 0
	v_cndmask_b32_e32 v4, 0, v4, vcc
	v_cmp_nlt_f32_e32 vcc, s91, v2
	v_sub_f32_e32 v2, v119, v6
	s_nop 0
	v_cndmask_b32_e32 v23, v227, v4, vcc
	v_add_f32_e32 v10, v23, v3
	v_mul_f32_e32 v3, 0x3fb8aa3b, v2
	v_fma_f32 v4, v2, s47, -v3
	v_rndne_f32_e32 v5, v3
	v_fmac_f32_e32 v4, 0x32a5705f, v2
	v_sub_f32_e32 v3, v3, v5
	v_add_f32_e32 v3, v3, v4
	v_exp_f32_e32 v3, v3
	v_cvt_i32_f32_e32 v4, v5
	v_cmp_ngt_f32_e32 vcc, s65, v2
	v_ldexp_f32 v3, v3, v4
	s_nop 0
	v_cndmask_b32_e32 v3, 0, v3, vcc
	v_cmp_nlt_f32_e32 vcc, s91, v2
	s_nop 1
	v_cndmask_b32_e32 v3, v227, v3, vcc
	v_cmp_le_f32_e32 vcc, s92, v2
	s_nop 1
	v_cndmask_b32_e32 v2, 0, v3, vcc
	v_fmac_f32_e32 v10, v121, v2
	v_cvt_f16_f32_e32 v2, v2
	ds_bpermute_b32 v7, v7, v10
	v_cmp_ne_u64_e32 vcc, 0, v[158:159]
	s_and_b64 s[14:15], s[0:1], vcc
	v_mul_u32_u24_e32 v2, 0x10001, v2
	v_pk_mul_f16 v27, v135, v2
	v_pk_mul_f16 v26, v132, v2
	;; [unrolled: 1-line block ×32, first 2 shown]
	v_lshl_add_u64 v[2:3], v[160:161], 0, s[10:11]
	v_lshl_add_u64 v[4:5], v[64:65], 2, v[2:3]
	;; [unrolled: 1-line block ×11, first 2 shown]
	global_load_dwordx4 v[2:5], v[4:5], off
	v_lshl_add_u64 v[32:33], v[32:33], 0, v[44:45]
	v_lshl_add_u64 v[122:123], v[122:123], 0, v[44:45]
	;; [unrolled: 1-line block ×6, first 2 shown]
	v_cvt_f32_f16_e32 v28, v27
	v_cvt_f32_f16_sdwa v27, v27 dst_sel:DWORD dst_unused:UNUSED_PAD src0_sel:WORD_1
	v_cvt_f32_f16_e32 v100, v13
	v_cvt_f32_f16_sdwa v13, v13 dst_sel:DWORD dst_unused:UNUSED_PAD src0_sel:WORD_1
	v_accvgpr_write_b32 a0, v28
	v_accvgpr_write_b32 a1, v27
	v_cvt_f32_f16_e32 v134, v47
	v_cvt_f32_f16_sdwa v47, v47 dst_sel:DWORD dst_unused:UNUSED_PAD src0_sel:WORD_1
	v_cvt_f32_f16_e32 v135, v1
	v_cvt_f32_f16_sdwa v1, v1 dst_sel:DWORD dst_unused:UNUSED_PAD src0_sel:WORD_1
	;; [unrolled: 2-line block ×12, first 2 shown]
	s_waitcnt lgkmcnt(0)
	v_add_f32_e32 v7, v10, v7
	ds_bpermute_b32 v10, v8, v7
	s_waitcnt lgkmcnt(0)
	v_add_f32_e32 v7, v7, v10
	s_waitcnt vmcnt(0)
	ds_write_b128 v105, v[2:5]
	global_load_dwordx4 v[2:5], v[32:33], off
	v_cvt_f32_f16_e32 v32, v26
	v_cvt_f32_f16_sdwa v26, v26 dst_sel:DWORD dst_unused:UNUSED_PAD src0_sel:WORD_1
	v_accvgpr_write_b32 a2, v32
	v_accvgpr_write_b32 a3, v26
	s_waitcnt vmcnt(0)
	ds_write_b128 v250, v[2:5]
	global_load_dwordx4 v[2:5], v[122:123], off
	s_waitcnt vmcnt(0)
	ds_write_b128 v251, v[2:5]
	global_load_dwordx4 v[2:5], v[124:125], off
	v_cvt_f32_f16_e32 v124, v119
	v_cvt_f32_f16_sdwa v119, v119 dst_sel:DWORD dst_unused:UNUSED_PAD src0_sel:WORD_1
	v_cvt_f32_f16_e32 v125, v14
	v_cvt_f32_f16_sdwa v14, v14 dst_sel:DWORD dst_unused:UNUSED_PAD src0_sel:WORD_1
	s_waitcnt vmcnt(0)
	ds_write_b128 v252, v[2:5]
	global_load_dwordx4 v[2:5], v[126:127], off
	v_cvt_f32_f16_e32 v126, v19
	v_cvt_f32_f16_sdwa v19, v19 dst_sel:DWORD dst_unused:UNUSED_PAD src0_sel:WORD_1
	s_waitcnt vmcnt(0)
	ds_write_b128 v253, v[2:5]
	global_load_dwordx4 v[2:5], v[128:129], off
	v_cvt_f32_f16_e32 v128, v108
	v_cvt_f32_f16_sdwa v108, v108 dst_sel:DWORD dst_unused:UNUSED_PAD src0_sel:WORD_1
	v_cvt_f32_f16_e32 v129, v95
	v_cvt_f32_f16_sdwa v95, v95 dst_sel:DWORD dst_unused:UNUSED_PAD src0_sel:WORD_1
	s_waitcnt vmcnt(0)
	ds_write_b128 v254, v[2:5]
	global_load_dwordx4 v[2:5], v[130:131], off
	v_cvt_f32_f16_e32 v131, v91
	v_cvt_f32_f16_sdwa v91, v91 dst_sel:DWORD dst_unused:UNUSED_PAD src0_sel:WORD_1
	s_waitcnt vmcnt(0)
	ds_write_b128 v255, v[2:5]
	global_load_dwordx4 v[2:5], v[132:133], off
	v_cvt_f32_f16_e32 v132, v87
	v_cvt_f32_f16_sdwa v87, v87 dst_sel:DWORD dst_unused:UNUSED_PAD src0_sel:WORD_1
	s_waitcnt vmcnt(0)
	ds_write_b128 v247, v[2:5]
	s_waitcnt lgkmcnt(0)
	s_barrier
	ds_read_u16 v2, v201 offset:528
	ds_read_u16 v3, v201 offset:1056
	ds_read_u16 v4, v202
	ds_read_u16 v33, v202 offset:32
	v_cvt_pk_f16_f32 v5, v15, v16
	s_waitcnt lgkmcnt(1)
	v_perm_b32 v3, v4, v3, s93
	ds_read_u16 v4, v201
	ds_read_u16 v34, v201 offset:32
	ds_read_u16 v15, v201 offset:16896
	;; [unrolled: 1-line block ×5, first 2 shown]
	s_waitcnt lgkmcnt(5)
	v_perm_b32 v2, v2, v4, s93
	v_cvt_pk_f16_f32 v4, v9, v11
	s_waitcnt lgkmcnt(0)
	v_perm_b32 v27, v27, v26, s93
	v_perm_b32 v26, v16, v15, s93
	v_mfma_f32_16x16x16_f16 a[0:3], v[2:3], v[4:5], a[0:3]
	s_nop 7
	v_accvgpr_read_b32 v2, a0
	v_accvgpr_read_b32 v3, a1
	v_accvgpr_read_b32 v9, a2
	v_accvgpr_read_b32 v11, a3
	v_cvt_f16_f32_e32 v2, v2
	v_cvt_f16_f32_e32 v3, v3
	;; [unrolled: 1-line block ×4, first 2 shown]
	v_cvt_f32_f16_e32 v28, v2
	v_cvt_f32_f16_e32 v32, v3
	;; [unrolled: 1-line block ×4, first 2 shown]
	v_cvt_pk_f16_f32 v3, v22, v23
	v_cvt_pk_f16_f32 v2, v17, v18
	v_accvgpr_write_b32 a0, v28
	v_accvgpr_write_b32 a1, v32
	;; [unrolled: 1-line block ×4, first 2 shown]
	v_cvt_f32_f16_e32 v23, v21
	v_cvt_f32_f16_sdwa v28, v20 dst_sel:DWORD dst_unused:UNUSED_PAD src0_sel:WORD_1
	v_mfma_f32_16x16x16_f16 a[0:3], v[26:27], v[2:3], a[0:3]
	v_cvt_f32_f16_sdwa v26, v21 dst_sel:DWORD dst_unused:UNUSED_PAD src0_sel:WORD_1
	v_cvt_f32_f16_e32 v27, v20
	s_nop 5
	v_accvgpr_read_b32 v9, a2
	v_accvgpr_read_b32 v11, a3
	v_cvt_f16_f32_e32 v9, v9
	v_cvt_f16_f32_e32 v11, v11
	v_accvgpr_read_b32 v15, a0
	v_accvgpr_read_b32 v16, a1
	v_accvgpr_write_b32 a0, v23
	v_perm_b32 v9, v11, v9, s93
	ds_read_u16 v11, v201 offset:560
	ds_read_u16 v22, v201 offset:1088
	v_accvgpr_write_b32 a1, v26
	v_accvgpr_write_b32 a2, v27
	;; [unrolled: 1-line block ×3, first 2 shown]
	s_waitcnt lgkmcnt(1)
	v_perm_b32 v20, v11, v34, s93
	s_waitcnt lgkmcnt(0)
	v_perm_b32 v21, v33, v22, s93
	ds_read_u16 v23, v201 offset:16928
	ds_read_u16 v26, v201 offset:17456
	;; [unrolled: 1-line block ×4, first 2 shown]
	v_mfma_f32_16x16x16_f16 a[0:3], v[20:21], v[4:5], a[0:3]
	v_cvt_f32_f16_e32 v34, v12
	v_cvt_f32_f16_sdwa v12, v12 dst_sel:DWORD dst_unused:UNUSED_PAD src0_sel:WORD_1
	v_cvt_f16_f32_e32 v17, v15
	v_cvt_f16_f32_e32 v18, v16
	v_perm_b32 v17, v18, v17, s93
	s_nop 2
	v_accvgpr_read_b32 v11, a0
	v_accvgpr_read_b32 v20, a1
	;; [unrolled: 1-line block ×4, first 2 shown]
	v_cvt_f16_f32_e32 v11, v11
	v_cvt_f16_f32_e32 v20, v20
	;; [unrolled: 1-line block ×4, first 2 shown]
	v_cvt_f32_f16_e32 v11, v11
	v_cvt_f32_f16_e32 v32, v20
	;; [unrolled: 1-line block ×4, first 2 shown]
	s_waitcnt lgkmcnt(0)
	v_perm_b32 v21, v28, v27, s93
	v_perm_b32 v20, v26, v23, s93
	v_accvgpr_write_b32 a0, v11
	v_accvgpr_write_b32 a1, v32
	;; [unrolled: 1-line block ×4, first 2 shown]
	v_cvt_f32_f16_e32 v33, v25
	v_cvt_f32_f16_sdwa v25, v25 dst_sel:DWORD dst_unused:UNUSED_PAD src0_sel:WORD_1
	v_mfma_f32_16x16x16_f16 a[0:3], v[20:21], v[2:3], a[0:3]
	s_nop 7
	v_accvgpr_read_b32 v11, a2
	v_accvgpr_read_b32 v26, a3
	v_cvt_f16_f32_e32 v11, v11
	v_cvt_f16_f32_e32 v26, v26
	v_accvgpr_read_b32 v20, a0
	v_accvgpr_read_b32 v21, a1
	v_accvgpr_write_b32 a0, v33
	v_perm_b32 v11, v26, v11, s93
	ds_read_u16 v26, v201 offset:64
	ds_read_u16 v28, v201 offset:592
	;; [unrolled: 1-line block ×4, first 2 shown]
	v_accvgpr_write_b32 a1, v25
	v_accvgpr_write_b32 a2, v34
	s_waitcnt lgkmcnt(2)
	v_perm_b32 v26, v28, v26, s93
	v_accvgpr_write_b32 a3, v12
	s_waitcnt lgkmcnt(0)
	v_perm_b32 v27, v32, v27, s93
	ds_read_u16 v28, v201 offset:16960
	ds_read_u16 v32, v201 offset:17488
	ds_read_u16 v33, v201 offset:18016
	ds_read_u16 v34, v202 offset:16960
	v_mfma_f32_16x16x16_f16 a[0:3], v[26:27], v[4:5], a[0:3]
	v_cvt_f16_f32_e32 v22, v20
	v_cvt_f16_f32_e32 v23, v21
	v_perm_b32 v22, v23, v22, s93
	s_nop 4
	v_accvgpr_read_b32 v12, a0
	v_accvgpr_read_b32 v25, a1
	;; [unrolled: 1-line block ×4, first 2 shown]
	v_cvt_f16_f32_e32 v12, v12
	v_cvt_f16_f32_e32 v25, v25
	;; [unrolled: 1-line block ×4, first 2 shown]
	v_cvt_f32_f16_e32 v12, v12
	v_cvt_f32_f16_e32 v25, v25
	;; [unrolled: 1-line block ×4, first 2 shown]
	s_waitcnt lgkmcnt(0)
	v_perm_b32 v27, v34, v33, s93
	v_perm_b32 v26, v32, v28, s93
	v_accvgpr_write_b32 a0, v12
	v_accvgpr_write_b32 a1, v25
	;; [unrolled: 1-line block ×4, first 2 shown]
	v_cvt_f32_f16_e32 v44, v31
	v_cvt_f32_f16_sdwa v31, v31 dst_sel:DWORD dst_unused:UNUSED_PAD src0_sel:WORD_1
	v_mfma_f32_16x16x16_f16 a[0:3], v[26:27], v[2:3], a[0:3]
	s_nop 7
	v_accvgpr_read_b32 v12, a2
	v_accvgpr_read_b32 v32, a3
	v_cvt_f16_f32_e32 v12, v12
	v_cvt_f16_f32_e32 v32, v32
	v_accvgpr_read_b32 v25, a0
	v_accvgpr_read_b32 v26, a1
	v_accvgpr_write_b32 a0, v44
	v_perm_b32 v12, v32, v12, s93
	ds_read_u16 v32, v201 offset:96
	ds_read_u16 v34, v201 offset:624
	;; [unrolled: 1-line block ×4, first 2 shown]
	v_accvgpr_write_b32 a1, v31
	v_accvgpr_write_b32 a2, v100
	s_waitcnt lgkmcnt(2)
	v_perm_b32 v32, v34, v32, s93
	v_accvgpr_write_b32 a3, v13
	s_waitcnt lgkmcnt(0)
	v_perm_b32 v33, v37, v33, s93
	ds_read_u16 v34, v201 offset:16992
	ds_read_u16 v37, v201 offset:17520
	;; [unrolled: 1-line block ×4, first 2 shown]
	v_mfma_f32_16x16x16_f16 a[0:3], v[32:33], v[4:5], a[0:3]
	v_cvt_f16_f32_e32 v27, v25
	v_cvt_f16_f32_e32 v28, v26
	v_perm_b32 v27, v28, v27, s93
	s_nop 4
	v_accvgpr_read_b32 v13, a0
	v_accvgpr_read_b32 v31, a1
	;; [unrolled: 1-line block ×4, first 2 shown]
	v_cvt_f16_f32_e32 v13, v13
	v_cvt_f16_f32_e32 v31, v31
	;; [unrolled: 1-line block ×4, first 2 shown]
	v_cvt_f32_f16_e32 v13, v13
	v_cvt_f32_f16_e32 v31, v31
	;; [unrolled: 1-line block ×4, first 2 shown]
	s_waitcnt lgkmcnt(0)
	v_perm_b32 v33, v100, v44, s93
	v_perm_b32 v32, v37, v34, s93
	v_accvgpr_write_b32 a0, v13
	v_accvgpr_write_b32 a1, v31
	;; [unrolled: 1-line block ×4, first 2 shown]
	s_nop 1
	v_mfma_f32_16x16x16_f16 a[0:3], v[32:33], v[2:3], a[0:3]
	s_nop 7
	v_accvgpr_read_b32 v13, a2
	v_accvgpr_read_b32 v37, a3
	v_cvt_f16_f32_e32 v13, v13
	v_cvt_f16_f32_e32 v37, v37
	v_accvgpr_read_b32 v31, a0
	v_accvgpr_read_b32 v32, a1
	v_accvgpr_write_b32 a0, v124
	v_perm_b32 v13, v37, v13, s93
	ds_read_u16 v37, v201 offset:128
	ds_read_u16 v44, v201 offset:656
	ds_read_u16 v100, v201 offset:1184
	ds_read_u16 v121, v202 offset:128
	v_accvgpr_write_b32 a1, v119
	v_accvgpr_write_b32 a2, v125
	s_waitcnt lgkmcnt(2)
	v_perm_b32 v122, v44, v37, s93
	v_accvgpr_write_b32 a3, v14
	s_waitcnt lgkmcnt(0)
	v_perm_b32 v123, v121, v100, s93
	v_cvt_f32_f16_e32 v125, v86
	v_cvt_f32_f16_sdwa v86, v86 dst_sel:DWORD dst_unused:UNUSED_PAD src0_sel:WORD_1
	v_mfma_f32_16x16x16_f16 a[0:3], v[122:123], v[4:5], a[0:3]
	ds_read_u16 v119, v201 offset:17024
	ds_read_u16 v121, v201 offset:17552
	;; [unrolled: 1-line block ×4, first 2 shown]
	v_cvt_f16_f32_e32 v33, v31
	v_cvt_f16_f32_e32 v34, v32
	s_nop 1
	v_accvgpr_read_b32 v14, a0
	v_accvgpr_read_b32 v37, a1
	;; [unrolled: 1-line block ×4, first 2 shown]
	v_cvt_f16_f32_e32 v14, v14
	v_cvt_f16_f32_e32 v37, v37
	;; [unrolled: 1-line block ×4, first 2 shown]
	v_cvt_f32_f16_e32 v14, v14
	v_cvt_f32_f16_e32 v37, v37
	;; [unrolled: 1-line block ×4, first 2 shown]
	s_waitcnt lgkmcnt(0)
	v_perm_b32 v123, v123, v122, s93
	v_perm_b32 v122, v121, v119, s93
	v_accvgpr_write_b32 a0, v14
	v_accvgpr_write_b32 a1, v37
	;; [unrolled: 1-line block ×4, first 2 shown]
	v_perm_b32 v33, v34, v33, s93
	s_nop 0
	v_mfma_f32_16x16x16_f16 a[0:3], v[122:123], v[2:3], a[0:3]
	s_nop 7
	v_accvgpr_read_b32 v14, a2
	v_accvgpr_read_b32 v100, a3
	v_cvt_f16_f32_e32 v14, v14
	v_cvt_f16_f32_e32 v100, v100
	v_accvgpr_read_b32 v37, a0
	v_accvgpr_read_b32 v44, a1
	v_accvgpr_write_b32 a0, v125
	v_perm_b32 v14, v100, v14, s93
	ds_read_u16 v100, v201 offset:160
	ds_read_u16 v122, v201 offset:688
	ds_read_u16 v123, v201 offset:1216
	ds_read_u16 v124, v202 offset:160
	v_accvgpr_write_b32 a1, v86
	v_accvgpr_write_b32 a2, v126
	s_waitcnt lgkmcnt(2)
	v_perm_b32 v122, v122, v100, s93
	v_accvgpr_write_b32 a3, v19
	s_waitcnt lgkmcnt(0)
	v_perm_b32 v123, v124, v123, s93
	v_cvt_f16_f32_e32 v119, v37
	v_cvt_f16_f32_e32 v121, v44
	v_mfma_f32_16x16x16_f16 a[0:3], v[122:123], v[4:5], a[0:3]
	ds_read_u16 v124, v201 offset:17056
	ds_read_u16 v125, v201 offset:17584
	;; [unrolled: 1-line block ×4, first 2 shown]
	v_perm_b32 v119, v121, v119, s93
	s_waitcnt lgkmcnt(0)
	v_perm_b32 v123, v126, v123, s93
	s_nop 0
	v_accvgpr_read_b32 v19, a0
	v_accvgpr_read_b32 v86, a1
	;; [unrolled: 1-line block ×4, first 2 shown]
	v_cvt_f16_f32_e32 v19, v19
	v_cvt_f16_f32_e32 v86, v86
	v_cvt_f16_f32_e32 v100, v100
	v_cvt_f16_f32_e32 v122, v122
	v_cvt_f32_f16_e32 v19, v19
	v_cvt_f32_f16_e32 v86, v86
	;; [unrolled: 1-line block ×4, first 2 shown]
	v_perm_b32 v122, v125, v124, s93
	v_accvgpr_write_b32 a0, v19
	v_accvgpr_write_b32 a1, v86
	;; [unrolled: 1-line block ×4, first 2 shown]
	v_cvt_f32_f16_e32 v124, v39
	v_cvt_f32_f16_sdwa v39, v39 dst_sel:DWORD dst_unused:UNUSED_PAD src0_sel:WORD_1
	v_mfma_f32_16x16x16_f16 a[0:3], v[122:123], v[2:3], a[0:3]
	v_cvt_f32_f16_e32 v125, v24
	v_cvt_f32_f16_sdwa v24, v24 dst_sel:DWORD dst_unused:UNUSED_PAD src0_sel:WORD_1
	v_cvt_f32_f16_e32 v126, v84
	v_cvt_f32_f16_sdwa v84, v84 dst_sel:DWORD dst_unused:UNUSED_PAD src0_sel:WORD_1
	s_nop 3
	v_accvgpr_read_b32 v19, a2
	v_accvgpr_read_b32 v86, a3
	v_cvt_f16_f32_e32 v19, v19
	v_cvt_f16_f32_e32 v86, v86
	v_accvgpr_read_b32 v181, a0
	v_accvgpr_read_b32 v182, a1
	v_accvgpr_write_b32 a0, v124
	v_perm_b32 v19, v86, v19, s93
	ds_read_u16 v86, v201 offset:192
	ds_read_u16 v100, v201 offset:720
	;; [unrolled: 1-line block ×4, first 2 shown]
	v_accvgpr_write_b32 a1, v39
	v_accvgpr_write_b32 a2, v125
	;; [unrolled: 1-line block ×3, first 2 shown]
	v_cvt_f16_f32_e32 v183, v181
	s_waitcnt lgkmcnt(0)
	v_perm_b32 v123, v123, v122, s93
	v_perm_b32 v122, v100, v86, s93
	v_cvt_f16_f32_e32 v184, v182
	s_nop 0
	v_mfma_f32_16x16x16_f16 a[0:3], v[122:123], v[4:5], a[0:3]
	ds_read_u16 v122, v201 offset:17088
	ds_read_u16 v124, v201 offset:17616
	;; [unrolled: 1-line block ×4, first 2 shown]
	s_waitcnt lgkmcnt(2)
	v_perm_b32 v122, v124, v122, s93
	s_nop 1
	v_accvgpr_read_b32 v24, a0
	v_accvgpr_read_b32 v39, a1
	;; [unrolled: 1-line block ×4, first 2 shown]
	v_cvt_f16_f32_e32 v24, v24
	v_cvt_f16_f32_e32 v39, v39
	;; [unrolled: 1-line block ×4, first 2 shown]
	v_cvt_f32_f16_e32 v24, v24
	v_cvt_f32_f16_e32 v39, v39
	;; [unrolled: 1-line block ×4, first 2 shown]
	s_waitcnt lgkmcnt(0)
	v_perm_b32 v123, v125, v123, s93
	v_accvgpr_write_b32 a0, v24
	v_accvgpr_write_b32 a1, v39
	;; [unrolled: 1-line block ×4, first 2 shown]
	v_cvt_f32_f16_e32 v125, v109
	v_cvt_f32_f16_sdwa v109, v109 dst_sel:DWORD dst_unused:UNUSED_PAD src0_sel:WORD_1
	v_mfma_f32_16x16x16_f16 a[0:3], v[122:123], v[2:3], a[0:3]
	s_nop 7
	v_accvgpr_read_b32 v24, a2
	v_accvgpr_read_b32 v100, a3
	v_cvt_f16_f32_e32 v24, v24
	v_cvt_f16_f32_e32 v100, v100
	v_accvgpr_read_b32 v185, a0
	v_accvgpr_read_b32 v186, a1
	v_accvgpr_write_b32 a0, v125
	v_perm_b32 v24, v100, v24, s93
	ds_read_u16 v100, v201 offset:224
	ds_read_u16 v122, v201 offset:752
	;; [unrolled: 1-line block ×4, first 2 shown]
	v_accvgpr_write_b32 a1, v109
	v_accvgpr_write_b32 a2, v126
	s_waitcnt lgkmcnt(2)
	v_perm_b32 v122, v122, v100, s93
	v_accvgpr_write_b32 a3, v84
	s_waitcnt lgkmcnt(0)
	v_perm_b32 v123, v124, v123, s93
	v_cvt_f16_f32_e32 v39, v185
	v_cvt_f16_f32_e32 v86, v186
	v_mfma_f32_16x16x16_f16 a[0:3], v[122:123], v[4:5], a[0:3]
	ds_read_u16 v123, v201 offset:17120
	ds_read_u16 v125, v201 offset:17648
	;; [unrolled: 1-line block ×4, first 2 shown]
	v_perm_b32 v39, v86, v39, s93
	v_perm_b32 v86, v184, v183, s93
	s_nop 1
	v_accvgpr_read_b32 v100, a1
	v_cvt_f16_f32_e32 v109, v100
	v_accvgpr_read_b32 v100, a2
	v_accvgpr_read_b32 v84, a0
	v_cvt_f16_f32_e32 v122, v100
	v_accvgpr_read_b32 v100, a3
	v_cvt_f16_f32_e32 v84, v84
	v_cvt_f16_f32_e32 v124, v100
	v_cvt_f32_f16_e32 v100, v109
	v_cvt_f32_f16_e32 v109, v122
	;; [unrolled: 1-line block ×4, first 2 shown]
	s_waitcnt lgkmcnt(0)
	v_perm_b32 v127, v127, v126, s93
	v_perm_b32 v126, v125, v123, s93
	v_accvgpr_write_b32 a0, v84
	v_accvgpr_write_b32 a1, v100
	;; [unrolled: 1-line block ×4, first 2 shown]
	s_nop 1
	v_mfma_f32_16x16x16_f16 a[0:3], v[126:127], v[2:3], a[0:3]
	s_nop 7
	v_accvgpr_read_b32 v84, a2
	v_accvgpr_read_b32 v100, a3
	v_cvt_f16_f32_e32 v84, v84
	v_cvt_f16_f32_e32 v100, v100
	v_accvgpr_read_b32 v109, a0
	v_accvgpr_read_b32 v122, a1
	v_accvgpr_write_b32 a0, v128
	v_perm_b32 v84, v100, v84, s93
	ds_read_u16 v100, v201 offset:256
	ds_read_u16 v125, v201 offset:784
	;; [unrolled: 1-line block ×4, first 2 shown]
	v_accvgpr_write_b32 a1, v108
	v_accvgpr_write_b32 a2, v129
	;; [unrolled: 1-line block ×3, first 2 shown]
	v_cvt_f16_f32_e32 v123, v109
	s_waitcnt lgkmcnt(0)
	v_perm_b32 v127, v127, v126, s93
	v_perm_b32 v126, v125, v100, s93
	v_cvt_f16_f32_e32 v124, v122
	v_perm_b32 v123, v124, v123, s93
	v_mfma_f32_16x16x16_f16 a[0:3], v[126:127], v[4:5], a[0:3]
	ds_read_u16 v126, v201 offset:17152
	ds_read_u16 v128, v201 offset:17680
	;; [unrolled: 1-line block ×4, first 2 shown]
	s_waitcnt lgkmcnt(2)
	v_perm_b32 v126, v128, v126, s93
	s_waitcnt lgkmcnt(0)
	v_perm_b32 v127, v129, v127, s93
	v_accvgpr_read_b32 v95, a0
	v_accvgpr_read_b32 v100, a1
	v_accvgpr_read_b32 v108, a2
	v_accvgpr_read_b32 v125, a3
	v_cvt_f16_f32_e32 v95, v95
	v_cvt_f16_f32_e32 v100, v100
	;; [unrolled: 1-line block ×4, first 2 shown]
	v_cvt_f32_f16_e32 v95, v95
	v_cvt_f32_f16_e32 v100, v100
	;; [unrolled: 1-line block ×4, first 2 shown]
	v_accvgpr_write_b32 a0, v95
	v_accvgpr_write_b32 a1, v100
	;; [unrolled: 1-line block ×4, first 2 shown]
	s_nop 1
	v_mfma_f32_16x16x16_f16 a[0:3], v[126:127], v[2:3], a[0:3]
	s_nop 7
	v_accvgpr_read_b32 v95, a2
	v_accvgpr_read_b32 v100, a3
	v_cvt_f16_f32_e32 v95, v95
	v_cvt_f16_f32_e32 v100, v100
	v_accvgpr_read_b32 v108, a0
	v_accvgpr_read_b32 v125, a1
	v_accvgpr_write_b32 a0, v131
	v_perm_b32 v95, v100, v95, s93
	ds_read_u16 v100, v201 offset:288
	ds_read_u16 v128, v201 offset:816
	;; [unrolled: 1-line block ×4, first 2 shown]
	v_accvgpr_write_b32 a1, v91
	v_accvgpr_write_b32 a2, v132
	s_waitcnt lgkmcnt(2)
	v_perm_b32 v128, v128, v100, s93
	v_accvgpr_write_b32 a3, v87
	s_waitcnt lgkmcnt(0)
	v_perm_b32 v129, v130, v129, s93
	v_cvt_f16_f32_e32 v126, v108
	v_cvt_f16_f32_e32 v127, v125
	v_mfma_f32_16x16x16_f16 a[0:3], v[128:129], v[4:5], a[0:3]
	ds_read_u16 v130, v201 offset:17184
	ds_read_u16 v131, v201 offset:17712
	;; [unrolled: 1-line block ×4, first 2 shown]
	v_perm_b32 v126, v127, v126, s93
	s_waitcnt lgkmcnt(0)
	v_perm_b32 v129, v132, v129, s93
	s_nop 0
	v_accvgpr_read_b32 v87, a0
	v_accvgpr_read_b32 v91, a1
	;; [unrolled: 1-line block ×4, first 2 shown]
	v_cvt_f16_f32_e32 v87, v87
	v_cvt_f16_f32_e32 v91, v91
	;; [unrolled: 1-line block ×4, first 2 shown]
	v_cvt_f32_f16_e32 v87, v87
	v_cvt_f32_f16_e32 v91, v91
	;; [unrolled: 1-line block ×4, first 2 shown]
	v_perm_b32 v128, v131, v130, s93
	v_accvgpr_write_b32 a0, v87
	v_accvgpr_write_b32 a1, v91
	v_accvgpr_write_b32 a2, v100
	v_accvgpr_write_b32 a3, v133
	s_nop 1
	v_mfma_f32_16x16x16_f16 a[0:3], v[128:129], v[2:3], a[0:3]
	s_nop 7
	v_accvgpr_read_b32 v87, a2
	v_accvgpr_read_b32 v100, a3
	v_cvt_f16_f32_e32 v87, v87
	v_cvt_f16_f32_e32 v100, v100
	v_accvgpr_read_b32 v91, a0
	v_accvgpr_read_b32 v128, a1
	v_accvgpr_write_b32 a0, v134
	v_perm_b32 v87, v100, v87, s93
	ds_read_u16 v100, v201 offset:320
	ds_read_u16 v131, v201 offset:848
	ds_read_u16 v132, v201 offset:1376
	ds_read_u16 v133, v202 offset:320
	v_accvgpr_write_b32 a1, v47
	v_accvgpr_write_b32 a2, v135
	v_accvgpr_write_b32 a3, v1
	v_cvt_f16_f32_e32 v129, v91
	s_waitcnt lgkmcnt(0)
	v_perm_b32 v133, v133, v132, s93
	v_perm_b32 v132, v131, v100, s93
	v_cvt_f16_f32_e32 v130, v128
	v_perm_b32 v129, v130, v129, s93
	v_mfma_f32_16x16x16_f16 a[0:3], v[132:133], v[4:5], a[0:3]
	ds_read_u16 v132, v201 offset:17216
	ds_read_u16 v134, v201 offset:17744
	ds_read_u16 v133, v201 offset:18272
	ds_read_u16 v135, v202 offset:17216
	s_waitcnt lgkmcnt(2)
	v_perm_b32 v132, v134, v132, s93
	s_waitcnt lgkmcnt(0)
	v_perm_b32 v133, v135, v133, s93
	v_accvgpr_read_b32 v1, a0
	v_accvgpr_read_b32 v47, a1
	v_accvgpr_read_b32 v100, a2
	v_accvgpr_read_b32 v131, a3
	v_cvt_f16_f32_e32 v1, v1
	v_cvt_f16_f32_e32 v47, v47
	v_cvt_f16_f32_e32 v100, v100
	v_cvt_f16_f32_e32 v131, v131
	v_cvt_f32_f16_e32 v1, v1
	v_cvt_f32_f16_e32 v47, v47
	v_cvt_f32_f16_e32 v100, v100
	v_cvt_f32_f16_e32 v131, v131
	v_accvgpr_write_b32 a0, v1
	v_accvgpr_write_b32 a1, v47
	v_accvgpr_write_b32 a2, v100
	v_accvgpr_write_b32 a3, v131
	s_nop 1
	v_mfma_f32_16x16x16_f16 a[0:3], v[132:133], v[2:3], a[0:3]
	s_nop 7
	v_accvgpr_read_b32 v1, a2
	v_accvgpr_read_b32 v47, a3
	v_cvt_f16_f32_e32 v1, v1
	v_cvt_f16_f32_e32 v47, v47
	v_accvgpr_read_b32 v131, a0
	v_accvgpr_read_b32 v132, a1
	v_accvgpr_write_b32 a0, v138
	v_perm_b32 v1, v47, v1, s93
	ds_read_u16 v47, v201 offset:352
	ds_read_u16 v100, v201 offset:880
	ds_read_u16 v135, v201 offset:1408
	ds_read_u16 v136, v202 offset:352
	v_accvgpr_write_b32 a1, v93
	v_accvgpr_write_b32 a2, v139
	v_accvgpr_write_b32 a3, v89
	v_cvt_f16_f32_e32 v133, v131
	s_waitcnt lgkmcnt(0)
	v_perm_b32 v137, v136, v135, s93
	v_perm_b32 v136, v100, v47, s93
	v_cvt_f16_f32_e32 v134, v132
	v_perm_b32 v133, v134, v133, s93
	v_mfma_f32_16x16x16_f16 a[0:3], v[136:137], v[4:5], a[0:3]
	ds_read_u16 v135, v201 offset:17248
	ds_read_u16 v136, v201 offset:17776
	ds_read_u16 v137, v201 offset:18304
	ds_read_u16 v138, v202 offset:17248
	s_waitcnt lgkmcnt(2)
	v_perm_b32 v136, v136, v135, s93
	s_waitcnt lgkmcnt(0)
	v_perm_b32 v137, v138, v137, s93
	v_accvgpr_read_b32 v47, a0
	v_accvgpr_read_b32 v89, a1
	v_accvgpr_read_b32 v93, a2
	v_accvgpr_read_b32 v100, a3
	v_cvt_f16_f32_e32 v47, v47
	v_cvt_f16_f32_e32 v89, v89
	v_cvt_f16_f32_e32 v93, v93
	v_cvt_f16_f32_e32 v100, v100
	v_cvt_f32_f16_e32 v47, v47
	v_cvt_f32_f16_e32 v89, v89
	v_cvt_f32_f16_e32 v93, v93
	v_cvt_f32_f16_e32 v100, v100
	v_accvgpr_write_b32 a0, v47
	v_accvgpr_write_b32 a1, v89
	v_accvgpr_write_b32 a2, v93
	v_accvgpr_write_b32 a3, v100
	s_nop 1
	v_mfma_f32_16x16x16_f16 a[0:3], v[136:137], v[2:3], a[0:3]
	s_nop 7
	v_accvgpr_read_b32 v47, a2
	v_accvgpr_read_b32 v89, a3
	v_cvt_f16_f32_e32 v47, v47
	v_cvt_f16_f32_e32 v89, v89
	v_accvgpr_read_b32 v93, a0
	v_accvgpr_read_b32 v135, a1
	v_accvgpr_write_b32 a0, v140
	v_perm_b32 v47, v89, v47, s93
	ds_read_u16 v89, v201 offset:384
	ds_read_u16 v100, v201 offset:912
	ds_read_u16 v138, v201 offset:1440
	ds_read_u16 v139, v202 offset:384
	v_accvgpr_write_b32 a1, v97
	v_accvgpr_write_b32 a2, v141
	v_accvgpr_write_b32 a3, v85
	v_cvt_f16_f32_e32 v136, v93
	s_waitcnt lgkmcnt(0)
	v_perm_b32 v139, v139, v138, s93
	v_perm_b32 v138, v100, v89, s93
	v_cvt_f16_f32_e32 v137, v135
	v_perm_b32 v136, v137, v136, s93
	v_mfma_f32_16x16x16_f16 a[0:3], v[138:139], v[4:5], a[0:3]
	ds_read_u16 v138, v201 offset:17280
	ds_read_u16 v140, v201 offset:17808
	ds_read_u16 v139, v201 offset:18336
	ds_read_u16 v141, v202 offset:17280
	s_waitcnt lgkmcnt(2)
	v_perm_b32 v138, v140, v138, s93
	s_waitcnt lgkmcnt(0)
	v_perm_b32 v139, v141, v139, s93
	v_accvgpr_read_b32 v85, a0
	v_accvgpr_read_b32 v89, a1
	v_accvgpr_read_b32 v97, a2
	v_accvgpr_read_b32 v100, a3
	v_cvt_f16_f32_e32 v85, v85
	v_cvt_f16_f32_e32 v89, v89
	v_cvt_f16_f32_e32 v97, v97
	v_cvt_f16_f32_e32 v100, v100
	v_cvt_f32_f16_e32 v85, v85
	v_cvt_f32_f16_e32 v89, v89
	v_cvt_f32_f16_e32 v97, v97
	v_cvt_f32_f16_e32 v100, v100
	v_accvgpr_write_b32 a0, v85
	v_accvgpr_write_b32 a1, v89
	v_accvgpr_write_b32 a2, v97
	v_accvgpr_write_b32 a3, v100
	s_nop 1
	v_mfma_f32_16x16x16_f16 a[0:3], v[138:139], v[2:3], a[0:3]
	s_nop 7
	v_accvgpr_read_b32 v85, a2
	v_accvgpr_read_b32 v89, a3
	v_cvt_f16_f32_e32 v85, v85
	v_cvt_f16_f32_e32 v89, v89
	v_accvgpr_read_b32 v97, a0
	v_accvgpr_read_b32 v138, a1
	v_accvgpr_write_b32 a0, v144
	v_perm_b32 v85, v89, v85, s93
	ds_read_u16 v89, v201 offset:416
	ds_read_u16 v100, v201 offset:944
	;; [unrolled: 1-line block ×4, first 2 shown]
	v_accvgpr_write_b32 a1, v145
	v_accvgpr_write_b32 a2, v146
	;; [unrolled: 1-line block ×3, first 2 shown]
	v_cvt_f16_f32_e32 v139, v97
	s_waitcnt lgkmcnt(0)
	v_perm_b32 v143, v142, v141, s93
	v_perm_b32 v142, v100, v89, s93
	v_cvt_f16_f32_e32 v140, v138
	v_perm_b32 v139, v140, v139, s93
	v_mfma_f32_16x16x16_f16 a[0:3], v[142:143], v[4:5], a[0:3]
	ds_read_u16 v144, v201 offset:17312
	ds_read_u16 v145, v201 offset:17840
	;; [unrolled: 1-line block ×4, first 2 shown]
	s_waitcnt lgkmcnt(0)
	v_perm_b32 v143, v146, v143, s93
	s_nop 1
	v_accvgpr_read_b32 v89, a0
	v_accvgpr_read_b32 v100, a1
	;; [unrolled: 1-line block ×4, first 2 shown]
	v_cvt_f16_f32_e32 v89, v89
	v_cvt_f16_f32_e32 v100, v100
	;; [unrolled: 1-line block ×4, first 2 shown]
	v_cvt_f32_f16_e32 v89, v89
	v_cvt_f32_f16_e32 v100, v100
	;; [unrolled: 1-line block ×4, first 2 shown]
	v_perm_b32 v142, v145, v144, s93
	v_accvgpr_write_b32 a0, v89
	v_accvgpr_write_b32 a1, v100
	;; [unrolled: 1-line block ×4, first 2 shown]
	s_nop 1
	v_mfma_f32_16x16x16_f16 a[0:3], v[142:143], v[2:3], a[0:3]
	s_nop 7
	v_accvgpr_read_b32 v89, a2
	v_accvgpr_read_b32 v100, a3
	v_cvt_f16_f32_e32 v89, v89
	v_cvt_f16_f32_e32 v100, v100
	v_accvgpr_read_b32 v141, a0
	v_accvgpr_read_b32 v142, a1
	v_accvgpr_write_b32 a0, v148
	v_perm_b32 v89, v100, v89, s93
	ds_read_u16 v100, v201 offset:448
	ds_read_u16 v145, v201 offset:976
	;; [unrolled: 1-line block ×4, first 2 shown]
	v_accvgpr_write_b32 a1, v36
	v_accvgpr_write_b32 a2, v149
	;; [unrolled: 1-line block ×3, first 2 shown]
	v_cvt_f16_f32_e32 v143, v141
	s_waitcnt lgkmcnt(0)
	v_perm_b32 v147, v147, v146, s93
	v_perm_b32 v146, v145, v100, s93
	v_cvt_f16_f32_e32 v144, v142
	s_nop 0
	v_mfma_f32_16x16x16_f16 a[0:3], v[146:147], v[4:5], a[0:3]
	ds_read_u16 v146, v201 offset:17344
	ds_read_u16 v148, v201 offset:17872
	;; [unrolled: 1-line block ×4, first 2 shown]
	s_waitcnt lgkmcnt(2)
	v_perm_b32 v146, v148, v146, s93
	s_nop 1
	v_accvgpr_read_b32 v35, a0
	v_accvgpr_read_b32 v36, a1
	v_accvgpr_read_b32 v100, a2
	v_accvgpr_read_b32 v145, a3
	v_cvt_f16_f32_e32 v35, v35
	v_cvt_f16_f32_e32 v36, v36
	;; [unrolled: 1-line block ×4, first 2 shown]
	v_cvt_f32_f16_e32 v35, v35
	v_cvt_f32_f16_e32 v36, v36
	;; [unrolled: 1-line block ×4, first 2 shown]
	s_waitcnt lgkmcnt(0)
	v_perm_b32 v147, v149, v147, s93
	v_accvgpr_write_b32 a0, v35
	v_accvgpr_write_b32 a1, v36
	;; [unrolled: 1-line block ×4, first 2 shown]
	s_nop 1
	v_mfma_f32_16x16x16_f16 a[0:3], v[146:147], v[2:3], a[0:3]
	s_nop 7
	v_accvgpr_read_b32 v35, a2
	v_accvgpr_read_b32 v100, a3
	v_cvt_f16_f32_e32 v35, v35
	v_cvt_f16_f32_e32 v100, v100
	v_accvgpr_read_b32 v36, a0
	v_accvgpr_read_b32 v145, a1
	v_accvgpr_write_b32 a0, v151
	v_perm_b32 v35, v100, v35, s93
	ds_read_u16 v100, v201 offset:480
	ds_read_u16 v148, v201 offset:1008
	;; [unrolled: 1-line block ×4, first 2 shown]
	v_accvgpr_write_b32 a1, v30
	v_accvgpr_write_b32 a2, v152
	s_waitcnt lgkmcnt(2)
	v_perm_b32 v148, v148, v100, s93
	v_accvgpr_write_b32 a3, v29
	s_waitcnt lgkmcnt(0)
	v_perm_b32 v149, v150, v149, s93
	v_cvt_f16_f32_e32 v146, v36
	v_cvt_f16_f32_e32 v147, v145
	v_mfma_f32_16x16x16_f16 a[0:3], v[148:149], v[4:5], a[0:3]
	s_nop 7
	v_accvgpr_read_b32 v30, a3
	v_accvgpr_read_b32 v4, a0
	;; [unrolled: 1-line block ×4, first 2 shown]
	v_cvt_f16_f32_e32 v148, v30
	ds_read_u16 v30, v201 offset:17376
	ds_read_u16 v149, v201 offset:17904
	;; [unrolled: 1-line block ×4, first 2 shown]
	v_cvt_f16_f32_e32 v4, v4
	v_cvt_f16_f32_e32 v5, v5
	;; [unrolled: 1-line block ×3, first 2 shown]
	v_cvt_f32_f16_e32 v148, v148
	v_cvt_f32_f16_e32 v100, v4
	;; [unrolled: 1-line block ×4, first 2 shown]
	s_waitcnt lgkmcnt(0)
	v_perm_b32 v5, v151, v150, s93
	v_perm_b32 v4, v149, v30, s93
	v_accvgpr_write_b32 a0, v100
	v_accvgpr_write_b32 a1, v152
	;; [unrolled: 1-line block ×4, first 2 shown]
	v_perm_b32 v100, v144, v143, s93
	s_nop 0
	v_mfma_f32_16x16x16_f16 a[0:3], v[4:5], v[2:3], a[0:3]
	s_barrier
	s_nop 6
	v_accvgpr_read_b32 v2, a0
	v_accvgpr_read_b32 v3, a1
	;; [unrolled: 1-line block ×4, first 2 shown]
	v_cvt_f16_f32_e32 v4, v2
	v_cvt_f16_f32_e32 v5, v3
	;; [unrolled: 1-line block ×4, first 2 shown]
	v_perm_b32 v10, v5, v4, s93
	v_perm_b32 v29, v30, v29, s93
	;; [unrolled: 1-line block ×3, first 2 shown]
	s_and_saveexec_b64 s[10:11], s[14:15]
	s_cbranch_execz .LBB31_58
; %bb.57:                               ;   in Loop: Header=BB31_12 Depth=1
	v_cvt_pk_f16_f32 v3, v2, v3
	v_lshlrev_b32_e32 v2, 2, v106
	v_readfirstlane_b32 s14, v158
	v_readfirstlane_b32 s15, v159
	v_max_f32_e32 v22, v6, v6
	v_cvt_pk_f16_f32 v4, v15, v16
	v_cvt_pk_f16_f32 v10, v25, v26
	;; [unrolled: 1-line block ×4, first 2 shown]
	global_load_dword v17, v2, s[14:15]
	v_cvt_pk_f16_f32 v5, v20, v21
	v_cvt_pk_f16_f32 v16, v37, v44
	;; [unrolled: 1-line block ×11, first 2 shown]
	s_waitcnt vmcnt(0)
	v_max_f32_e32 v2, v17, v17
	v_max_f32_e32 v2, v22, v2
	v_sub_f32_e32 v6, v6, v2
	v_mul_f32_e32 v22, 0x3fb8aa3b, v6
	v_fma_f32 v27, v6, s47, -v22
	v_rndne_f32_e32 v33, v22
	v_fmac_f32_e32 v27, 0x32a5705f, v6
	v_sub_f32_e32 v22, v22, v33
	v_add_f32_e32 v22, v22, v27
	v_exp_f32_e32 v22, v22
	v_cvt_i32_f32_e32 v27, v33
	v_cmp_ngt_f32_e32 vcc, s65, v6
	v_sub_f32_e32 v34, v17, v2
	v_ldexp_f32 v22, v22, v27
	v_cndmask_b32_e32 v22, 0, v22, vcc
	v_cmp_nlt_f32_e32 vcc, s91, v6
	s_nop 1
	v_cndmask_b32_e32 v22, v227, v22, vcc
	v_cmp_le_f32_e32 vcc, s92, v6
	s_nop 1
	v_cndmask_b32_e32 v6, 0, v22, vcc
	v_cvt_f16_f32_e32 v17, v6
	v_cmp_ngt_f32_e32 vcc, s65, v34
	v_mul_u32_u24_e32 v36, 0x10001, v17
	v_pk_mul_f16 v27, v10, v36
	v_pk_mul_f16 v10, v3, v36
	v_mul_f32_e32 v3, 0x3fb8aa3b, v34
	v_pk_mul_f16 v17, v4, v36
	v_pk_mul_f16 v22, v5, v36
	v_fma_f32 v4, v34, s47, -v3
	v_rndne_f32_e32 v5, v3
	v_fmac_f32_e32 v4, 0x32a5705f, v34
	v_sub_f32_e32 v3, v3, v5
	v_add_f32_e32 v3, v3, v4
	v_exp_f32_e32 v3, v3
	v_cvt_i32_f32_e32 v4, v5
	v_pk_mul_f16 v9, v9, v36
	v_pk_mul_f16 v11, v11, v36
	;; [unrolled: 1-line block ×3, first 2 shown]
	v_ldexp_f32 v3, v3, v4
	v_cndmask_b32_e32 v3, 0, v3, vcc
	v_cmp_nlt_f32_e32 vcc, s91, v34
	v_pk_mul_f16 v33, v15, v36
	v_pk_mul_f16 v13, v13, v36
	v_cndmask_b32_e32 v3, v227, v3, vcc
	v_fmac_f32_e32 v3, v7, v6
	v_pk_mul_f16 v119, v16, v36
	v_pk_mul_f16 v14, v14, v36
	;; [unrolled: 1-line block ×23, first 2 shown]
	v_mov_b64_e32 v[6:7], v[2:3]
.LBB31_58:                              ;   in Loop: Header=BB31_12 Depth=1
	s_or_b64 exec, exec, s[10:11]
	s_and_saveexec_b64 s[10:11], s[6:7]
; %bb.59:                               ;   in Loop: Header=BB31_12 Depth=1
	v_add_u32_e32 v2, 0, v209
	ds_write2_b32 v2, v6, v7 offset0:128 offset1:129
; %bb.60:                               ;   in Loop: Header=BB31_12 Depth=1
	s_or_b64 exec, exec, s[10:11]
	s_waitcnt lgkmcnt(0)
	s_barrier
	s_and_saveexec_b64 s[10:11], s[12:13]
	s_xor_b64 s[10:11], exec, s[10:11]
	s_cbranch_execz .LBB31_62
; %bb.61:                               ;   in Loop: Header=BB31_12 Depth=1
	s_barrier
                                        ; implicit-def: $vgpr8
.LBB31_62:                              ;   in Loop: Header=BB31_12 Depth=1
	s_andn2_saveexec_b64 s[10:11], s[10:11]
	s_cbranch_execz .LBB31_68
; %bb.63:                               ;   in Loop: Header=BB31_12 Depth=1
	v_add_u32_e32 v3, 0, v210
	ds_read_b64 v[6:7], v3 offset:512
	s_waitcnt lgkmcnt(0)
	s_barrier
	ds_bpermute_b32 v2, v8, v6
	v_max_f32_e32 v4, v6, v6
	s_waitcnt lgkmcnt(0)
	v_max_f32_e32 v2, v2, v2
	v_max_f32_e32 v2, v4, v2
	v_sub_f32_e32 v4, v6, v2
	v_mul_f32_e32 v5, 0x3fb8aa3b, v4
	v_fma_f32 v6, v4, s47, -v5
	v_rndne_f32_e32 v15, v5
	v_fmac_f32_e32 v6, 0x32a5705f, v4
	v_sub_f32_e32 v5, v5, v15
	v_add_f32_e32 v5, v5, v6
	v_cvt_i32_f32_e32 v15, v15
	v_exp_f32_e32 v5, v5
	v_cmp_ngt_f32_e32 vcc, s65, v4
	v_ldexp_f32 v5, v5, v15
	s_nop 0
	v_cndmask_b32_e32 v5, 0, v5, vcc
	v_cmp_nlt_f32_e32 vcc, s91, v4
	s_nop 1
	v_cndmask_b32_e32 v4, v227, v5, vcc
	v_mul_f32_e32 v5, v7, v4
	ds_bpermute_b32 v5, v8, v5
	s_waitcnt lgkmcnt(0)
	v_fmac_f32_e32 v5, v7, v4
	s_and_saveexec_b64 s[14:15], s[8:9]
; %bb.64:                               ;   in Loop: Header=BB31_12 Depth=1
	ds_write_b64 v3, v[4:5] offset:512
; %bb.65:                               ;   in Loop: Header=BB31_12 Depth=1
	s_or_b64 exec, exec, s[14:15]
	s_and_saveexec_b64 s[14:15], s[6:7]
	s_cbranch_execz .LBB31_67
; %bb.66:                               ;   in Loop: Header=BB31_12 Depth=1
	v_mov_b32_e32 v3, v5
	v_accvgpr_read_b32 v4, a78
	v_accvgpr_read_b32 v5, a79
	global_store_dwordx2 v[4:5], v[2:3], off
.LBB31_67:                              ;   in Loop: Header=BB31_12 Depth=1
	s_or_b64 exec, exec, s[14:15]
.LBB31_68:                              ;   in Loop: Header=BB31_12 Depth=1
	s_or_b64 exec, exec, s[10:11]
	v_add_u32_e32 v2, v107, v211
	ds_write2_b32 v2, v17, v9 offset1:1
	ds_write2_b32 v2, v22, v11 offset0:8 offset1:9
	ds_write2_b32 v2, v27, v12 offset0:16 offset1:17
	;; [unrolled: 1-line block ×15, first 2 shown]
	s_waitcnt lgkmcnt(0)
	s_barrier
	s_and_saveexec_b64 s[72:73], s[0:1]
	s_cbranch_execz .LBB31_146
; %bb.69:                               ;   in Loop: Header=BB31_12 Depth=1
	v_add_u32_e32 v2, v88, v113
	v_or_b32_e32 v1, v110, v43
	v_cmp_gt_i32_e64 s[10:11], s36, v2
	v_cmp_gt_i32_e32 vcc, s3, v1
	s_and_b64 s[14:15], s[10:11], vcc
	v_mov_b32_e32 v1, 0x47
	s_and_saveexec_b64 s[10:11], s[14:15]
	s_cbranch_execz .LBB31_71
; %bb.70:                               ;   in Loop: Header=BB31_12 Depth=1
	ds_read2st64_b32 v[4:5], v232 offset1:1
	ds_read2st64_b32 v[6:7], v212 offset0:2 offset1:35
	ds_read2st64_b32 v[8:9], v232 offset0:33 offset1:34
	v_mad_u64_u32 v[2:3], s[14:15], v2, s37, v[110:111]
	v_lshl_add_u32 v2, v2, 7, v40
	s_waitcnt lgkmcnt(2)
	v_cvt_f32_f16_sdwa v11, v4 dst_sel:DWORD dst_unused:UNUSED_PAD src0_sel:WORD_1
	v_cvt_f32_f16_e32 v10, v4
	v_cvt_f32_f16_sdwa v15, v5 dst_sel:DWORD dst_unused:UNUSED_PAD src0_sel:WORD_1
	v_cvt_f32_f16_e32 v14, v5
	s_waitcnt lgkmcnt(0)
	v_cvt_f32_f16_sdwa v13, v8 dst_sel:DWORD dst_unused:UNUSED_PAD src0_sel:WORD_1
	v_cvt_f32_f16_e32 v12, v8
	v_cvt_f32_f16_sdwa v17, v9 dst_sel:DWORD dst_unused:UNUSED_PAD src0_sel:WORD_1
	v_cvt_f32_f16_e32 v16, v9
	v_ashrrev_i32_e32 v3, 31, v2
	v_pk_fma_f32 v[10:11], v[6:7], v[10:11], 0 op_sel_hi:[0,1,0]
	v_mov_b32_e32 v4, v7
	v_pk_fma_f32 v[6:7], v[6:7], v[14:15], 0 op_sel_hi:[0,1,0]
	v_lshl_add_u64 v[2:3], v[2:3], 3, v[156:157]
	v_pk_fma_f32 v[8:9], v[4:5], v[12:13], v[10:11] op_sel_hi:[0,1,1]
	v_pk_fma_f32 v[4:5], v[4:5], v[16:17], v[6:7] op_sel_hi:[0,1,1]
	v_mov_b32_e32 v1, 0
	global_store_dwordx2 v[2:3], v[8:9], off
	global_store_dwordx2 v[2:3], v[4:5], off offset:512
.LBB31_71:                              ;   in Loop: Header=BB31_12 Depth=1
	s_or_b64 exec, exec, s[10:11]
	v_cmp_gt_i32_e64 s[10:11], s94, v1
	s_mov_b64 s[14:15], -1
	s_and_saveexec_b64 s[74:75], s[10:11]
; %bb.72:                               ;   in Loop: Header=BB31_12 Depth=1
	v_cmp_eq_u32_e64 s[10:11], 0, v1
	s_orn2_b64 s[14:15], s[10:11], exec
; %bb.73:                               ;   in Loop: Header=BB31_12 Depth=1
	s_or_b64 exec, exec, s[74:75]
	s_and_b64 exec, exec, s[14:15]
	s_cbranch_execz .LBB31_146
; %bb.74:                               ;   in Loop: Header=BB31_12 Depth=1
	v_add_u32_e32 v2, v230, v113
	v_or_b32_e32 v1, v82, v43
	v_cmp_gt_i32_e64 s[10:11], s36, v2
	v_cmp_gt_i32_e64 s[14:15], s3, v1
	s_and_b64 s[14:15], s[10:11], s[14:15]
	v_mov_b32_e32 v1, 0x47
	s_and_saveexec_b64 s[10:11], s[14:15]
	s_cbranch_execz .LBB31_76
; %bb.75:                               ;   in Loop: Header=BB31_12 Depth=1
	ds_read2st64_b32 v[4:5], v233 offset1:1
	v_accvgpr_read_b32 v1, a18
	ds_read2st64_b32 v[6:7], v1 offset0:2 offset1:35
	ds_read2st64_b32 v[8:9], v233 offset0:33 offset1:34
	v_mad_u64_u32 v[2:3], s[14:15], v2, s37, v[82:83]
	s_waitcnt lgkmcnt(2)
	v_cvt_f32_f16_sdwa v11, v4 dst_sel:DWORD dst_unused:UNUSED_PAD src0_sel:WORD_1
	v_cvt_f32_f16_e32 v10, v4
	v_cvt_f32_f16_sdwa v15, v5 dst_sel:DWORD dst_unused:UNUSED_PAD src0_sel:WORD_1
	v_cvt_f32_f16_e32 v14, v5
	s_waitcnt lgkmcnt(0)
	v_cvt_f32_f16_sdwa v13, v8 dst_sel:DWORD dst_unused:UNUSED_PAD src0_sel:WORD_1
	v_cvt_f32_f16_e32 v12, v8
	v_cvt_f32_f16_sdwa v17, v9 dst_sel:DWORD dst_unused:UNUSED_PAD src0_sel:WORD_1
	v_cvt_f32_f16_e32 v16, v9
	v_lshl_add_u32 v2, v2, 7, v40
	v_ashrrev_i32_e32 v3, 31, v2
	v_pk_fma_f32 v[10:11], v[6:7], v[10:11], 0 op_sel_hi:[0,1,0]
	v_mov_b32_e32 v4, v7
	v_pk_fma_f32 v[6:7], v[6:7], v[14:15], 0 op_sel_hi:[0,1,0]
	v_lshl_add_u64 v[2:3], v[2:3], 3, v[156:157]
	v_pk_fma_f32 v[8:9], v[4:5], v[12:13], v[10:11] op_sel_hi:[0,1,1]
	v_pk_fma_f32 v[4:5], v[4:5], v[16:17], v[6:7] op_sel_hi:[0,1,1]
	v_mov_b32_e32 v1, 0
	global_store_dwordx2 v[2:3], v[8:9], off
	global_store_dwordx2 v[2:3], v[4:5], off offset:512
.LBB31_76:                              ;   in Loop: Header=BB31_12 Depth=1
	s_or_b64 exec, exec, s[10:11]
	v_cmp_gt_i32_e64 s[10:11], s94, v1
	s_mov_b64 s[14:15], -1
	s_and_saveexec_b64 s[74:75], s[10:11]
; %bb.77:                               ;   in Loop: Header=BB31_12 Depth=1
	v_cmp_eq_u32_e64 s[10:11], 0, v1
	s_orn2_b64 s[14:15], s[10:11], exec
; %bb.78:                               ;   in Loop: Header=BB31_12 Depth=1
	s_or_b64 exec, exec, s[74:75]
	s_and_b64 exec, exec, s[14:15]
	s_cbranch_execz .LBB31_146
; %bb.79:                               ;   in Loop: Header=BB31_12 Depth=1
	v_accvgpr_read_b32 v1, a54
	v_accvgpr_read_b32 v4, a56
	v_add_u32_e32 v2, v1, v113
	v_or_b32_e32 v1, v4, v43
	v_cmp_gt_i32_e64 s[10:11], s36, v2
	v_cmp_gt_i32_e64 s[14:15], s3, v1
	s_and_b64 s[14:15], s[10:11], s[14:15]
	v_mov_b32_e32 v1, 0x47
	s_and_saveexec_b64 s[10:11], s[14:15]
	s_cbranch_execz .LBB31_81
; %bb.80:                               ;   in Loop: Header=BB31_12 Depth=1
	v_accvgpr_read_b32 v8, a36
	ds_read2st64_b32 v[4:5], v8 offset1:1
	v_accvgpr_read_b32 v6, a56
	v_accvgpr_read_b32 v1, a19
	v_mad_u64_u32 v[2:3], s[14:15], v2, s37, v[6:7]
	ds_read2st64_b32 v[6:7], v1 offset0:2 offset1:35
	ds_read2st64_b32 v[8:9], v8 offset0:33 offset1:34
	s_waitcnt lgkmcnt(2)
	v_cvt_f32_f16_sdwa v11, v4 dst_sel:DWORD dst_unused:UNUSED_PAD src0_sel:WORD_1
	v_cvt_f32_f16_e32 v10, v4
	v_cvt_f32_f16_sdwa v15, v5 dst_sel:DWORD dst_unused:UNUSED_PAD src0_sel:WORD_1
	v_cvt_f32_f16_e32 v14, v5
	s_waitcnt lgkmcnt(0)
	v_cvt_f32_f16_sdwa v13, v8 dst_sel:DWORD dst_unused:UNUSED_PAD src0_sel:WORD_1
	v_cvt_f32_f16_e32 v12, v8
	v_cvt_f32_f16_sdwa v17, v9 dst_sel:DWORD dst_unused:UNUSED_PAD src0_sel:WORD_1
	v_cvt_f32_f16_e32 v16, v9
	v_lshl_add_u32 v2, v2, 7, v40
	v_ashrrev_i32_e32 v3, 31, v2
	v_pk_fma_f32 v[10:11], v[6:7], v[10:11], 0 op_sel_hi:[0,1,0]
	v_mov_b32_e32 v4, v7
	v_pk_fma_f32 v[6:7], v[6:7], v[14:15], 0 op_sel_hi:[0,1,0]
	v_lshl_add_u64 v[2:3], v[2:3], 3, v[156:157]
	v_pk_fma_f32 v[8:9], v[4:5], v[12:13], v[10:11] op_sel_hi:[0,1,1]
	v_pk_fma_f32 v[4:5], v[4:5], v[16:17], v[6:7] op_sel_hi:[0,1,1]
	v_mov_b32_e32 v1, 0
	global_store_dwordx2 v[2:3], v[8:9], off
	global_store_dwordx2 v[2:3], v[4:5], off offset:512
.LBB31_81:                              ;   in Loop: Header=BB31_12 Depth=1
	s_or_b64 exec, exec, s[10:11]
	v_cmp_gt_i32_e64 s[10:11], s94, v1
	s_mov_b64 s[14:15], -1
	s_and_saveexec_b64 s[74:75], s[10:11]
; %bb.82:                               ;   in Loop: Header=BB31_12 Depth=1
	v_cmp_eq_u32_e64 s[10:11], 0, v1
	s_orn2_b64 s[14:15], s[10:11], exec
; %bb.83:                               ;   in Loop: Header=BB31_12 Depth=1
	s_or_b64 exec, exec, s[74:75]
	s_and_b64 exec, exec, s[14:15]
	s_cbranch_execz .LBB31_146
; %bb.84:                               ;   in Loop: Header=BB31_12 Depth=1
	v_accvgpr_read_b32 v1, a55
	v_accvgpr_read_b32 v4, a58
	v_add_u32_e32 v2, v1, v113
	v_or_b32_e32 v1, v4, v43
	v_cmp_gt_i32_e64 s[10:11], s36, v2
	v_cmp_gt_i32_e64 s[14:15], s3, v1
	s_and_b64 s[14:15], s[10:11], s[14:15]
	v_mov_b32_e32 v1, 0x47
	s_and_saveexec_b64 s[10:11], s[14:15]
	s_cbranch_execz .LBB31_86
; %bb.85:                               ;   in Loop: Header=BB31_12 Depth=1
	v_accvgpr_read_b32 v8, a37
	ds_read2st64_b32 v[4:5], v8 offset1:1
	v_accvgpr_read_b32 v6, a58
	v_accvgpr_read_b32 v1, a20
	v_mad_u64_u32 v[2:3], s[14:15], v2, s37, v[6:7]
	ds_read2st64_b32 v[6:7], v1 offset0:2 offset1:35
	ds_read2st64_b32 v[8:9], v8 offset0:33 offset1:34
	s_waitcnt lgkmcnt(2)
	v_cvt_f32_f16_sdwa v11, v4 dst_sel:DWORD dst_unused:UNUSED_PAD src0_sel:WORD_1
	v_cvt_f32_f16_e32 v10, v4
	v_cvt_f32_f16_sdwa v15, v5 dst_sel:DWORD dst_unused:UNUSED_PAD src0_sel:WORD_1
	v_cvt_f32_f16_e32 v14, v5
	s_waitcnt lgkmcnt(0)
	v_cvt_f32_f16_sdwa v13, v8 dst_sel:DWORD dst_unused:UNUSED_PAD src0_sel:WORD_1
	v_cvt_f32_f16_e32 v12, v8
	v_cvt_f32_f16_sdwa v17, v9 dst_sel:DWORD dst_unused:UNUSED_PAD src0_sel:WORD_1
	v_cvt_f32_f16_e32 v16, v9
	v_lshl_add_u32 v2, v2, 7, v40
	v_ashrrev_i32_e32 v3, 31, v2
	v_pk_fma_f32 v[10:11], v[6:7], v[10:11], 0 op_sel_hi:[0,1,0]
	v_mov_b32_e32 v4, v7
	v_pk_fma_f32 v[6:7], v[6:7], v[14:15], 0 op_sel_hi:[0,1,0]
	v_lshl_add_u64 v[2:3], v[2:3], 3, v[156:157]
	v_pk_fma_f32 v[8:9], v[4:5], v[12:13], v[10:11] op_sel_hi:[0,1,1]
	v_pk_fma_f32 v[4:5], v[4:5], v[16:17], v[6:7] op_sel_hi:[0,1,1]
	v_mov_b32_e32 v1, 0
	global_store_dwordx2 v[2:3], v[8:9], off
	global_store_dwordx2 v[2:3], v[4:5], off offset:512
.LBB31_86:                              ;   in Loop: Header=BB31_12 Depth=1
	s_or_b64 exec, exec, s[10:11]
	v_cmp_gt_i32_e64 s[10:11], s94, v1
	s_mov_b64 s[14:15], -1
	s_and_saveexec_b64 s[74:75], s[10:11]
; %bb.87:                               ;   in Loop: Header=BB31_12 Depth=1
	v_cmp_eq_u32_e64 s[10:11], 0, v1
	s_orn2_b64 s[14:15], s[10:11], exec
; %bb.88:                               ;   in Loop: Header=BB31_12 Depth=1
	s_or_b64 exec, exec, s[74:75]
	s_and_b64 exec, exec, s[14:15]
	s_cbranch_execz .LBB31_146
; %bb.89:                               ;   in Loop: Header=BB31_12 Depth=1
	v_accvgpr_read_b32 v1, a21
	v_add_u32_e32 v2, v1, v113
	v_cmp_gt_i32_e64 s[10:11], s36, v2
	s_and_b64 s[14:15], s[10:11], vcc
	v_mov_b32_e32 v1, 0x47
	s_and_saveexec_b64 s[10:11], s[14:15]
	s_cbranch_execz .LBB31_91
; %bb.90:                               ;   in Loop: Header=BB31_12 Depth=1
	v_accvgpr_read_b32 v8, a38
	ds_read2st64_b32 v[4:5], v8 offset1:1
	v_accvgpr_read_b32 v1, a22
	ds_read2st64_b32 v[6:7], v1 offset0:2 offset1:35
	ds_read2st64_b32 v[8:9], v8 offset0:33 offset1:34
	v_mad_u64_u32 v[2:3], s[14:15], v2, s37, v[110:111]
	s_waitcnt lgkmcnt(2)
	v_cvt_f32_f16_sdwa v11, v4 dst_sel:DWORD dst_unused:UNUSED_PAD src0_sel:WORD_1
	v_cvt_f32_f16_e32 v10, v4
	v_cvt_f32_f16_sdwa v15, v5 dst_sel:DWORD dst_unused:UNUSED_PAD src0_sel:WORD_1
	v_cvt_f32_f16_e32 v14, v5
	s_waitcnt lgkmcnt(0)
	v_cvt_f32_f16_sdwa v13, v8 dst_sel:DWORD dst_unused:UNUSED_PAD src0_sel:WORD_1
	v_cvt_f32_f16_e32 v12, v8
	v_cvt_f32_f16_sdwa v17, v9 dst_sel:DWORD dst_unused:UNUSED_PAD src0_sel:WORD_1
	v_cvt_f32_f16_e32 v16, v9
	v_lshl_add_u32 v2, v2, 7, v40
	v_ashrrev_i32_e32 v3, 31, v2
	v_pk_fma_f32 v[10:11], v[6:7], v[10:11], 0 op_sel_hi:[0,1,0]
	v_mov_b32_e32 v4, v7
	v_pk_fma_f32 v[6:7], v[6:7], v[14:15], 0 op_sel_hi:[0,1,0]
	v_lshl_add_u64 v[2:3], v[2:3], 3, v[156:157]
	v_pk_fma_f32 v[8:9], v[4:5], v[12:13], v[10:11] op_sel_hi:[0,1,1]
	v_pk_fma_f32 v[4:5], v[4:5], v[16:17], v[6:7] op_sel_hi:[0,1,1]
	v_mov_b32_e32 v1, 0
	global_store_dwordx2 v[2:3], v[8:9], off
	global_store_dwordx2 v[2:3], v[4:5], off offset:512
.LBB31_91:                              ;   in Loop: Header=BB31_12 Depth=1
	s_or_b64 exec, exec, s[10:11]
	v_cmp_gt_i32_e64 s[10:11], s94, v1
	s_mov_b64 s[14:15], -1
	s_and_saveexec_b64 s[74:75], s[10:11]
; %bb.92:                               ;   in Loop: Header=BB31_12 Depth=1
	v_cmp_eq_u32_e64 s[10:11], 0, v1
	s_orn2_b64 s[14:15], s[10:11], exec
; %bb.93:                               ;   in Loop: Header=BB31_12 Depth=1
	s_or_b64 exec, exec, s[74:75]
	s_and_b64 exec, exec, s[14:15]
	s_cbranch_execz .LBB31_146
; %bb.94:                               ;   in Loop: Header=BB31_12 Depth=1
	v_accvgpr_read_b32 v1, a57
	v_accvgpr_read_b32 v4, a60
	v_add_u32_e32 v2, v1, v113
	v_or_b32_e32 v1, v4, v43
	v_cmp_gt_i32_e64 s[10:11], s36, v2
	v_cmp_gt_i32_e64 s[14:15], s3, v1
	s_and_b64 s[14:15], s[10:11], s[14:15]
	v_mov_b32_e32 v1, 0x47
	s_and_saveexec_b64 s[10:11], s[14:15]
	s_cbranch_execz .LBB31_96
; %bb.95:                               ;   in Loop: Header=BB31_12 Depth=1
	v_accvgpr_read_b32 v8, a39
	ds_read2st64_b32 v[4:5], v8 offset1:1
	v_accvgpr_read_b32 v6, a60
	v_accvgpr_read_b32 v1, a23
	v_mad_u64_u32 v[2:3], s[14:15], v2, s37, v[6:7]
	ds_read2st64_b32 v[6:7], v1 offset0:2 offset1:35
	ds_read2st64_b32 v[8:9], v8 offset0:33 offset1:34
	s_waitcnt lgkmcnt(2)
	v_cvt_f32_f16_sdwa v11, v4 dst_sel:DWORD dst_unused:UNUSED_PAD src0_sel:WORD_1
	v_cvt_f32_f16_e32 v10, v4
	v_cvt_f32_f16_sdwa v15, v5 dst_sel:DWORD dst_unused:UNUSED_PAD src0_sel:WORD_1
	v_cvt_f32_f16_e32 v14, v5
	s_waitcnt lgkmcnt(0)
	v_cvt_f32_f16_sdwa v13, v8 dst_sel:DWORD dst_unused:UNUSED_PAD src0_sel:WORD_1
	v_cvt_f32_f16_e32 v12, v8
	v_cvt_f32_f16_sdwa v17, v9 dst_sel:DWORD dst_unused:UNUSED_PAD src0_sel:WORD_1
	v_cvt_f32_f16_e32 v16, v9
	v_lshl_add_u32 v2, v2, 7, v40
	v_ashrrev_i32_e32 v3, 31, v2
	v_pk_fma_f32 v[10:11], v[6:7], v[10:11], 0 op_sel_hi:[0,1,0]
	v_mov_b32_e32 v4, v7
	v_pk_fma_f32 v[6:7], v[6:7], v[14:15], 0 op_sel_hi:[0,1,0]
	v_lshl_add_u64 v[2:3], v[2:3], 3, v[156:157]
	v_pk_fma_f32 v[8:9], v[4:5], v[12:13], v[10:11] op_sel_hi:[0,1,1]
	v_pk_fma_f32 v[4:5], v[4:5], v[16:17], v[6:7] op_sel_hi:[0,1,1]
	v_mov_b32_e32 v1, 0
	global_store_dwordx2 v[2:3], v[8:9], off
	global_store_dwordx2 v[2:3], v[4:5], off offset:512
.LBB31_96:                              ;   in Loop: Header=BB31_12 Depth=1
	s_or_b64 exec, exec, s[10:11]
	v_cmp_gt_i32_e64 s[10:11], s94, v1
	s_mov_b64 s[14:15], -1
	s_and_saveexec_b64 s[74:75], s[10:11]
; %bb.97:                               ;   in Loop: Header=BB31_12 Depth=1
	v_cmp_eq_u32_e64 s[10:11], 0, v1
	s_orn2_b64 s[14:15], s[10:11], exec
; %bb.98:                               ;   in Loop: Header=BB31_12 Depth=1
	s_or_b64 exec, exec, s[74:75]
	s_and_b64 exec, exec, s[14:15]
	s_cbranch_execz .LBB31_146
; %bb.99:                               ;   in Loop: Header=BB31_12 Depth=1
	v_accvgpr_read_b32 v1, a59
	v_accvgpr_read_b32 v4, a62
	v_add_u32_e32 v2, v1, v113
	v_or_b32_e32 v1, v4, v43
	v_cmp_gt_i32_e64 s[10:11], s36, v2
	v_cmp_gt_i32_e64 s[14:15], s3, v1
	s_and_b64 s[14:15], s[10:11], s[14:15]
	v_mov_b32_e32 v1, 0x47
	s_and_saveexec_b64 s[10:11], s[14:15]
	s_cbranch_execz .LBB31_101
; %bb.100:                              ;   in Loop: Header=BB31_12 Depth=1
	v_accvgpr_read_b32 v8, a40
	ds_read2st64_b32 v[4:5], v8 offset1:1
	v_accvgpr_read_b32 v6, a62
	v_accvgpr_read_b32 v1, a24
	v_mad_u64_u32 v[2:3], s[14:15], v2, s37, v[6:7]
	ds_read2st64_b32 v[6:7], v1 offset0:2 offset1:35
	ds_read2st64_b32 v[8:9], v8 offset0:33 offset1:34
	s_waitcnt lgkmcnt(2)
	v_cvt_f32_f16_sdwa v11, v4 dst_sel:DWORD dst_unused:UNUSED_PAD src0_sel:WORD_1
	v_cvt_f32_f16_e32 v10, v4
	v_cvt_f32_f16_sdwa v15, v5 dst_sel:DWORD dst_unused:UNUSED_PAD src0_sel:WORD_1
	v_cvt_f32_f16_e32 v14, v5
	s_waitcnt lgkmcnt(0)
	v_cvt_f32_f16_sdwa v13, v8 dst_sel:DWORD dst_unused:UNUSED_PAD src0_sel:WORD_1
	v_cvt_f32_f16_e32 v12, v8
	v_cvt_f32_f16_sdwa v17, v9 dst_sel:DWORD dst_unused:UNUSED_PAD src0_sel:WORD_1
	v_cvt_f32_f16_e32 v16, v9
	v_lshl_add_u32 v2, v2, 7, v40
	v_ashrrev_i32_e32 v3, 31, v2
	v_pk_fma_f32 v[10:11], v[6:7], v[10:11], 0 op_sel_hi:[0,1,0]
	v_mov_b32_e32 v4, v7
	v_pk_fma_f32 v[6:7], v[6:7], v[14:15], 0 op_sel_hi:[0,1,0]
	v_lshl_add_u64 v[2:3], v[2:3], 3, v[156:157]
	v_pk_fma_f32 v[8:9], v[4:5], v[12:13], v[10:11] op_sel_hi:[0,1,1]
	v_pk_fma_f32 v[4:5], v[4:5], v[16:17], v[6:7] op_sel_hi:[0,1,1]
	v_mov_b32_e32 v1, 0
	global_store_dwordx2 v[2:3], v[8:9], off
	global_store_dwordx2 v[2:3], v[4:5], off offset:512
.LBB31_101:                             ;   in Loop: Header=BB31_12 Depth=1
	s_or_b64 exec, exec, s[10:11]
	v_cmp_gt_i32_e64 s[10:11], s94, v1
	s_mov_b64 s[14:15], -1
	s_and_saveexec_b64 s[74:75], s[10:11]
; %bb.102:                              ;   in Loop: Header=BB31_12 Depth=1
	v_cmp_eq_u32_e64 s[10:11], 0, v1
	s_orn2_b64 s[14:15], s[10:11], exec
; %bb.103:                              ;   in Loop: Header=BB31_12 Depth=1
	s_or_b64 exec, exec, s[74:75]
	s_and_b64 exec, exec, s[14:15]
	s_cbranch_execz .LBB31_146
; %bb.104:                              ;   in Loop: Header=BB31_12 Depth=1
	v_accvgpr_read_b32 v1, a61
	v_accvgpr_read_b32 v4, a64
	v_add_u32_e32 v2, v1, v113
	v_or_b32_e32 v1, v4, v43
	v_cmp_gt_i32_e64 s[10:11], s36, v2
	v_cmp_gt_i32_e64 s[14:15], s3, v1
	s_and_b64 s[14:15], s[10:11], s[14:15]
	v_mov_b32_e32 v1, 0x47
	s_and_saveexec_b64 s[10:11], s[14:15]
	s_cbranch_execz .LBB31_106
; %bb.105:                              ;   in Loop: Header=BB31_12 Depth=1
	v_accvgpr_read_b32 v8, a41
	ds_read2st64_b32 v[4:5], v8 offset1:1
	v_accvgpr_read_b32 v6, a64
	v_accvgpr_read_b32 v1, a25
	v_mad_u64_u32 v[2:3], s[14:15], v2, s37, v[6:7]
	ds_read2st64_b32 v[6:7], v1 offset0:2 offset1:35
	ds_read2st64_b32 v[8:9], v8 offset0:33 offset1:34
	s_waitcnt lgkmcnt(2)
	v_cvt_f32_f16_sdwa v11, v4 dst_sel:DWORD dst_unused:UNUSED_PAD src0_sel:WORD_1
	v_cvt_f32_f16_e32 v10, v4
	v_cvt_f32_f16_sdwa v15, v5 dst_sel:DWORD dst_unused:UNUSED_PAD src0_sel:WORD_1
	v_cvt_f32_f16_e32 v14, v5
	s_waitcnt lgkmcnt(0)
	v_cvt_f32_f16_sdwa v13, v8 dst_sel:DWORD dst_unused:UNUSED_PAD src0_sel:WORD_1
	v_cvt_f32_f16_e32 v12, v8
	v_cvt_f32_f16_sdwa v17, v9 dst_sel:DWORD dst_unused:UNUSED_PAD src0_sel:WORD_1
	v_cvt_f32_f16_e32 v16, v9
	v_lshl_add_u32 v2, v2, 7, v40
	v_ashrrev_i32_e32 v3, 31, v2
	v_pk_fma_f32 v[10:11], v[6:7], v[10:11], 0 op_sel_hi:[0,1,0]
	v_mov_b32_e32 v4, v7
	v_pk_fma_f32 v[6:7], v[6:7], v[14:15], 0 op_sel_hi:[0,1,0]
	v_lshl_add_u64 v[2:3], v[2:3], 3, v[156:157]
	v_pk_fma_f32 v[8:9], v[4:5], v[12:13], v[10:11] op_sel_hi:[0,1,1]
	v_pk_fma_f32 v[4:5], v[4:5], v[16:17], v[6:7] op_sel_hi:[0,1,1]
	v_mov_b32_e32 v1, 0
	global_store_dwordx2 v[2:3], v[8:9], off
	global_store_dwordx2 v[2:3], v[4:5], off offset:512
.LBB31_106:                             ;   in Loop: Header=BB31_12 Depth=1
	s_or_b64 exec, exec, s[10:11]
	v_cmp_gt_i32_e64 s[10:11], s94, v1
	s_mov_b64 s[14:15], -1
	s_and_saveexec_b64 s[74:75], s[10:11]
; %bb.107:                              ;   in Loop: Header=BB31_12 Depth=1
	v_cmp_eq_u32_e64 s[10:11], 0, v1
	s_orn2_b64 s[14:15], s[10:11], exec
; %bb.108:                              ;   in Loop: Header=BB31_12 Depth=1
	s_or_b64 exec, exec, s[74:75]
	s_and_b64 exec, exec, s[14:15]
	s_cbranch_execz .LBB31_146
; %bb.109:                              ;   in Loop: Header=BB31_12 Depth=1
	v_accvgpr_read_b32 v1, a26
	v_add_u32_e32 v2, v1, v113
	v_cmp_gt_i32_e64 s[10:11], s36, v2
	s_and_b64 s[14:15], s[10:11], vcc
	v_mov_b32_e32 v1, 0x47
	s_and_saveexec_b64 s[10:11], s[14:15]
	s_cbranch_execz .LBB31_111
; %bb.110:                              ;   in Loop: Header=BB31_12 Depth=1
	v_accvgpr_read_b32 v8, a42
	ds_read2st64_b32 v[4:5], v8 offset1:1
	v_accvgpr_read_b32 v1, a27
	ds_read2st64_b32 v[6:7], v1 offset0:2 offset1:35
	ds_read2st64_b32 v[8:9], v8 offset0:33 offset1:34
	v_mad_u64_u32 v[2:3], s[14:15], v2, s37, v[110:111]
	s_waitcnt lgkmcnt(2)
	v_cvt_f32_f16_sdwa v11, v4 dst_sel:DWORD dst_unused:UNUSED_PAD src0_sel:WORD_1
	v_cvt_f32_f16_e32 v10, v4
	v_cvt_f32_f16_sdwa v15, v5 dst_sel:DWORD dst_unused:UNUSED_PAD src0_sel:WORD_1
	v_cvt_f32_f16_e32 v14, v5
	s_waitcnt lgkmcnt(0)
	v_cvt_f32_f16_sdwa v13, v8 dst_sel:DWORD dst_unused:UNUSED_PAD src0_sel:WORD_1
	v_cvt_f32_f16_e32 v12, v8
	v_cvt_f32_f16_sdwa v17, v9 dst_sel:DWORD dst_unused:UNUSED_PAD src0_sel:WORD_1
	v_cvt_f32_f16_e32 v16, v9
	v_lshl_add_u32 v2, v2, 7, v40
	v_ashrrev_i32_e32 v3, 31, v2
	v_pk_fma_f32 v[10:11], v[6:7], v[10:11], 0 op_sel_hi:[0,1,0]
	v_mov_b32_e32 v4, v7
	v_pk_fma_f32 v[6:7], v[6:7], v[14:15], 0 op_sel_hi:[0,1,0]
	v_lshl_add_u64 v[2:3], v[2:3], 3, v[156:157]
	v_pk_fma_f32 v[8:9], v[4:5], v[12:13], v[10:11] op_sel_hi:[0,1,1]
	v_pk_fma_f32 v[4:5], v[4:5], v[16:17], v[6:7] op_sel_hi:[0,1,1]
	v_mov_b32_e32 v1, 0
	global_store_dwordx2 v[2:3], v[8:9], off
	global_store_dwordx2 v[2:3], v[4:5], off offset:512
.LBB31_111:                             ;   in Loop: Header=BB31_12 Depth=1
	s_or_b64 exec, exec, s[10:11]
	v_cmp_gt_i32_e64 s[10:11], s94, v1
	s_mov_b64 s[14:15], -1
	s_and_saveexec_b64 s[74:75], s[10:11]
; %bb.112:                              ;   in Loop: Header=BB31_12 Depth=1
	v_cmp_eq_u32_e64 s[10:11], 0, v1
	s_orn2_b64 s[14:15], s[10:11], exec
; %bb.113:                              ;   in Loop: Header=BB31_12 Depth=1
	s_or_b64 exec, exec, s[74:75]
	s_and_b64 exec, exec, s[14:15]
	s_cbranch_execz .LBB31_146
; %bb.114:                              ;   in Loop: Header=BB31_12 Depth=1
	v_accvgpr_read_b32 v1, a63
	v_accvgpr_read_b32 v4, a66
	v_add_u32_e32 v2, v1, v113
	v_or_b32_e32 v1, v4, v43
	v_cmp_gt_i32_e64 s[10:11], s36, v2
	v_cmp_gt_i32_e64 s[14:15], s3, v1
	s_and_b64 s[14:15], s[10:11], s[14:15]
	v_mov_b32_e32 v1, 0x47
	s_and_saveexec_b64 s[10:11], s[14:15]
	s_cbranch_execz .LBB31_116
; %bb.115:                              ;   in Loop: Header=BB31_12 Depth=1
	v_accvgpr_read_b32 v8, a43
	ds_read2st64_b32 v[4:5], v8 offset1:1
	v_accvgpr_read_b32 v6, a66
	v_accvgpr_read_b32 v1, a28
	v_mad_u64_u32 v[2:3], s[14:15], v2, s37, v[6:7]
	ds_read2st64_b32 v[6:7], v1 offset0:2 offset1:35
	ds_read2st64_b32 v[8:9], v8 offset0:33 offset1:34
	s_waitcnt lgkmcnt(2)
	v_cvt_f32_f16_sdwa v11, v4 dst_sel:DWORD dst_unused:UNUSED_PAD src0_sel:WORD_1
	v_cvt_f32_f16_e32 v10, v4
	v_cvt_f32_f16_sdwa v15, v5 dst_sel:DWORD dst_unused:UNUSED_PAD src0_sel:WORD_1
	v_cvt_f32_f16_e32 v14, v5
	s_waitcnt lgkmcnt(0)
	v_cvt_f32_f16_sdwa v13, v8 dst_sel:DWORD dst_unused:UNUSED_PAD src0_sel:WORD_1
	v_cvt_f32_f16_e32 v12, v8
	v_cvt_f32_f16_sdwa v17, v9 dst_sel:DWORD dst_unused:UNUSED_PAD src0_sel:WORD_1
	v_cvt_f32_f16_e32 v16, v9
	v_lshl_add_u32 v2, v2, 7, v40
	v_ashrrev_i32_e32 v3, 31, v2
	v_pk_fma_f32 v[10:11], v[6:7], v[10:11], 0 op_sel_hi:[0,1,0]
	v_mov_b32_e32 v4, v7
	v_pk_fma_f32 v[6:7], v[6:7], v[14:15], 0 op_sel_hi:[0,1,0]
	v_lshl_add_u64 v[2:3], v[2:3], 3, v[156:157]
	v_pk_fma_f32 v[8:9], v[4:5], v[12:13], v[10:11] op_sel_hi:[0,1,1]
	v_pk_fma_f32 v[4:5], v[4:5], v[16:17], v[6:7] op_sel_hi:[0,1,1]
	v_mov_b32_e32 v1, 0
	global_store_dwordx2 v[2:3], v[8:9], off
	global_store_dwordx2 v[2:3], v[4:5], off offset:512
.LBB31_116:                             ;   in Loop: Header=BB31_12 Depth=1
	s_or_b64 exec, exec, s[10:11]
	v_cmp_gt_i32_e64 s[10:11], s94, v1
	s_mov_b64 s[14:15], -1
	s_and_saveexec_b64 s[74:75], s[10:11]
; %bb.117:                              ;   in Loop: Header=BB31_12 Depth=1
	v_cmp_eq_u32_e64 s[10:11], 0, v1
	s_orn2_b64 s[14:15], s[10:11], exec
; %bb.118:                              ;   in Loop: Header=BB31_12 Depth=1
	s_or_b64 exec, exec, s[74:75]
	s_and_b64 exec, exec, s[14:15]
	s_cbranch_execz .LBB31_146
; %bb.119:                              ;   in Loop: Header=BB31_12 Depth=1
	v_accvgpr_read_b32 v1, a65
	v_accvgpr_read_b32 v4, a68
	v_add_u32_e32 v2, v1, v113
	v_or_b32_e32 v1, v4, v43
	v_cmp_gt_i32_e64 s[10:11], s36, v2
	v_cmp_gt_i32_e64 s[14:15], s3, v1
	s_and_b64 s[14:15], s[10:11], s[14:15]
	v_mov_b32_e32 v1, 0x47
	s_and_saveexec_b64 s[10:11], s[14:15]
	s_cbranch_execz .LBB31_121
; %bb.120:                              ;   in Loop: Header=BB31_12 Depth=1
	v_accvgpr_read_b32 v8, a44
	ds_read2st64_b32 v[4:5], v8 offset1:1
	v_accvgpr_read_b32 v6, a68
	v_accvgpr_read_b32 v1, a29
	v_mad_u64_u32 v[2:3], s[14:15], v2, s37, v[6:7]
	ds_read2st64_b32 v[6:7], v1 offset0:2 offset1:35
	ds_read2st64_b32 v[8:9], v8 offset0:33 offset1:34
	s_waitcnt lgkmcnt(2)
	v_cvt_f32_f16_sdwa v11, v4 dst_sel:DWORD dst_unused:UNUSED_PAD src0_sel:WORD_1
	v_cvt_f32_f16_e32 v10, v4
	v_cvt_f32_f16_sdwa v15, v5 dst_sel:DWORD dst_unused:UNUSED_PAD src0_sel:WORD_1
	v_cvt_f32_f16_e32 v14, v5
	s_waitcnt lgkmcnt(0)
	v_cvt_f32_f16_sdwa v13, v8 dst_sel:DWORD dst_unused:UNUSED_PAD src0_sel:WORD_1
	v_cvt_f32_f16_e32 v12, v8
	v_cvt_f32_f16_sdwa v17, v9 dst_sel:DWORD dst_unused:UNUSED_PAD src0_sel:WORD_1
	v_cvt_f32_f16_e32 v16, v9
	v_lshl_add_u32 v2, v2, 7, v40
	v_ashrrev_i32_e32 v3, 31, v2
	v_pk_fma_f32 v[10:11], v[6:7], v[10:11], 0 op_sel_hi:[0,1,0]
	v_mov_b32_e32 v4, v7
	v_pk_fma_f32 v[6:7], v[6:7], v[14:15], 0 op_sel_hi:[0,1,0]
	v_lshl_add_u64 v[2:3], v[2:3], 3, v[156:157]
	v_pk_fma_f32 v[8:9], v[4:5], v[12:13], v[10:11] op_sel_hi:[0,1,1]
	v_pk_fma_f32 v[4:5], v[4:5], v[16:17], v[6:7] op_sel_hi:[0,1,1]
	v_mov_b32_e32 v1, 0
	global_store_dwordx2 v[2:3], v[8:9], off
	global_store_dwordx2 v[2:3], v[4:5], off offset:512
.LBB31_121:                             ;   in Loop: Header=BB31_12 Depth=1
	s_or_b64 exec, exec, s[10:11]
	v_cmp_gt_i32_e64 s[10:11], s94, v1
	s_mov_b64 s[14:15], -1
	s_and_saveexec_b64 s[74:75], s[10:11]
; %bb.122:                              ;   in Loop: Header=BB31_12 Depth=1
	v_cmp_eq_u32_e64 s[10:11], 0, v1
	s_orn2_b64 s[14:15], s[10:11], exec
; %bb.123:                              ;   in Loop: Header=BB31_12 Depth=1
	s_or_b64 exec, exec, s[74:75]
	s_and_b64 exec, exec, s[14:15]
	s_cbranch_execz .LBB31_146
; %bb.124:                              ;   in Loop: Header=BB31_12 Depth=1
	v_accvgpr_read_b32 v1, a67
	v_accvgpr_read_b32 v4, a70
	v_add_u32_e32 v2, v1, v113
	v_or_b32_e32 v1, v4, v43
	v_cmp_gt_i32_e64 s[10:11], s36, v2
	v_cmp_gt_i32_e64 s[14:15], s3, v1
	s_and_b64 s[14:15], s[10:11], s[14:15]
	v_mov_b32_e32 v1, 0x47
	s_and_saveexec_b64 s[10:11], s[14:15]
	s_cbranch_execz .LBB31_126
; %bb.125:                              ;   in Loop: Header=BB31_12 Depth=1
	v_accvgpr_read_b32 v8, a45
	ds_read2st64_b32 v[4:5], v8 offset1:1
	v_accvgpr_read_b32 v6, a70
	v_accvgpr_read_b32 v1, a30
	v_mad_u64_u32 v[2:3], s[14:15], v2, s37, v[6:7]
	ds_read2st64_b32 v[6:7], v1 offset0:2 offset1:35
	ds_read2st64_b32 v[8:9], v8 offset0:33 offset1:34
	s_waitcnt lgkmcnt(2)
	v_cvt_f32_f16_sdwa v11, v4 dst_sel:DWORD dst_unused:UNUSED_PAD src0_sel:WORD_1
	v_cvt_f32_f16_e32 v10, v4
	v_cvt_f32_f16_sdwa v15, v5 dst_sel:DWORD dst_unused:UNUSED_PAD src0_sel:WORD_1
	v_cvt_f32_f16_e32 v14, v5
	s_waitcnt lgkmcnt(0)
	v_cvt_f32_f16_sdwa v13, v8 dst_sel:DWORD dst_unused:UNUSED_PAD src0_sel:WORD_1
	v_cvt_f32_f16_e32 v12, v8
	v_cvt_f32_f16_sdwa v17, v9 dst_sel:DWORD dst_unused:UNUSED_PAD src0_sel:WORD_1
	v_cvt_f32_f16_e32 v16, v9
	v_lshl_add_u32 v2, v2, 7, v40
	v_ashrrev_i32_e32 v3, 31, v2
	v_pk_fma_f32 v[10:11], v[6:7], v[10:11], 0 op_sel_hi:[0,1,0]
	v_mov_b32_e32 v4, v7
	v_pk_fma_f32 v[6:7], v[6:7], v[14:15], 0 op_sel_hi:[0,1,0]
	v_lshl_add_u64 v[2:3], v[2:3], 3, v[156:157]
	v_pk_fma_f32 v[8:9], v[4:5], v[12:13], v[10:11] op_sel_hi:[0,1,1]
	v_pk_fma_f32 v[4:5], v[4:5], v[16:17], v[6:7] op_sel_hi:[0,1,1]
	v_mov_b32_e32 v1, 0
	global_store_dwordx2 v[2:3], v[8:9], off
	global_store_dwordx2 v[2:3], v[4:5], off offset:512
.LBB31_126:                             ;   in Loop: Header=BB31_12 Depth=1
	s_or_b64 exec, exec, s[10:11]
	v_cmp_gt_i32_e64 s[10:11], s94, v1
	s_mov_b64 s[14:15], -1
	s_and_saveexec_b64 s[74:75], s[10:11]
; %bb.127:                              ;   in Loop: Header=BB31_12 Depth=1
	v_cmp_eq_u32_e64 s[10:11], 0, v1
	s_orn2_b64 s[14:15], s[10:11], exec
; %bb.128:                              ;   in Loop: Header=BB31_12 Depth=1
	s_or_b64 exec, exec, s[74:75]
	s_and_b64 exec, exec, s[14:15]
	s_cbranch_execz .LBB31_146
; %bb.129:                              ;   in Loop: Header=BB31_12 Depth=1
	v_accvgpr_read_b32 v1, a31
	v_add_u32_e32 v2, v1, v113
	v_cmp_gt_i32_e64 s[10:11], s36, v2
	s_and_b64 s[14:15], s[10:11], vcc
	v_mov_b32_e32 v1, 0x47
	s_and_saveexec_b64 s[10:11], s[14:15]
	s_cbranch_execz .LBB31_131
; %bb.130:                              ;   in Loop: Header=BB31_12 Depth=1
	v_accvgpr_read_b32 v8, a46
	ds_read2st64_b32 v[4:5], v8 offset1:1
	v_accvgpr_read_b32 v1, a32
	ds_read2st64_b32 v[6:7], v1 offset0:2 offset1:35
	ds_read2st64_b32 v[8:9], v8 offset0:33 offset1:34
	v_mad_u64_u32 v[2:3], s[14:15], v2, s37, v[110:111]
	s_waitcnt lgkmcnt(2)
	v_cvt_f32_f16_sdwa v11, v4 dst_sel:DWORD dst_unused:UNUSED_PAD src0_sel:WORD_1
	v_cvt_f32_f16_e32 v10, v4
	v_cvt_f32_f16_sdwa v15, v5 dst_sel:DWORD dst_unused:UNUSED_PAD src0_sel:WORD_1
	v_cvt_f32_f16_e32 v14, v5
	s_waitcnt lgkmcnt(0)
	v_cvt_f32_f16_sdwa v13, v8 dst_sel:DWORD dst_unused:UNUSED_PAD src0_sel:WORD_1
	v_cvt_f32_f16_e32 v12, v8
	v_cvt_f32_f16_sdwa v17, v9 dst_sel:DWORD dst_unused:UNUSED_PAD src0_sel:WORD_1
	v_cvt_f32_f16_e32 v16, v9
	v_lshl_add_u32 v2, v2, 7, v40
	v_ashrrev_i32_e32 v3, 31, v2
	v_pk_fma_f32 v[10:11], v[6:7], v[10:11], 0 op_sel_hi:[0,1,0]
	v_mov_b32_e32 v4, v7
	v_pk_fma_f32 v[6:7], v[6:7], v[14:15], 0 op_sel_hi:[0,1,0]
	v_lshl_add_u64 v[2:3], v[2:3], 3, v[156:157]
	v_pk_fma_f32 v[8:9], v[4:5], v[12:13], v[10:11] op_sel_hi:[0,1,1]
	v_pk_fma_f32 v[4:5], v[4:5], v[16:17], v[6:7] op_sel_hi:[0,1,1]
	v_mov_b32_e32 v1, 0
	global_store_dwordx2 v[2:3], v[8:9], off
	global_store_dwordx2 v[2:3], v[4:5], off offset:512
.LBB31_131:                             ;   in Loop: Header=BB31_12 Depth=1
	s_or_b64 exec, exec, s[10:11]
	v_cmp_gt_i32_e32 vcc, s94, v1
	s_mov_b64 s[10:11], -1
	s_and_saveexec_b64 s[14:15], vcc
; %bb.132:                              ;   in Loop: Header=BB31_12 Depth=1
	v_cmp_eq_u32_e32 vcc, 0, v1
	s_orn2_b64 s[10:11], vcc, exec
; %bb.133:                              ;   in Loop: Header=BB31_12 Depth=1
	s_or_b64 exec, exec, s[14:15]
	s_and_b64 exec, exec, s[10:11]
	s_cbranch_execz .LBB31_146
; %bb.134:                              ;   in Loop: Header=BB31_12 Depth=1
	v_accvgpr_read_b32 v1, a69
	v_accvgpr_read_b32 v4, a72
	v_add_u32_e32 v2, v1, v113
	v_or_b32_e32 v1, v4, v43
	v_cmp_gt_i32_e32 vcc, s36, v2
	v_cmp_gt_i32_e64 s[10:11], s3, v1
	s_and_b64 s[14:15], vcc, s[10:11]
	v_mov_b32_e32 v1, 0x47
	s_and_saveexec_b64 s[10:11], s[14:15]
	s_cbranch_execz .LBB31_136
; %bb.135:                              ;   in Loop: Header=BB31_12 Depth=1
	v_accvgpr_read_b32 v8, a47
	ds_read2st64_b32 v[4:5], v8 offset1:1
	v_accvgpr_read_b32 v6, a72
	v_accvgpr_read_b32 v1, a33
	v_mad_u64_u32 v[2:3], s[14:15], v2, s37, v[6:7]
	ds_read2st64_b32 v[6:7], v1 offset0:2 offset1:35
	ds_read2st64_b32 v[8:9], v8 offset0:33 offset1:34
	s_waitcnt lgkmcnt(2)
	v_cvt_f32_f16_sdwa v11, v4 dst_sel:DWORD dst_unused:UNUSED_PAD src0_sel:WORD_1
	v_cvt_f32_f16_e32 v10, v4
	v_cvt_f32_f16_sdwa v15, v5 dst_sel:DWORD dst_unused:UNUSED_PAD src0_sel:WORD_1
	v_cvt_f32_f16_e32 v14, v5
	s_waitcnt lgkmcnt(0)
	v_cvt_f32_f16_sdwa v13, v8 dst_sel:DWORD dst_unused:UNUSED_PAD src0_sel:WORD_1
	v_cvt_f32_f16_e32 v12, v8
	v_cvt_f32_f16_sdwa v17, v9 dst_sel:DWORD dst_unused:UNUSED_PAD src0_sel:WORD_1
	v_cvt_f32_f16_e32 v16, v9
	v_lshl_add_u32 v2, v2, 7, v40
	v_ashrrev_i32_e32 v3, 31, v2
	v_pk_fma_f32 v[10:11], v[6:7], v[10:11], 0 op_sel_hi:[0,1,0]
	v_mov_b32_e32 v4, v7
	v_pk_fma_f32 v[6:7], v[6:7], v[14:15], 0 op_sel_hi:[0,1,0]
	v_lshl_add_u64 v[2:3], v[2:3], 3, v[156:157]
	v_pk_fma_f32 v[8:9], v[4:5], v[12:13], v[10:11] op_sel_hi:[0,1,1]
	v_pk_fma_f32 v[4:5], v[4:5], v[16:17], v[6:7] op_sel_hi:[0,1,1]
	v_mov_b32_e32 v1, 0
	global_store_dwordx2 v[2:3], v[8:9], off
	global_store_dwordx2 v[2:3], v[4:5], off offset:512
.LBB31_136:                             ;   in Loop: Header=BB31_12 Depth=1
	s_or_b64 exec, exec, s[10:11]
	v_cmp_gt_i32_e32 vcc, s94, v1
	s_mov_b64 s[10:11], -1
	s_and_saveexec_b64 s[14:15], vcc
; %bb.137:                              ;   in Loop: Header=BB31_12 Depth=1
	v_cmp_eq_u32_e32 vcc, 0, v1
	s_orn2_b64 s[10:11], vcc, exec
; %bb.138:                              ;   in Loop: Header=BB31_12 Depth=1
	s_or_b64 exec, exec, s[14:15]
	s_and_b64 exec, exec, s[10:11]
	s_cbranch_execz .LBB31_146
; %bb.139:                              ;   in Loop: Header=BB31_12 Depth=1
	v_accvgpr_read_b32 v1, a71
	v_accvgpr_read_b32 v4, a74
	v_add_u32_e32 v2, v1, v113
	v_or_b32_e32 v1, v4, v43
	v_cmp_gt_i32_e32 vcc, s36, v2
	v_cmp_gt_i32_e64 s[10:11], s3, v1
	s_and_b64 s[14:15], vcc, s[10:11]
	v_mov_b32_e32 v1, 0x47
	s_and_saveexec_b64 s[10:11], s[14:15]
	s_cbranch_execz .LBB31_141
; %bb.140:                              ;   in Loop: Header=BB31_12 Depth=1
	v_accvgpr_read_b32 v8, a48
	ds_read2st64_b32 v[4:5], v8 offset1:1
	v_accvgpr_read_b32 v6, a74
	v_accvgpr_read_b32 v1, a34
	v_mad_u64_u32 v[2:3], s[14:15], v2, s37, v[6:7]
	ds_read2st64_b32 v[6:7], v1 offset0:2 offset1:35
	ds_read2st64_b32 v[8:9], v8 offset0:33 offset1:34
	s_waitcnt lgkmcnt(2)
	v_cvt_f32_f16_sdwa v11, v4 dst_sel:DWORD dst_unused:UNUSED_PAD src0_sel:WORD_1
	v_cvt_f32_f16_e32 v10, v4
	v_cvt_f32_f16_sdwa v15, v5 dst_sel:DWORD dst_unused:UNUSED_PAD src0_sel:WORD_1
	v_cvt_f32_f16_e32 v14, v5
	s_waitcnt lgkmcnt(0)
	v_cvt_f32_f16_sdwa v13, v8 dst_sel:DWORD dst_unused:UNUSED_PAD src0_sel:WORD_1
	v_cvt_f32_f16_e32 v12, v8
	v_cvt_f32_f16_sdwa v17, v9 dst_sel:DWORD dst_unused:UNUSED_PAD src0_sel:WORD_1
	v_cvt_f32_f16_e32 v16, v9
	v_lshl_add_u32 v2, v2, 7, v40
	v_ashrrev_i32_e32 v3, 31, v2
	v_pk_fma_f32 v[10:11], v[6:7], v[10:11], 0 op_sel_hi:[0,1,0]
	v_mov_b32_e32 v4, v7
	v_pk_fma_f32 v[6:7], v[6:7], v[14:15], 0 op_sel_hi:[0,1,0]
	v_lshl_add_u64 v[2:3], v[2:3], 3, v[156:157]
	v_pk_fma_f32 v[8:9], v[4:5], v[12:13], v[10:11] op_sel_hi:[0,1,1]
	v_pk_fma_f32 v[4:5], v[4:5], v[16:17], v[6:7] op_sel_hi:[0,1,1]
	v_mov_b32_e32 v1, 0
	global_store_dwordx2 v[2:3], v[8:9], off
	global_store_dwordx2 v[2:3], v[4:5], off offset:512
.LBB31_141:                             ;   in Loop: Header=BB31_12 Depth=1
	s_or_b64 exec, exec, s[10:11]
	v_cmp_gt_i32_e32 vcc, s94, v1
	s_mov_b64 s[10:11], -1
	s_and_saveexec_b64 s[14:15], vcc
; %bb.142:                              ;   in Loop: Header=BB31_12 Depth=1
	v_cmp_eq_u32_e32 vcc, 0, v1
	s_orn2_b64 s[10:11], vcc, exec
; %bb.143:                              ;   in Loop: Header=BB31_12 Depth=1
	s_or_b64 exec, exec, s[14:15]
	s_and_b64 exec, exec, s[10:11]
	s_cbranch_execz .LBB31_146
; %bb.144:                              ;   in Loop: Header=BB31_12 Depth=1
	v_accvgpr_read_b32 v1, a73
	v_accvgpr_read_b32 v2, a76
	v_add_u32_e32 v1, v1, v113
	v_or_b32_e32 v2, v2, v43
	v_cmp_gt_i32_e32 vcc, s36, v1
	v_cmp_gt_i32_e64 s[10:11], s3, v2
	s_and_b64 s[10:11], vcc, s[10:11]
	s_and_b64 exec, exec, s[10:11]
	s_cbranch_execz .LBB31_146
; %bb.145:                              ;   in Loop: Header=BB31_12 Depth=1
	v_accvgpr_read_b32 v8, a49
	v_accvgpr_read_b32 v4, a76
	ds_read2st64_b32 v[2:3], v8 offset1:1
	v_mad_u64_u32 v[4:5], s[10:11], v1, s37, v[4:5]
	v_accvgpr_read_b32 v1, a35
	ds_read2st64_b32 v[6:7], v1 offset0:2 offset1:35
	ds_read2st64_b32 v[8:9], v8 offset0:33 offset1:34
	s_waitcnt lgkmcnt(2)
	v_cvt_f32_f16_sdwa v11, v2 dst_sel:DWORD dst_unused:UNUSED_PAD src0_sel:WORD_1
	v_cvt_f32_f16_e32 v10, v2
	v_cvt_f32_f16_sdwa v15, v3 dst_sel:DWORD dst_unused:UNUSED_PAD src0_sel:WORD_1
	v_cvt_f32_f16_e32 v14, v3
	s_waitcnt lgkmcnt(0)
	v_cvt_f32_f16_sdwa v13, v8 dst_sel:DWORD dst_unused:UNUSED_PAD src0_sel:WORD_1
	v_cvt_f32_f16_e32 v12, v8
	v_cvt_f32_f16_sdwa v17, v9 dst_sel:DWORD dst_unused:UNUSED_PAD src0_sel:WORD_1
	v_cvt_f32_f16_e32 v16, v9
	v_lshl_add_u32 v4, v4, 7, v40
	v_ashrrev_i32_e32 v5, 31, v4
	v_pk_fma_f32 v[10:11], v[6:7], v[10:11], 0 op_sel_hi:[0,1,0]
	v_mov_b32_e32 v2, v7
	v_pk_fma_f32 v[6:7], v[6:7], v[14:15], 0 op_sel_hi:[0,1,0]
	v_lshl_add_u64 v[4:5], v[4:5], 3, v[156:157]
	v_pk_fma_f32 v[8:9], v[2:3], v[12:13], v[10:11] op_sel_hi:[0,1,1]
	v_pk_fma_f32 v[2:3], v[2:3], v[16:17], v[6:7] op_sel_hi:[0,1,1]
	global_store_dwordx2 v[4:5], v[8:9], off
	global_store_dwordx2 v[4:5], v[2:3], off offset:512
.LBB31_146:                             ;   in Loop: Header=BB31_12 Depth=1
	s_or_b64 exec, exec, s[72:73]
	s_barrier
	s_branch .LBB31_11
.LBB31_147:                             ;   in Loop: Header=BB31_12 Depth=1
	v_cmp_le_i32_e64 s[10:11], s36, v115
	v_cmp_le_i32_e64 s[14:15], s3, v117
	v_cmp_gt_i32_e32 vcc, s3, v117
	s_or_b64 s[10:11], s[10:11], s[14:15]
	s_and_saveexec_b64 s[14:15], s[10:11]
	s_xor_b64 s[10:11], exec, s[14:15]
; %bb.148:                              ;   in Loop: Header=BB31_12 Depth=1
	v_add_u32_e32 v1, v231, v246
	ds_write2st64_b32 v1, v45, v45 offset1:1
                                        ; implicit-def: $vgpr115
; %bb.149:                              ;   in Loop: Header=BB31_12 Depth=1
	s_andn2_saveexec_b64 s[10:11], s[10:11]
	s_cbranch_execz .LBB31_151
; %bb.150:                              ;   in Loop: Header=BB31_12 Depth=1
	v_mad_u64_u32 v[2:3], s[14:15], v115, s57, v[112:113]
	v_ashrrev_i32_e32 v3, 31, v2
	v_lshl_add_u64 v[2:3], v[2:3], 3, v[176:177]
	global_load_dwordx2 v[4:5], v[2:3], off
	s_nop 0
	global_load_dwordx2 v[2:3], v[2:3], off offset:512
	s_waitcnt vmcnt(1)
	v_cvt_pk_f16_f32 v1, v4, v5
	s_waitcnt vmcnt(0)
	v_cvt_pk_f16_f32 v2, v2, v3
	v_pk_mul_f16 v1, v1, v249
	v_pk_mul_f16 v2, v2, v249
	ds_write2st64_b32 v245, v1, v2 offset1:1
.LBB31_151:                             ;   in Loop: Header=BB31_12 Depth=1
	s_or_b64 exec, exec, s[10:11]
	v_add_u32_e32 v1, v104, v113
	v_or_b32_e32 v2, v226, v43
	v_cmp_le_i32_e64 s[10:11], s36, v1
	v_cmp_le_i32_e64 s[14:15], s3, v2
	s_or_b64 s[10:11], s[10:11], s[14:15]
	s_and_saveexec_b64 s[14:15], s[10:11]
	s_xor_b64 s[10:11], exec, s[14:15]
; %bb.152:                              ;   in Loop: Header=BB31_12 Depth=1
	v_add_u32_e32 v1, v231, v246
	v_add_u32_e32 v1, 64, v1
	ds_write2st64_b32 v1, v45, v45 offset0:8 offset1:9
                                        ; implicit-def: $vgpr1
; %bb.153:                              ;   in Loop: Header=BB31_12 Depth=1
	s_andn2_saveexec_b64 s[10:11], s[10:11]
	s_cbranch_execz .LBB31_155
; %bb.154:                              ;   in Loop: Header=BB31_12 Depth=1
	v_mad_u64_u32 v[2:3], s[14:15], v1, s57, v[114:115]
	v_ashrrev_i32_e32 v3, 31, v2
	v_lshl_add_u64 v[2:3], v[2:3], 3, v[176:177]
	global_load_dwordx2 v[4:5], v[2:3], off
	s_nop 0
	global_load_dwordx2 v[2:3], v[2:3], off offset:512
	s_waitcnt vmcnt(1)
	v_cvt_pk_f16_f32 v1, v4, v5
	s_waitcnt vmcnt(0)
	v_cvt_pk_f16_f32 v2, v2, v3
	v_pk_mul_f16 v1, v1, v249
	v_pk_mul_f16 v2, v2, v249
	ds_write2st64_b32 v218, v1, v2 offset1:1
.LBB31_155:                             ;   in Loop: Header=BB31_12 Depth=1
	s_or_b64 exec, exec, s[10:11]
	v_add_u32_e32 v1, v102, v113
	v_cmp_le_i32_e64 s[10:11], s36, v1
	s_xor_b64 s[14:15], vcc, -1
	s_or_b64 s[10:11], s[10:11], s[14:15]
	s_and_saveexec_b64 s[72:73], s[10:11]
	s_xor_b64 s[10:11], exec, s[72:73]
; %bb.156:                              ;   in Loop: Header=BB31_12 Depth=1
	v_add_u32_e32 v1, v231, v246
	v_add_u32_e32 v1, 0x80, v1
	ds_write2st64_b32 v1, v45, v45 offset0:16 offset1:17
                                        ; implicit-def: $vgpr1
; %bb.157:                              ;   in Loop: Header=BB31_12 Depth=1
	s_andn2_saveexec_b64 s[10:11], s[10:11]
	s_cbranch_execz .LBB31_159
; %bb.158:                              ;   in Loop: Header=BB31_12 Depth=1
	v_mad_u64_u32 v[2:3], s[72:73], v1, s57, v[112:113]
	v_ashrrev_i32_e32 v3, 31, v2
	v_lshl_add_u64 v[2:3], v[2:3], 3, v[176:177]
	global_load_dwordx2 v[4:5], v[2:3], off
	s_nop 0
	global_load_dwordx2 v[2:3], v[2:3], off offset:512
	s_waitcnt vmcnt(1)
	v_cvt_pk_f16_f32 v1, v4, v5
	s_waitcnt vmcnt(0)
	v_cvt_pk_f16_f32 v2, v2, v3
	v_pk_mul_f16 v1, v1, v249
	v_pk_mul_f16 v2, v2, v249
	ds_write2st64_b32 v219, v1, v2 offset1:1
.LBB31_159:                             ;   in Loop: Header=BB31_12 Depth=1
	s_or_b64 exec, exec, s[10:11]
	v_add_u32_e32 v1, v243, v113
	v_or_b32_e32 v2, v98, v43
	v_cmp_le_i32_e32 vcc, s36, v1
	v_cmp_le_i32_e64 s[10:11], s3, v2
	s_or_b64 s[10:11], vcc, s[10:11]
	s_and_saveexec_b64 s[72:73], s[10:11]
	s_xor_b64 s[10:11], exec, s[72:73]
; %bb.160:                              ;   in Loop: Header=BB31_12 Depth=1
	v_add_u32_e32 v1, v231, v246
	v_add_u32_e32 v1, 0xc0, v1
	ds_write2st64_b32 v1, v45, v45 offset0:24 offset1:25
                                        ; implicit-def: $vgpr1
; %bb.161:                              ;   in Loop: Header=BB31_12 Depth=1
	s_andn2_saveexec_b64 s[10:11], s[10:11]
	s_cbranch_execz .LBB31_163
; %bb.162:                              ;   in Loop: Header=BB31_12 Depth=1
	v_mad_u64_u32 v[2:3], s[72:73], v1, s57, v[116:117]
	v_ashrrev_i32_e32 v3, 31, v2
	v_lshl_add_u64 v[2:3], v[2:3], 3, v[176:177]
	global_load_dwordx2 v[4:5], v[2:3], off
	s_nop 0
	global_load_dwordx2 v[2:3], v[2:3], off offset:512
	s_waitcnt vmcnt(1)
	v_cvt_pk_f16_f32 v1, v4, v5
	s_waitcnt vmcnt(0)
	v_cvt_pk_f16_f32 v2, v2, v3
	v_pk_mul_f16 v1, v1, v249
	v_pk_mul_f16 v2, v2, v249
	ds_write2st64_b32 v220, v1, v2 offset1:1
.LBB31_163:                             ;   in Loop: Header=BB31_12 Depth=1
	s_or_b64 exec, exec, s[10:11]
	v_add_u32_e32 v1, v96, v113
	v_cmp_le_i32_e32 vcc, s36, v1
	s_or_b64 s[10:11], vcc, s[14:15]
	s_and_saveexec_b64 s[72:73], s[10:11]
	s_xor_b64 s[10:11], exec, s[72:73]
; %bb.164:                              ;   in Loop: Header=BB31_12 Depth=1
	v_add_u32_e32 v1, v231, v246
	ds_write2st64_b32 v1, v45, v45 offset0:33 offset1:34
                                        ; implicit-def: $vgpr1
; %bb.165:                              ;   in Loop: Header=BB31_12 Depth=1
	s_andn2_saveexec_b64 s[10:11], s[10:11]
	s_cbranch_execz .LBB31_167
; %bb.166:                              ;   in Loop: Header=BB31_12 Depth=1
	v_mad_u64_u32 v[2:3], s[72:73], v1, s57, v[112:113]
	v_ashrrev_i32_e32 v3, 31, v2
	v_lshl_add_u64 v[2:3], v[2:3], 3, v[176:177]
	global_load_dwordx2 v[4:5], v[2:3], off
	s_nop 0
	global_load_dwordx2 v[2:3], v[2:3], off offset:512
	s_waitcnt vmcnt(1)
	v_cvt_pk_f16_f32 v1, v4, v5
	s_waitcnt vmcnt(0)
	v_cvt_pk_f16_f32 v2, v2, v3
	v_pk_mul_f16 v1, v1, v249
	v_pk_mul_f16 v2, v2, v249
	ds_write2st64_b32 v222, v1, v2 offset1:1
.LBB31_167:                             ;   in Loop: Header=BB31_12 Depth=1
	s_or_b64 exec, exec, s[10:11]
	v_add_u32_e32 v1, v94, v113
	v_or_b32_e32 v2, v221, v43
	v_cmp_le_i32_e32 vcc, s36, v1
	v_cmp_le_i32_e64 s[10:11], s3, v2
	s_or_b64 s[10:11], vcc, s[10:11]
	s_and_saveexec_b64 s[72:73], s[10:11]
	s_xor_b64 s[10:11], exec, s[72:73]
; %bb.168:                              ;   in Loop: Header=BB31_12 Depth=1
	v_add_u32_e32 v1, v231, v246
	v_add_u32_e32 v1, 64, v1
	ds_write2st64_b32 v1, v45, v45 offset0:41 offset1:42
                                        ; implicit-def: $vgpr1
; %bb.169:                              ;   in Loop: Header=BB31_12 Depth=1
	s_andn2_saveexec_b64 s[10:11], s[10:11]
	s_cbranch_execz .LBB31_171
; %bb.170:                              ;   in Loop: Header=BB31_12 Depth=1
	v_mad_u64_u32 v[2:3], s[72:73], v1, s57, v[118:119]
	v_ashrrev_i32_e32 v3, 31, v2
	v_lshl_add_u64 v[2:3], v[2:3], 3, v[176:177]
	global_load_dwordx2 v[4:5], v[2:3], off
	s_nop 0
	global_load_dwordx2 v[2:3], v[2:3], off offset:512
	s_waitcnt vmcnt(1)
	v_cvt_pk_f16_f32 v1, v4, v5
	s_waitcnt vmcnt(0)
	v_cvt_pk_f16_f32 v2, v2, v3
	v_pk_mul_f16 v1, v1, v249
	v_pk_mul_f16 v2, v2, v249
	ds_write2st64_b32 v240, v1, v2 offset1:1
.LBB31_171:                             ;   in Loop: Header=BB31_12 Depth=1
	s_or_b64 exec, exec, s[10:11]
	v_add_u32_e32 v1, v239, v113
	v_cmp_le_i32_e32 vcc, s36, v1
	s_or_b64 s[10:11], vcc, s[14:15]
	s_and_saveexec_b64 s[14:15], s[10:11]
	s_xor_b64 s[10:11], exec, s[14:15]
; %bb.172:                              ;   in Loop: Header=BB31_12 Depth=1
	v_add_u32_e32 v1, v231, v246
	v_add_u32_e32 v1, 0x80, v1
	ds_write2st64_b32 v1, v45, v45 offset0:49 offset1:50
                                        ; implicit-def: $vgpr1
; %bb.173:                              ;   in Loop: Header=BB31_12 Depth=1
	s_andn2_saveexec_b64 s[10:11], s[10:11]
	s_cbranch_execz .LBB31_175
; %bb.174:                              ;   in Loop: Header=BB31_12 Depth=1
	v_mad_u64_u32 v[2:3], s[14:15], v1, s57, v[112:113]
	v_ashrrev_i32_e32 v3, 31, v2
	v_lshl_add_u64 v[2:3], v[2:3], 3, v[176:177]
	global_load_dwordx2 v[4:5], v[2:3], off
	s_nop 0
	global_load_dwordx2 v[2:3], v[2:3], off offset:512
	s_waitcnt vmcnt(1)
	v_cvt_pk_f16_f32 v1, v4, v5
	s_waitcnt vmcnt(0)
	v_cvt_pk_f16_f32 v2, v2, v3
	v_pk_mul_f16 v1, v1, v249
	v_pk_mul_f16 v2, v2, v249
	ds_write2st64_b32 v92, v1, v2 offset1:1
.LBB31_175:                             ;   in Loop: Header=BB31_12 Depth=1
	s_or_b64 exec, exec, s[10:11]
	v_add_u32_e32 v1, v238, v113
	v_or_b32_e32 v2, v90, v43
	v_cmp_le_i32_e32 vcc, s36, v1
	v_cmp_le_i32_e64 s[10:11], s3, v2
	s_or_b64 s[10:11], vcc, s[10:11]
	s_and_saveexec_b64 s[14:15], s[10:11]
	s_xor_b64 s[10:11], exec, s[14:15]
; %bb.176:                              ;   in Loop: Header=BB31_12 Depth=1
	v_add_u32_e32 v1, v231, v246
	v_add_u32_e32 v1, 0xc0, v1
	ds_write2st64_b32 v1, v45, v45 offset0:57 offset1:58
                                        ; implicit-def: $vgpr1
                                        ; implicit-def: $vgpr176_vgpr177
; %bb.177:                              ;   in Loop: Header=BB31_12 Depth=1
	s_andn2_saveexec_b64 s[10:11], s[10:11]
	s_cbranch_execz .LBB31_179
; %bb.178:                              ;   in Loop: Header=BB31_12 Depth=1
	v_mad_u64_u32 v[2:3], s[14:15], v1, s57, v[120:121]
	v_ashrrev_i32_e32 v3, 31, v2
	v_lshl_add_u64 v[2:3], v[2:3], 3, v[176:177]
	global_load_dwordx2 v[4:5], v[2:3], off
	s_nop 0
	global_load_dwordx2 v[2:3], v[2:3], off offset:512
	s_waitcnt vmcnt(1)
	v_cvt_pk_f16_f32 v1, v4, v5
	s_waitcnt vmcnt(0)
	v_cvt_pk_f16_f32 v2, v2, v3
	v_pk_mul_f16 v1, v1, v249
	v_pk_mul_f16 v2, v2, v249
	ds_write2st64_b32 v237, v1, v2 offset1:1
.LBB31_179:                             ;   in Loop: Header=BB31_12 Depth=1
	s_or_b64 exec, exec, s[10:11]
	s_waitcnt lgkmcnt(0)
	s_barrier
	ds_read2_b64 v[30:33], v101 offset1:4
	ds_read2_b64 v[26:29], v101 offset0:8 offset1:12
	ds_read2_b64 v[22:25], v101 offset0:16 offset1:20
	ds_read2_b64 v[18:21], v101 offset0:24 offset1:28
	ds_read2_b64 v[14:17], v101 offset0:32 offset1:36
	ds_read2_b64 v[10:13], v101 offset0:40 offset1:44
	ds_read2_b64 v[6:9], v101 offset0:48 offset1:52
	ds_read2_b64 v[2:5], v101 offset0:56 offset1:60
	v_cmp_gt_i32_e32 vcc, 2, v180
	s_waitcnt lgkmcnt(0)
	s_barrier
	s_cbranch_vccnz .LBB31_184
; %bb.180:                              ;   in Loop: Header=BB31_12 Depth=1
	v_add_u32_e32 v1, v113, v103
	v_mul_hi_u32 v34, s44, v1
	v_add_u32_e32 v34, v1, v34
	v_lshrrev_b32_e32 v34, s45, v34
	v_mul_lo_u32 v34, v34, s36
	v_sub_u32_e32 v1, v1, v34
	v_and_b32_e32 v34, 64, v248
	v_add_u32_e32 v34, 64, v34
	v_xor_b32_e32 v35, 32, v248
	v_cmp_lt_i32_e32 vcc, v35, v34
	v_accvgpr_read_b32 v36, a80
	v_accvgpr_read_b32 v37, a81
	v_cndmask_b32_e32 v35, v248, v35, vcc
	v_lshlrev_b32_e32 v119, 2, v35
	v_xor_b32_e32 v35, 16, v248
	v_cmp_lt_i32_e32 vcc, v35, v34
	v_add_u32_e32 v225, -1, v180
	v_accvgpr_write_b32 a53, v222
	v_cndmask_b32_e32 v34, v248, v35, vcc
	v_lshlrev_b32_e32 v121, 2, v34
	v_mad_i64_i32 v[34:35], s[10:11], s64, v1, v[170:171]
	v_lshl_add_u64 v[170:171], v[36:37], 0, v[34:35]
	v_accvgpr_read_b32 v36, a82
	v_lshl_add_u64 v[34:35], v[172:173], 0, v[174:175]
	v_accvgpr_read_b32 v37, a83
	;; [unrolled: 2-line block ×3, first 2 shown]
	v_accvgpr_read_b32 v37, a85
	v_lshl_add_u64 v[174:175], v[36:37], 0, v[34:35]
	v_accvgpr_read_b32 v36, a86
	v_accvgpr_read_b32 v37, a87
	v_lshl_add_u64 v[176:177], v[36:37], 0, v[34:35]
	v_accvgpr_read_b32 v36, a88
	;; [unrolled: 3-line block ×7, first 2 shown]
	v_lshl_add_u64 v[34:35], v[166:167], 0, v[168:169]
	v_accvgpr_read_b32 v37, a99
	v_lshl_add_u64 v[166:167], v[36:37], 0, v[34:35]
	v_accvgpr_read_b32 v36, a100
	v_accvgpr_read_b32 v37, a101
	v_lshl_add_u64 v[168:169], v[36:37], 0, v[34:35]
	v_accvgpr_read_b32 v36, a102
	;; [unrolled: 3-line block ×7, first 2 shown]
	v_accvgpr_read_b32 v37, a113
	v_accvgpr_write_b32 a52, v220
	v_accvgpr_write_b32 a51, v219
	;; [unrolled: 1-line block ×3, first 2 shown]
	v_lshl_add_u64 v[198:199], v[36:37], 0, v[34:35]
	v_mov_b32_e32 v37, 0
	v_mov_b32_e32 v35, 0xfeffffff
	v_mov_b32_e32 v34, 0
	v_mov_b32_e32 v44, v225
	v_mov_b32_e32 v217, 0
	v_mov_b32_e32 v36, 0
	v_mov_b32_e32 v86, 0
	v_mov_b32_e32 v108, 0
	v_mov_b32_e32 v39, 0
	v_mov_b32_e32 v235, 0
	v_mov_b32_e32 v229, 0
	v_mov_b32_e32 v125, 0
	v_mov_b32_e32 v124, 0
	v_mov_b32_e32 v131, 0
	v_mov_b32_e32 v130, 0
	v_mov_b32_e32 v133, 0
	v_mov_b32_e32 v132, 0
	v_mov_b32_e32 v95, 0
	v_mov_b32_e32 v91, 0
	v_mov_b32_e32 v135, 0
	v_mov_b32_e32 v134, 0
	v_mov_b32_e32 v127, 0
	v_mov_b32_e32 v126, 0
	v_mov_b32_e32 v128, 0
	v_mov_b32_e32 v84, 0
	v_mov_b32_e32 v87, 0
	v_mov_b32_e32 v1, 0
	v_mov_b32_e32 v89, 0
	v_mov_b32_e32 v47, 0
	v_mov_b32_e32 v93, 0
	v_mov_b32_e32 v85, 0
	v_mov_b32_e32 v109, 0
	v_mov_b32_e32 v97, 0
	v_mov_b32_e32 v123, 0
	v_mov_b32_e32 v122, 0
	s_and_saveexec_b64 s[10:11], s[4:5]
	s_cbranch_execz .LBB31_182
.LBB31_181:                             ;   in Loop: Header=BB31_12 Depth=1
	global_load_dword v100, v[170:171], off
	s_waitcnt vmcnt(0)
	ds_write_b32 v206, v100 offset:33792
.LBB31_182:                             ;   Parent Loop BB31_12 Depth=1
                                        ; =>  This Inner Loop Header: Depth=2
	s_or_b64 exec, exec, s[10:11]
	v_lshl_add_u64 v[136:137], v[166:167], 0, v[80:81]
	global_load_dwordx4 v[136:139], v[136:137], off
	v_lshl_add_u64 v[140:141], v[168:169], 0, v[80:81]
	v_lshl_add_u64 v[142:143], v[188:189], 0, v[80:81]
	;; [unrolled: 1-line block ×7, first 2 shown]
	v_add_u32_e32 v100, 0x4000, v111
	v_lshl_add_u64 v[154:155], v[182:183], 0, v[80:81]
	v_lshl_add_u64 v[214:215], v[184:185], 0, v[80:81]
	;; [unrolled: 1-line block ×3, first 2 shown]
	v_add_u32_e32 v44, -1, v44
	v_lshl_add_u64 v[170:171], v[170:171], 0, s[70:71]
	v_lshl_add_u64 v[182:183], v[182:183], 0, s[66:67]
	;; [unrolled: 1-line block ×12, first 2 shown]
	s_waitcnt vmcnt(0)
	ds_write_b128 v105, v[136:139]
	global_load_dwordx4 v[136:139], v[140:141], off
	s_waitcnt vmcnt(0)
	ds_write_b128 v250, v[136:139]
	global_load_dwordx4 v[136:139], v[142:143], off
	;; [unrolled: 3-line block ×4, first 2 shown]
	v_lshl_add_u64 v[146:147], v[174:175], 0, v[80:81]
	v_lshl_add_u64 v[174:175], v[174:175], 0, s[66:67]
	s_waitcnt vmcnt(0)
	ds_write_b128 v253, v[136:139]
	global_load_dwordx4 v[136:139], v[148:149], off
	v_lshl_add_u64 v[148:149], v[176:177], 0, v[80:81]
	v_lshl_add_u64 v[176:177], v[176:177], 0, s[66:67]
	s_waitcnt vmcnt(0)
	ds_write_b128 v254, v[136:139]
	global_load_dwordx4 v[136:139], v[150:151], off
	;; [unrolled: 5-line block ×3, first 2 shown]
	v_lshl_add_u64 v[152:153], v[180:181], 0, v[80:81]
	v_lshl_add_u64 v[180:181], v[180:181], 0, s[66:67]
	s_waitcnt vmcnt(0)
	ds_write_b128 v247, v[136:139]
	s_waitcnt lgkmcnt(0)
	s_barrier
	ds_read2_b64 v[136:139], v111 offset1:4
	s_waitcnt lgkmcnt(0)
	v_mfma_f32_16x16x16_f16 a[0:3], v[136:137], v[30:31], 0
	v_mfma_f32_16x16x16_f16 a[0:3], v[138:139], v[32:33], a[0:3]
	ds_read2_b64 v[136:139], v111 offset0:8 offset1:12
	s_waitcnt lgkmcnt(0)
	v_mfma_f32_16x16x16_f16 a[0:3], v[136:137], v[26:27], a[0:3]
	v_mfma_f32_16x16x16_f16 a[0:3], v[138:139], v[28:29], a[0:3]
	ds_read2_b64 v[136:139], v111 offset0:16 offset1:20
	;; [unrolled: 4-line block ×8, first 2 shown]
	s_waitcnt lgkmcnt(0)
	v_mfma_f32_16x16x16_f16 a[4:7], v[136:137], v[30:31], 0
	s_nop 4
	v_accvgpr_read_b32 v117, a0
	v_mfma_f32_16x16x16_f16 a[4:7], v[138:139], v[32:33], a[4:7]
	ds_read2_b64 v[136:139], v100 offset0:72 offset1:76
	s_waitcnt lgkmcnt(0)
	v_mfma_f32_16x16x16_f16 a[4:7], v[136:137], v[26:27], a[4:7]
	v_mfma_f32_16x16x16_f16 a[4:7], v[138:139], v[28:29], a[4:7]
	ds_read2_b64 v[136:139], v100 offset0:80 offset1:84
	s_waitcnt lgkmcnt(0)
	v_mfma_f32_16x16x16_f16 a[4:7], v[136:137], v[22:23], a[4:7]
	;; [unrolled: 4-line block ×6, first 2 shown]
	v_mfma_f32_16x16x16_f16 a[4:7], v[138:139], v[8:9], a[4:7]
	ds_read2_b64 v[136:139], v100 offset0:120 offset1:124
	v_add_u32_e32 v100, 0x8400, v200
	s_waitcnt lgkmcnt(0)
	v_mfma_f32_16x16x16_f16 a[4:7], v[136:137], v[2:3], a[4:7]
	s_barrier
	ds_read2_b32 v[136:137], v100 offset1:1
	v_mfma_f32_16x16x16_f16 a[4:7], v[138:139], v[4:5], a[4:7]
	s_waitcnt lgkmcnt(0)
	v_cvt_f32_f16_e32 v100, v136
	v_cvt_f32_f16_sdwa v115, v136 dst_sel:DWORD dst_unused:UNUSED_PAD src0_sel:WORD_1
	v_add_f32_e32 v129, v117, v100
	v_accvgpr_read_b32 v100, a1
	v_add_f32_e32 v138, v100, v115
	v_cvt_f32_f16_e32 v100, v137
	v_cvt_f32_f16_sdwa v115, v137 dst_sel:DWORD dst_unused:UNUSED_PAD src0_sel:WORD_1
	v_accvgpr_read_b32 v117, a2
	v_accvgpr_read_b32 v136, a6
	v_add_f32_e32 v137, v117, v100
	v_accvgpr_read_b32 v100, a3
	v_add_f32_e32 v140, v100, v115
	ds_read_b32 v100, v207 offset:33792
	v_accvgpr_read_b32 v117, a4
	v_add_f32_e32 v139, 0x40051340, v138
	v_add_f32_e32 v142, 0x40051340, v140
	s_waitcnt lgkmcnt(0)
	v_cvt_f32_f16_e32 v115, v100
	v_cvt_f32_f16_sdwa v100, v100 dst_sel:DWORD dst_unused:UNUSED_PAD src0_sel:WORD_1
	v_add_f32_e32 v141, v117, v115
	v_accvgpr_read_b32 v115, a5
	v_add_f32_e32 v100, v115, v100
	ds_read_b32 v115, v208 offset:33792
	s_waitcnt lgkmcnt(0)
	v_cvt_f32_f16_e32 v117, v115
	v_cvt_f32_f16_sdwa v115, v115 dst_sel:DWORD dst_unused:UNUSED_PAD src0_sel:WORD_1
	v_add_f32_e32 v117, v136, v117
	v_accvgpr_read_b32 v136, a7
	v_add_f32_e32 v136, v136, v115
	v_add_f32_e32 v115, 0x40051340, v129
	v_max3_f32 v115, v35, v115, v139
	v_add_f32_e32 v139, 0x40051340, v137
	v_max3_f32 v115, v115, v139, v142
	v_add_f32_e32 v139, 0x40051340, v141
	v_add_f32_e32 v142, 0x40051340, v100
	v_max3_f32 v115, v115, v139, v142
	v_add_f32_e32 v139, 0x40051340, v117
	v_add_f32_e32 v142, 0x40051340, v136
	v_max3_f32 v115, v115, v139, v142
	ds_bpermute_b32 v139, v119, v115
	s_waitcnt lgkmcnt(0)
	v_max_f32_e32 v139, v139, v139
	v_max_f32_e32 v115, v115, v139
	ds_bpermute_b32 v139, v121, v115
	s_waitcnt lgkmcnt(0)
	v_max_f32_e32 v139, v139, v139
	v_max_f32_e32 v115, v115, v139
	v_sub_f32_e32 v129, v129, v115
	v_mul_f32_e32 v139, 0x3fb8aa3b, v129
	v_fma_f32 v142, v129, s47, -v139
	v_rndne_f32_e32 v143, v139
	v_fmac_f32_e32 v142, 0x32a5705f, v129
	v_sub_f32_e32 v139, v139, v143
	v_add_f32_e32 v139, v139, v142
	v_exp_f32_e32 v139, v139
	v_cvt_i32_f32_e32 v142, v143
	v_cmp_ngt_f32_e32 vcc, s65, v129
	v_sub_f32_e32 v138, v138, v115
	v_sub_f32_e32 v137, v137, v115
	v_ldexp_f32 v139, v139, v142
	v_cndmask_b32_e32 v139, 0, v139, vcc
	v_cmp_nlt_f32_e32 vcc, s91, v129
	v_sub_f32_e32 v140, v140, v115
	v_sub_f32_e32 v141, v141, v115
	v_cndmask_b32_e32 v129, v227, v139, vcc
	v_mul_f32_e32 v139, 0x3fb8aa3b, v138
	v_fma_f32 v142, v138, s47, -v139
	v_rndne_f32_e32 v143, v139
	v_fmac_f32_e32 v142, 0x32a5705f, v138
	v_sub_f32_e32 v139, v139, v143
	v_add_f32_e32 v139, v139, v142
	v_exp_f32_e32 v139, v139
	v_cvt_i32_f32_e32 v142, v143
	v_cmp_ngt_f32_e32 vcc, s65, v138
	v_sub_f32_e32 v100, v100, v115
	v_sub_f32_e32 v117, v117, v115
	v_ldexp_f32 v139, v139, v142
	v_cndmask_b32_e32 v139, 0, v139, vcc
	v_cmp_nlt_f32_e32 vcc, s91, v138
	v_sub_f32_e32 v35, v35, v115
	s_nop 0
	v_cndmask_b32_e32 v138, v227, v139, vcc
	v_mul_f32_e32 v139, 0x3fb8aa3b, v137
	v_fma_f32 v143, v137, s47, -v139
	v_rndne_f32_e32 v144, v139
	v_fmac_f32_e32 v143, 0x32a5705f, v137
	v_sub_f32_e32 v139, v139, v144
	v_add_f32_e32 v139, v139, v143
	v_exp_f32_e32 v139, v139
	v_cvt_i32_f32_e32 v143, v144
	v_cmp_ngt_f32_e32 vcc, s65, v137
	v_add_f32_e32 v142, v129, v138
	v_ldexp_f32 v139, v139, v143
	v_cndmask_b32_e32 v139, 0, v139, vcc
	v_cmp_nlt_f32_e32 vcc, s91, v137
	s_nop 1
	v_cndmask_b32_e32 v139, v227, v139, vcc
	v_add_f32_e32 v137, v139, v142
	v_mul_f32_e32 v142, 0x3fb8aa3b, v140
	v_fma_f32 v143, v140, s47, -v142
	v_rndne_f32_e32 v144, v142
	v_fmac_f32_e32 v143, 0x32a5705f, v140
	v_sub_f32_e32 v142, v142, v144
	v_add_f32_e32 v142, v142, v143
	v_exp_f32_e32 v142, v142
	v_cvt_i32_f32_e32 v143, v144
	v_cmp_ngt_f32_e32 vcc, s65, v140
	v_ldexp_f32 v142, v142, v143
	s_nop 0
	v_cndmask_b32_e32 v142, 0, v142, vcc
	v_cmp_nlt_f32_e32 vcc, s91, v140
	s_nop 1
	v_cndmask_b32_e32 v140, v227, v142, vcc
	v_mul_f32_e32 v142, 0x3fb8aa3b, v141
	v_fma_f32 v143, v141, s47, -v142
	v_rndne_f32_e32 v144, v142
	v_fmac_f32_e32 v143, 0x32a5705f, v141
	v_sub_f32_e32 v142, v142, v144
	v_add_f32_e32 v142, v142, v143
	v_exp_f32_e32 v142, v142
	v_cvt_i32_f32_e32 v143, v144
	v_cmp_ngt_f32_e32 vcc, s65, v141
	v_add_f32_e32 v137, v140, v137
	v_ldexp_f32 v142, v142, v143
	v_cndmask_b32_e32 v142, 0, v142, vcc
	v_cmp_nlt_f32_e32 vcc, s91, v141
	s_nop 1
	v_cndmask_b32_e32 v141, v227, v142, vcc
	v_mul_f32_e32 v142, 0x3fb8aa3b, v100
	v_fma_f32 v143, v100, s47, -v142
	v_rndne_f32_e32 v144, v142
	v_fmac_f32_e32 v143, 0x32a5705f, v100
	v_sub_f32_e32 v142, v142, v144
	v_add_f32_e32 v142, v142, v143
	v_exp_f32_e32 v142, v142
	v_cvt_i32_f32_e32 v143, v144
	v_cmp_ngt_f32_e32 vcc, s65, v100
	v_add_f32_e32 v137, v141, v137
	v_ldexp_f32 v142, v142, v143
	v_cndmask_b32_e32 v142, 0, v142, vcc
	v_cmp_nlt_f32_e32 vcc, s91, v100
	s_nop 1
	v_cndmask_b32_e32 v142, v227, v142, vcc
	v_add_f32_e32 v100, v142, v137
	v_mul_f32_e32 v137, 0x3fb8aa3b, v117
	v_fma_f32 v143, v117, s47, -v137
	v_rndne_f32_e32 v144, v137
	v_fmac_f32_e32 v143, 0x32a5705f, v117
	v_sub_f32_e32 v137, v137, v144
	v_add_f32_e32 v137, v137, v143
	v_exp_f32_e32 v137, v137
	v_cvt_i32_f32_e32 v143, v144
	v_cmp_ngt_f32_e32 vcc, s65, v117
	v_ldexp_f32 v137, v137, v143
	s_nop 0
	v_cndmask_b32_e32 v137, 0, v137, vcc
	v_cmp_nlt_f32_e32 vcc, s91, v117
	v_sub_f32_e32 v117, v136, v115
	v_mul_f32_e32 v136, 0x3fb8aa3b, v117
	v_cndmask_b32_e32 v143, v227, v137, vcc
	v_fma_f32 v137, v117, s47, -v136
	v_rndne_f32_e32 v144, v136
	v_fmac_f32_e32 v137, 0x32a5705f, v117
	v_sub_f32_e32 v136, v136, v144
	v_add_f32_e32 v136, v136, v137
	v_exp_f32_e32 v136, v136
	v_cvt_i32_f32_e32 v137, v144
	v_cmp_ngt_f32_e32 vcc, s65, v117
	v_add_f32_e32 v100, v143, v100
	v_ldexp_f32 v136, v136, v137
	v_cndmask_b32_e32 v136, 0, v136, vcc
	v_cmp_nlt_f32_e32 vcc, s91, v117
	s_nop 1
	v_cndmask_b32_e32 v144, v227, v136, vcc
	v_add_f32_e32 v117, v144, v100
	v_mul_f32_e32 v100, 0x3fb8aa3b, v35
	v_fma_f32 v136, v35, s47, -v100
	v_rndne_f32_e32 v137, v100
	v_fmac_f32_e32 v136, 0x32a5705f, v35
	v_sub_f32_e32 v100, v100, v137
	v_add_f32_e32 v100, v100, v136
	v_exp_f32_e32 v100, v100
	v_cvt_i32_f32_e32 v136, v137
	v_cmp_ngt_f32_e32 vcc, s65, v35
	v_ldexp_f32 v100, v100, v136
	s_nop 0
	v_cndmask_b32_e32 v100, 0, v100, vcc
	v_cmp_nlt_f32_e32 vcc, s91, v35
	s_nop 1
	v_cndmask_b32_e32 v100, v227, v100, vcc
	v_cmp_le_f32_e32 vcc, s92, v35
	s_nop 1
	v_cndmask_b32_e32 v35, 0, v100, vcc
	v_fmac_f32_e32 v117, v34, v35
	v_cvt_f16_f32_e32 v34, v35
	v_cmp_ne_u32_e32 vcc, 0, v44
	s_and_b64 vcc, exec, vcc
	v_mul_u32_u24_e32 v34, 0x10001, v34
	v_pk_mul_f16 v145, v123, v34
	v_pk_mul_f16 v100, v122, v34
	;; [unrolled: 1-line block ×32, first 2 shown]
	v_lshl_add_u64 v[34:35], v[172:173], 0, v[80:81]
	global_load_dwordx4 v[34:37], v[34:35], off
	v_cvt_f32_f16_e32 v87, v145
	v_cvt_f32_f16_sdwa v128, v145 dst_sel:DWORD dst_unused:UNUSED_PAD src0_sel:WORD_1
	v_cvt_f32_f16_e32 v145, v100
	v_cvt_f32_f16_sdwa v100, v100 dst_sel:DWORD dst_unused:UNUSED_PAD src0_sel:WORD_1
	v_accvgpr_write_b32 a0, v87
	v_accvgpr_write_b32 a1, v128
	;; [unrolled: 1-line block ×4, first 2 shown]
	v_cvt_f32_f16_e32 v241, v217
	v_cvt_f32_f16_sdwa v217, v217 dst_sel:DWORD dst_unused:UNUSED_PAD src0_sel:WORD_1
	v_lshl_add_u64 v[172:173], v[172:173], 0, s[66:67]
	s_waitcnt vmcnt(0)
	ds_write_b128 v105, v[34:37]
	global_load_dwordx4 v[34:37], v[146:147], off
	s_waitcnt vmcnt(0)
	ds_write_b128 v250, v[34:37]
	global_load_dwordx4 v[34:37], v[148:149], off
	v_cvt_f32_f16_sdwa v148, v132 dst_sel:DWORD dst_unused:UNUSED_PAD src0_sel:WORD_1
	v_cvt_f32_f16_e32 v149, v130
	s_waitcnt vmcnt(0)
	ds_write_b128 v251, v[34:37]
	global_load_dwordx4 v[34:37], v[150:151], off
	v_cvt_f32_f16_sdwa v150, v130 dst_sel:DWORD dst_unused:UNUSED_PAD src0_sel:WORD_1
	v_cvt_f32_f16_e32 v151, v124
	s_waitcnt vmcnt(0)
	ds_write_b128 v252, v[34:37]
	global_load_dwordx4 v[34:37], v[152:153], off
	v_cvt_f32_f16_sdwa v152, v124 dst_sel:DWORD dst_unused:UNUSED_PAD src0_sel:WORD_1
	s_waitcnt vmcnt(0)
	ds_write_b128 v253, v[34:37]
	global_load_dwordx4 v[34:37], v[154:155], off
	v_cvt_f32_f16_e32 v154, v229
	v_cvt_f32_f16_sdwa v155, v229 dst_sel:DWORD dst_unused:UNUSED_PAD src0_sel:WORD_1
	s_waitcnt vmcnt(0)
	ds_write_b128 v254, v[34:37]
	global_load_dwordx4 v[34:37], v[214:215], off
	s_waitcnt vmcnt(0)
	ds_write_b128 v255, v[34:37]
	global_load_dwordx4 v[34:37], v[218:219], off
	s_waitcnt vmcnt(0)
	ds_write_b128 v247, v[34:37]
	s_waitcnt lgkmcnt(0)
	s_barrier
	ds_read_u16 v34, v201 offset:528
	ds_read_u16 v35, v201 offset:1056
	ds_read_u16 v36, v202
	ds_read_u16 v146, v202 offset:32
	v_cvt_pk_f16_f32 v37, v139, v140
	s_waitcnt lgkmcnt(1)
	v_perm_b32 v35, v36, v35, s93
	ds_read_u16 v36, v201
	ds_read_u16 v147, v201 offset:32
	s_waitcnt lgkmcnt(1)
	v_perm_b32 v34, v34, v36, s93
	v_cvt_pk_f16_f32 v36, v129, v138
	ds_read_u16 v128, v201 offset:16896
	ds_read_u16 v138, v201 offset:17424
	;; [unrolled: 1-line block ×4, first 2 shown]
	v_mfma_f32_16x16x16_f16 a[0:3], v[34:35], v[36:37], a[0:3]
	s_waitcnt lgkmcnt(2)
	v_perm_b32 v128, v138, v128, s93
	s_waitcnt lgkmcnt(0)
	v_perm_b32 v129, v139, v129, s93
	v_cvt_f32_f16_e32 v138, v123
	v_cvt_f32_f16_sdwa v123, v123 dst_sel:DWORD dst_unused:UNUSED_PAD src0_sel:WORD_1
	v_cvt_f32_f16_e32 v139, v109
	v_cvt_f32_f16_sdwa v109, v109 dst_sel:DWORD dst_unused:UNUSED_PAD src0_sel:WORD_1
	v_accvgpr_read_b32 v87, a2
	v_accvgpr_read_b32 v100, a3
	v_cvt_f16_f32_e32 v87, v87
	v_cvt_f16_f32_e32 v100, v100
	v_accvgpr_read_b32 v34, a0
	v_accvgpr_read_b32 v35, a1
	v_cvt_f16_f32_e32 v34, v34
	v_cvt_f16_f32_e32 v35, v35
	v_cvt_f32_f16_e32 v87, v87
	v_cvt_f32_f16_e32 v100, v100
	;; [unrolled: 1-line block ×4, first 2 shown]
	v_accvgpr_write_b32 a2, v87
	v_accvgpr_write_b32 a3, v100
	ds_read_u16 v87, v201 offset:560
	ds_read_u16 v100, v201 offset:1088
	v_cvt_pk_f16_f32 v35, v143, v144
	v_cvt_pk_f16_f32 v34, v141, v142
	v_accvgpr_write_b32 a0, v140
	v_accvgpr_write_b32 a1, v145
	v_cvt_f32_f16_e32 v140, v84
	v_cvt_f32_f16_sdwa v84, v84 dst_sel:DWORD dst_unused:UNUSED_PAD src0_sel:WORD_1
	v_mfma_f32_16x16x16_f16 a[0:3], v[128:129], v[34:35], a[0:3]
	s_waitcnt lgkmcnt(0)
	v_perm_b32 v129, v146, v100, s93
	v_perm_b32 v128, v87, v147, s93
	v_cvt_f32_f16_sdwa v142, v126 dst_sel:DWORD dst_unused:UNUSED_PAD src0_sel:WORD_1
	v_cvt_f32_f16_e32 v143, v136
	v_cvt_f32_f16_sdwa v144, v136 dst_sel:DWORD dst_unused:UNUSED_PAD src0_sel:WORD_1
	v_cvt_f32_f16_e32 v145, v134
	;; [unrolled: 2-line block ×3, first 2 shown]
	v_accvgpr_read_b32 v224, a0
	v_accvgpr_read_b32 v223, a1
	v_accvgpr_read_b32 v222, a2
	v_accvgpr_read_b32 v220, a3
	v_accvgpr_write_b32 a0, v138
	v_accvgpr_write_b32 a1, v123
	;; [unrolled: 1-line block ×4, first 2 shown]
	s_nop 1
	v_mfma_f32_16x16x16_f16 a[0:3], v[128:129], v[36:37], a[0:3]
	ds_read_u16 v128, v201 offset:16928
	ds_read_u16 v138, v201 offset:17456
	ds_read_u16 v129, v201 offset:17984
	ds_read_u16 v139, v202 offset:16928
	s_waitcnt lgkmcnt(2)
	v_perm_b32 v128, v138, v128, s93
	v_cvt_f32_f16_e32 v138, v97
	s_nop 0
	v_accvgpr_read_b32 v87, a0
	v_accvgpr_read_b32 v100, a1
	;; [unrolled: 1-line block ×4, first 2 shown]
	v_cvt_f16_f32_e32 v87, v87
	v_cvt_f16_f32_e32 v100, v100
	;; [unrolled: 1-line block ×4, first 2 shown]
	v_cvt_f32_f16_e32 v87, v87
	v_cvt_f32_f16_e32 v100, v100
	;; [unrolled: 1-line block ×4, first 2 shown]
	s_waitcnt lgkmcnt(0)
	v_perm_b32 v129, v139, v129, s93
	v_accvgpr_write_b32 a0, v87
	v_accvgpr_write_b32 a1, v100
	;; [unrolled: 1-line block ×4, first 2 shown]
	ds_read_u16 v87, v201 offset:64
	ds_read_u16 v100, v201 offset:592
	;; [unrolled: 1-line block ×4, first 2 shown]
	v_mfma_f32_16x16x16_f16 a[0:3], v[128:129], v[34:35], a[0:3]
	v_cvt_f32_f16_sdwa v97, v97 dst_sel:DWORD dst_unused:UNUSED_PAD src0_sel:WORD_1
	v_cvt_f32_f16_e32 v139, v85
	v_cvt_f32_f16_sdwa v85, v85 dst_sel:DWORD dst_unused:UNUSED_PAD src0_sel:WORD_1
	s_waitcnt lgkmcnt(0)
	v_perm_b32 v129, v123, v109, s93
	v_perm_b32 v128, v100, v87, s93
	s_nop 1
	v_accvgpr_read_b32 v216, a0
	v_accvgpr_read_b32 v236, a1
	;; [unrolled: 1-line block ×4, first 2 shown]
	v_accvgpr_write_b32 a0, v138
	v_accvgpr_write_b32 a1, v97
	;; [unrolled: 1-line block ×4, first 2 shown]
	v_cvt_f32_f16_e32 v138, v93
	v_cvt_f32_f16_sdwa v93, v93 dst_sel:DWORD dst_unused:UNUSED_PAD src0_sel:WORD_1
	v_mfma_f32_16x16x16_f16 a[0:3], v[128:129], v[36:37], a[0:3]
	ds_read_u16 v109, v201 offset:16960
	ds_read_u16 v123, v201 offset:17488
	;; [unrolled: 1-line block ×4, first 2 shown]
	v_cvt_f32_f16_e32 v139, v89
	v_cvt_f32_f16_sdwa v89, v89 dst_sel:DWORD dst_unused:UNUSED_PAD src0_sel:WORD_1
	s_waitcnt lgkmcnt(0)
	v_perm_b32 v129, v129, v128, s93
	v_accvgpr_read_b32 v87, a1
	v_accvgpr_read_b32 v100, a3
	v_cvt_f16_f32_e32 v87, v87
	v_cvt_f16_f32_e32 v100, v100
	v_accvgpr_read_b32 v85, a0
	v_accvgpr_read_b32 v97, a2
	v_cvt_f16_f32_e32 v85, v85
	v_cvt_f16_f32_e32 v97, v97
	v_cvt_f32_f16_e32 v87, v87
	v_cvt_f32_f16_e32 v100, v100
	;; [unrolled: 1-line block ×4, first 2 shown]
	v_perm_b32 v128, v123, v109, s93
	v_accvgpr_write_b32 a1, v87
	v_accvgpr_write_b32 a3, v100
	ds_read_u16 v87, v201 offset:96
	ds_read_u16 v100, v201 offset:624
	;; [unrolled: 1-line block ×4, first 2 shown]
	v_accvgpr_write_b32 a0, v85
	v_accvgpr_write_b32 a2, v97
	s_nop 1
	v_mfma_f32_16x16x16_f16 a[0:3], v[128:129], v[34:35], a[0:3]
	s_waitcnt lgkmcnt(0)
	v_perm_b32 v129, v123, v109, s93
	v_perm_b32 v128, v100, v87, s93
	s_nop 4
	v_accvgpr_read_b32 v228, a0
	v_accvgpr_read_b32 v215, a1
	;; [unrolled: 1-line block ×4, first 2 shown]
	v_accvgpr_write_b32 a0, v138
	v_accvgpr_write_b32 a1, v93
	;; [unrolled: 1-line block ×4, first 2 shown]
	v_cvt_f32_f16_e32 v138, v47
	v_cvt_f32_f16_sdwa v47, v47 dst_sel:DWORD dst_unused:UNUSED_PAD src0_sel:WORD_1
	v_mfma_f32_16x16x16_f16 a[0:3], v[128:129], v[36:37], a[0:3]
	ds_read_u16 v109, v201 offset:16992
	ds_read_u16 v123, v201 offset:17520
	ds_read_u16 v128, v201 offset:18048
	ds_read_u16 v129, v202 offset:16992
	v_cvt_f32_f16_e32 v139, v1
	v_cvt_f32_f16_sdwa v1, v1 dst_sel:DWORD dst_unused:UNUSED_PAD src0_sel:WORD_1
	v_cvt_pk_f16_f32 v85, v97, v85
	v_cvt_pk_f16_f32 v97, v219, v218
	v_accvgpr_read_b32 v87, a0
	v_accvgpr_read_b32 v100, a3
	v_cvt_f16_f32_e32 v87, v87
	v_cvt_f16_f32_e32 v100, v100
	v_accvgpr_read_b32 v89, a1
	v_accvgpr_read_b32 v93, a2
	v_cvt_f16_f32_e32 v89, v89
	v_cvt_f16_f32_e32 v93, v93
	v_cvt_f32_f16_e32 v87, v87
	v_cvt_f32_f16_e32 v100, v100
	;; [unrolled: 1-line block ×4, first 2 shown]
	s_waitcnt lgkmcnt(0)
	v_perm_b32 v129, v129, v128, s93
	v_perm_b32 v128, v123, v109, s93
	v_accvgpr_write_b32 a0, v87
	v_accvgpr_write_b32 a3, v100
	ds_read_u16 v87, v201 offset:128
	ds_read_u16 v100, v201 offset:656
	;; [unrolled: 1-line block ×4, first 2 shown]
	v_accvgpr_write_b32 a1, v89
	v_accvgpr_write_b32 a2, v93
	s_nop 1
	v_mfma_f32_16x16x16_f16 a[0:3], v[128:129], v[34:35], a[0:3]
	s_waitcnt lgkmcnt(0)
	v_perm_b32 v129, v123, v109, s93
	v_perm_b32 v128, v100, v87, s93
	s_nop 4
	v_accvgpr_read_b32 v89, a0
	v_accvgpr_read_b32 v93, a1
	;; [unrolled: 1-line block ×4, first 2 shown]
	v_accvgpr_write_b32 a0, v138
	v_accvgpr_write_b32 a1, v47
	;; [unrolled: 1-line block ×4, first 2 shown]
	v_cvt_f32_f16_e32 v138, v122
	v_cvt_f32_f16_sdwa v139, v122 dst_sel:DWORD dst_unused:UNUSED_PAD src0_sel:WORD_1
	v_mfma_f32_16x16x16_f16 a[0:3], v[128:129], v[36:37], a[0:3]
	ds_read_u16 v109, v201 offset:17024
	ds_read_u16 v123, v201 offset:17552
	ds_read_u16 v128, v201 offset:18080
	ds_read_u16 v129, v202 offset:17024
	v_cvt_pk_f16_f32 v89, v89, v93
	v_cvt_pk_f16_f32 v93, v228, v215
	s_waitcnt lgkmcnt(0)
	v_perm_b32 v129, v129, v128, s93
	v_accvgpr_read_b32 v1, a0
	v_accvgpr_read_b32 v47, a1
	;; [unrolled: 1-line block ×4, first 2 shown]
	v_cvt_f16_f32_e32 v1, v1
	v_cvt_f16_f32_e32 v47, v47
	;; [unrolled: 1-line block ×4, first 2 shown]
	v_cvt_f32_f16_e32 v1, v1
	v_cvt_f32_f16_e32 v47, v47
	;; [unrolled: 1-line block ×4, first 2 shown]
	v_perm_b32 v128, v123, v109, s93
	v_accvgpr_write_b32 a0, v1
	v_accvgpr_write_b32 a1, v47
	;; [unrolled: 1-line block ×4, first 2 shown]
	s_nop 1
	v_mfma_f32_16x16x16_f16 a[0:3], v[128:129], v[34:35], a[0:3]
	ds_read_u16 v100, v201 offset:160
	ds_read_u16 v128, v201 offset:688
	;; [unrolled: 1-line block ×4, first 2 shown]
	s_waitcnt lgkmcnt(2)
	v_perm_b32 v122, v128, v100, s93
	s_waitcnt lgkmcnt(0)
	v_perm_b32 v123, v129, v123, s93
	v_accvgpr_read_b32 v109, a0
	v_accvgpr_read_b32 v87, a1
	;; [unrolled: 1-line block ×4, first 2 shown]
	v_accvgpr_write_b32 a0, v138
	v_accvgpr_write_b32 a1, v139
	;; [unrolled: 1-line block ×4, first 2 shown]
	ds_read_u16 v128, v201 offset:17056
	ds_read_u16 v129, v201 offset:17584
	ds_read_u16 v138, v201 offset:18112
	ds_read_u16 v139, v202 offset:17056
	v_mfma_f32_16x16x16_f16 a[0:3], v[122:123], v[36:37], a[0:3]
	v_cvt_pk_f16_f32 v87, v109, v87
	v_cvt_pk_f16_f32 v1, v1, v47
	;; [unrolled: 1-line block ×4, first 2 shown]
	s_nop 3
	v_accvgpr_read_b32 v100, a1
	v_cvt_f16_f32_e32 v100, v100
	v_accvgpr_read_b32 v84, a0
	v_accvgpr_read_b32 v122, a2
	;; [unrolled: 1-line block ×3, first 2 shown]
	v_cvt_f16_f32_e32 v84, v84
	v_cvt_f16_f32_e32 v122, v122
	;; [unrolled: 1-line block ×3, first 2 shown]
	v_cvt_f32_f16_e32 v100, v100
	v_cvt_f32_f16_e32 v84, v84
	;; [unrolled: 1-line block ×4, first 2 shown]
	s_waitcnt lgkmcnt(0)
	v_perm_b32 v123, v139, v138, s93
	v_perm_b32 v122, v129, v128, s93
	v_accvgpr_write_b32 a1, v100
	ds_read_u16 v100, v201 offset:192
	ds_read_u16 v128, v201 offset:720
	;; [unrolled: 1-line block ×4, first 2 shown]
	v_accvgpr_write_b32 a0, v84
	v_accvgpr_write_b32 a2, v140
	;; [unrolled: 1-line block ×3, first 2 shown]
	v_cvt_f32_f16_e32 v139, v127
	v_cvt_f32_f16_sdwa v140, v127 dst_sel:DWORD dst_unused:UNUSED_PAD src0_sel:WORD_1
	v_mfma_f32_16x16x16_f16 a[0:3], v[122:123], v[34:35], a[0:3]
	v_cvt_f32_f16_e32 v141, v126
	s_waitcnt lgkmcnt(0)
	v_perm_b32 v127, v138, v129, s93
	v_perm_b32 v126, v128, v100, s93
	s_nop 3
	v_accvgpr_read_b32 v84, a0
	v_accvgpr_read_b32 v213, a1
	v_accvgpr_read_b32 v122, a2
	v_accvgpr_read_b32 v123, a3
	v_accvgpr_write_b32 a0, v139
	v_accvgpr_write_b32 a1, v140
	;; [unrolled: 1-line block ×4, first 2 shown]
	ds_read_u16 v129, v201 offset:17088
	ds_read_u16 v138, v201 offset:17616
	;; [unrolled: 1-line block ×4, first 2 shown]
	v_mfma_f32_16x16x16_f16 a[0:3], v[126:127], v[36:37], a[0:3]
	s_nop 7
	v_accvgpr_read_b32 v100, a0
	v_cvt_f16_f32_e32 v100, v100
	v_accvgpr_read_b32 v126, a1
	v_accvgpr_read_b32 v127, a2
	;; [unrolled: 1-line block ×3, first 2 shown]
	v_cvt_f16_f32_e32 v126, v126
	v_cvt_f16_f32_e32 v127, v127
	;; [unrolled: 1-line block ×3, first 2 shown]
	v_cvt_f32_f16_e32 v100, v100
	v_cvt_f32_f16_e32 v141, v126
	;; [unrolled: 1-line block ×4, first 2 shown]
	s_waitcnt lgkmcnt(0)
	v_perm_b32 v127, v140, v139, s93
	v_perm_b32 v126, v138, v129, s93
	v_accvgpr_write_b32 a0, v100
	ds_read_u16 v100, v201 offset:224
	ds_read_u16 v138, v201 offset:752
	;; [unrolled: 1-line block ×4, first 2 shown]
	v_accvgpr_write_b32 a1, v141
	v_accvgpr_write_b32 a2, v142
	;; [unrolled: 1-line block ×3, first 2 shown]
	v_cvt_f32_f16_e32 v141, v137
	v_cvt_f32_f16_sdwa v142, v137 dst_sel:DWORD dst_unused:UNUSED_PAD src0_sel:WORD_1
	v_mfma_f32_16x16x16_f16 a[0:3], v[126:127], v[34:35], a[0:3]
	s_waitcnt lgkmcnt(0)
	v_perm_b32 v137, v140, v139, s93
	v_perm_b32 v136, v138, v100, s93
	s_nop 4
	v_accvgpr_read_b32 v126, a0
	v_accvgpr_read_b32 v127, a1
	;; [unrolled: 1-line block ×4, first 2 shown]
	v_accvgpr_write_b32 a0, v141
	v_accvgpr_write_b32 a1, v142
	v_accvgpr_write_b32 a2, v143
	v_accvgpr_write_b32 a3, v144
	ds_read_u16 v139, v201 offset:17120
	ds_read_u16 v141, v201 offset:17648
	;; [unrolled: 1-line block ×4, first 2 shown]
	v_mfma_f32_16x16x16_f16 a[0:3], v[136:137], v[36:37], a[0:3]
	v_cvt_pk_f16_f32 v127, v126, v127
	v_cvt_pk_f16_f32 v126, v128, v129
	;; [unrolled: 1-line block ×6, first 2 shown]
	s_nop 1
	v_accvgpr_read_b32 v100, a0
	v_cvt_f16_f32_e32 v136, v100
	v_accvgpr_read_b32 v100, a1
	v_cvt_f16_f32_e32 v137, v100
	;; [unrolled: 2-line block ×4, first 2 shown]
	v_cvt_f32_f16_e32 v100, v136
	v_cvt_f32_f16_e32 v144, v137
	v_cvt_f32_f16_e32 v138, v138
	v_cvt_f32_f16_e32 v140, v140
	s_waitcnt lgkmcnt(0)
	v_perm_b32 v137, v143, v142, s93
	v_perm_b32 v136, v141, v139, s93
	v_accvgpr_write_b32 a0, v100
	v_accvgpr_write_b32 a3, v140
	ds_read_u16 v100, v201 offset:256
	ds_read_u16 v140, v201 offset:784
	ds_read_u16 v141, v201 offset:1312
	ds_read_u16 v142, v202 offset:256
	v_accvgpr_write_b32 a1, v144
	v_accvgpr_write_b32 a2, v138
	v_cvt_f32_f16_e32 v143, v135
	v_cvt_f32_f16_sdwa v144, v135 dst_sel:DWORD dst_unused:UNUSED_PAD src0_sel:WORD_1
	v_mfma_f32_16x16x16_f16 a[0:3], v[136:137], v[34:35], a[0:3]
	s_waitcnt lgkmcnt(0)
	v_perm_b32 v135, v142, v141, s93
	v_perm_b32 v134, v140, v100, s93
	s_nop 4
	v_accvgpr_read_b32 v136, a0
	v_accvgpr_read_b32 v137, a1
	;; [unrolled: 1-line block ×4, first 2 shown]
	v_accvgpr_write_b32 a0, v143
	v_accvgpr_write_b32 a1, v144
	;; [unrolled: 1-line block ×4, first 2 shown]
	ds_read_u16 v141, v201 offset:17152
	ds_read_u16 v142, v201 offset:17680
	;; [unrolled: 1-line block ×4, first 2 shown]
	v_mfma_f32_16x16x16_f16 a[0:3], v[134:135], v[36:37], a[0:3]
	s_nop 7
	v_accvgpr_read_b32 v100, a0
	v_cvt_f16_f32_e32 v100, v100
	v_accvgpr_read_b32 v134, a1
	v_accvgpr_read_b32 v135, a2
	;; [unrolled: 1-line block ×3, first 2 shown]
	v_cvt_f16_f32_e32 v134, v134
	v_cvt_f16_f32_e32 v135, v135
	;; [unrolled: 1-line block ×3, first 2 shown]
	v_cvt_f32_f16_e32 v100, v100
	v_cvt_f32_f16_e32 v145, v134
	;; [unrolled: 1-line block ×4, first 2 shown]
	s_waitcnt lgkmcnt(0)
	v_perm_b32 v135, v144, v143, s93
	v_perm_b32 v134, v142, v141, s93
	v_accvgpr_write_b32 a0, v100
	ds_read_u16 v100, v201 offset:288
	ds_read_u16 v142, v201 offset:816
	;; [unrolled: 1-line block ×4, first 2 shown]
	v_accvgpr_write_b32 a1, v145
	v_accvgpr_write_b32 a2, v146
	;; [unrolled: 1-line block ×3, first 2 shown]
	v_cvt_f32_f16_e32 v145, v133
	v_cvt_f32_f16_sdwa v146, v133 dst_sel:DWORD dst_unused:UNUSED_PAD src0_sel:WORD_1
	v_mfma_f32_16x16x16_f16 a[0:3], v[134:135], v[34:35], a[0:3]
	s_waitcnt lgkmcnt(0)
	v_perm_b32 v133, v144, v143, s93
	v_perm_b32 v132, v142, v100, s93
	s_nop 4
	v_accvgpr_read_b32 v134, a0
	v_accvgpr_read_b32 v135, a1
	;; [unrolled: 1-line block ×4, first 2 shown]
	v_accvgpr_write_b32 a0, v145
	v_accvgpr_write_b32 a1, v146
	;; [unrolled: 1-line block ×4, first 2 shown]
	ds_read_u16 v143, v201 offset:17184
	ds_read_u16 v144, v201 offset:17712
	;; [unrolled: 1-line block ×4, first 2 shown]
	v_mfma_f32_16x16x16_f16 a[0:3], v[132:133], v[36:37], a[0:3]
	s_nop 7
	v_accvgpr_read_b32 v100, a0
	v_cvt_f16_f32_e32 v100, v100
	v_accvgpr_read_b32 v132, a1
	v_accvgpr_read_b32 v133, a2
	;; [unrolled: 1-line block ×3, first 2 shown]
	v_cvt_f16_f32_e32 v132, v132
	v_cvt_f16_f32_e32 v133, v133
	;; [unrolled: 1-line block ×3, first 2 shown]
	v_cvt_f32_f16_e32 v100, v100
	v_cvt_f32_f16_e32 v147, v132
	;; [unrolled: 1-line block ×4, first 2 shown]
	s_waitcnt lgkmcnt(0)
	v_perm_b32 v133, v146, v145, s93
	v_perm_b32 v132, v144, v143, s93
	v_accvgpr_write_b32 a0, v100
	ds_read_u16 v100, v201 offset:320
	ds_read_u16 v144, v201 offset:848
	;; [unrolled: 1-line block ×4, first 2 shown]
	v_accvgpr_write_b32 a1, v147
	v_accvgpr_write_b32 a2, v148
	;; [unrolled: 1-line block ×3, first 2 shown]
	v_cvt_f32_f16_e32 v147, v131
	v_cvt_f32_f16_sdwa v148, v131 dst_sel:DWORD dst_unused:UNUSED_PAD src0_sel:WORD_1
	v_mfma_f32_16x16x16_f16 a[0:3], v[132:133], v[34:35], a[0:3]
	s_waitcnt lgkmcnt(0)
	v_perm_b32 v131, v146, v145, s93
	v_perm_b32 v130, v144, v100, s93
	s_nop 4
	v_accvgpr_read_b32 v132, a0
	v_accvgpr_read_b32 v133, a1
	;; [unrolled: 1-line block ×4, first 2 shown]
	v_accvgpr_write_b32 a0, v147
	v_accvgpr_write_b32 a1, v148
	;; [unrolled: 1-line block ×4, first 2 shown]
	ds_read_u16 v145, v201 offset:17216
	ds_read_u16 v146, v201 offset:17744
	ds_read_u16 v147, v201 offset:18272
	ds_read_u16 v148, v202 offset:17216
	v_mfma_f32_16x16x16_f16 a[0:3], v[130:131], v[36:37], a[0:3]
	v_cvt_pk_f16_f32 v133, v132, v133
	v_cvt_pk_f16_f32 v132, v142, v143
	s_nop 5
	v_accvgpr_read_b32 v100, a0
	v_cvt_f16_f32_e32 v100, v100
	v_accvgpr_read_b32 v130, a1
	v_accvgpr_read_b32 v131, a2
	;; [unrolled: 1-line block ×3, first 2 shown]
	v_cvt_f16_f32_e32 v130, v130
	v_cvt_f16_f32_e32 v131, v131
	v_cvt_f16_f32_e32 v144, v144
	v_cvt_f32_f16_e32 v100, v100
	v_cvt_f32_f16_e32 v149, v130
	;; [unrolled: 1-line block ×4, first 2 shown]
	s_waitcnt lgkmcnt(0)
	v_perm_b32 v131, v148, v147, s93
	v_perm_b32 v130, v146, v145, s93
	v_accvgpr_write_b32 a0, v100
	ds_read_u16 v100, v201 offset:352
	ds_read_u16 v146, v201 offset:880
	;; [unrolled: 1-line block ×4, first 2 shown]
	v_accvgpr_write_b32 a1, v149
	v_accvgpr_write_b32 a2, v150
	;; [unrolled: 1-line block ×3, first 2 shown]
	v_cvt_f32_f16_e32 v149, v125
	v_cvt_f32_f16_sdwa v150, v125 dst_sel:DWORD dst_unused:UNUSED_PAD src0_sel:WORD_1
	v_mfma_f32_16x16x16_f16 a[0:3], v[130:131], v[34:35], a[0:3]
	s_waitcnt lgkmcnt(0)
	v_perm_b32 v125, v148, v147, s93
	v_perm_b32 v124, v146, v100, s93
	s_nop 4
	v_accvgpr_read_b32 v130, a0
	v_accvgpr_read_b32 v131, a1
	;; [unrolled: 1-line block ×4, first 2 shown]
	v_accvgpr_write_b32 a0, v149
	v_accvgpr_write_b32 a1, v150
	;; [unrolled: 1-line block ×4, first 2 shown]
	ds_read_u16 v147, v201 offset:17248
	ds_read_u16 v148, v201 offset:17776
	;; [unrolled: 1-line block ×4, first 2 shown]
	v_mfma_f32_16x16x16_f16 a[0:3], v[124:125], v[36:37], a[0:3]
	v_cvt_pk_f16_f32 v131, v130, v131
	v_cvt_pk_f16_f32 v130, v144, v145
	s_nop 5
	v_accvgpr_read_b32 v100, a0
	v_cvt_f16_f32_e32 v100, v100
	v_accvgpr_read_b32 v124, a1
	v_accvgpr_read_b32 v125, a2
	v_accvgpr_read_b32 v146, a3
	v_cvt_f16_f32_e32 v124, v124
	v_cvt_f16_f32_e32 v125, v125
	;; [unrolled: 1-line block ×3, first 2 shown]
	v_cvt_f32_f16_e32 v100, v100
	v_cvt_f32_f16_e32 v151, v124
	;; [unrolled: 1-line block ×4, first 2 shown]
	s_waitcnt lgkmcnt(0)
	v_perm_b32 v125, v150, v149, s93
	v_perm_b32 v124, v148, v147, s93
	v_accvgpr_write_b32 a0, v100
	ds_read_u16 v100, v201 offset:384
	ds_read_u16 v148, v201 offset:912
	;; [unrolled: 1-line block ×4, first 2 shown]
	v_accvgpr_write_b32 a1, v151
	v_accvgpr_write_b32 a2, v152
	;; [unrolled: 1-line block ×3, first 2 shown]
	v_cvt_f32_f16_e32 v151, v95
	v_cvt_f32_f16_sdwa v95, v95 dst_sel:DWORD dst_unused:UNUSED_PAD src0_sel:WORD_1
	v_mfma_f32_16x16x16_f16 a[0:3], v[124:125], v[34:35], a[0:3]
	v_cvt_f32_f16_e32 v152, v91
	v_cvt_f32_f16_sdwa v91, v91 dst_sel:DWORD dst_unused:UNUSED_PAD src0_sel:WORD_1
	s_waitcnt lgkmcnt(0)
	v_perm_b32 v149, v150, v149, s93
	v_perm_b32 v148, v148, v100, s93
	s_nop 2
	v_accvgpr_read_b32 v124, a0
	v_accvgpr_read_b32 v125, a1
	;; [unrolled: 1-line block ×4, first 2 shown]
	v_accvgpr_write_b32 a0, v151
	v_accvgpr_write_b32 a1, v95
	v_accvgpr_write_b32 a2, v152
	v_accvgpr_write_b32 a3, v91
	v_cvt_pk_f16_f32 v125, v124, v125
	v_cvt_pk_f16_f32 v124, v146, v147
	v_mfma_f32_16x16x16_f16 a[0:3], v[148:149], v[36:37], a[0:3]
	ds_read_u16 v150, v201 offset:17280
	ds_read_u16 v151, v201 offset:17808
	;; [unrolled: 1-line block ×4, first 2 shown]
	s_waitcnt lgkmcnt(0)
	v_perm_b32 v149, v152, v149, s93
	s_nop 1
	v_accvgpr_read_b32 v100, a2
	v_cvt_f16_f32_e32 v100, v100
	v_accvgpr_read_b32 v91, a0
	v_accvgpr_read_b32 v95, a1
	;; [unrolled: 1-line block ×3, first 2 shown]
	v_cvt_f16_f32_e32 v91, v91
	v_cvt_f16_f32_e32 v95, v95
	v_cvt_f16_f32_e32 v148, v148
	v_cvt_f32_f16_e32 v100, v100
	v_cvt_f32_f16_e32 v91, v91
	;; [unrolled: 1-line block ×4, first 2 shown]
	v_perm_b32 v148, v151, v150, s93
	v_accvgpr_write_b32 a2, v100
	ds_read_u16 v100, v201 offset:416
	ds_read_u16 v150, v201 offset:944
	ds_read_u16 v151, v201 offset:1472
	ds_read_u16 v152, v202 offset:416
	v_accvgpr_write_b32 a0, v91
	v_accvgpr_write_b32 a1, v95
	;; [unrolled: 1-line block ×3, first 2 shown]
	v_cvt_f32_f16_e32 v153, v108
	v_cvt_f32_f16_sdwa v108, v108 dst_sel:DWORD dst_unused:UNUSED_PAD src0_sel:WORD_1
	v_mfma_f32_16x16x16_f16 a[0:3], v[148:149], v[34:35], a[0:3]
	s_waitcnt lgkmcnt(0)
	v_perm_b32 v151, v152, v151, s93
	v_perm_b32 v150, v150, v100, s93
	s_nop 4
	v_accvgpr_read_b32 v91, a0
	v_accvgpr_read_b32 v95, a1
	;; [unrolled: 1-line block ×4, first 2 shown]
	v_accvgpr_write_b32 a0, v153
	v_accvgpr_write_b32 a1, v108
	;; [unrolled: 1-line block ×4, first 2 shown]
	ds_read_u16 v152, v201 offset:17312
	ds_read_u16 v153, v201 offset:17840
	;; [unrolled: 1-line block ×4, first 2 shown]
	v_mfma_f32_16x16x16_f16 a[0:3], v[150:151], v[36:37], a[0:3]
	s_nop 7
	v_accvgpr_read_b32 v100, a0
	v_cvt_f16_f32_e32 v100, v100
	v_accvgpr_read_b32 v108, a1
	v_accvgpr_read_b32 v150, a2
	;; [unrolled: 1-line block ×3, first 2 shown]
	v_cvt_f16_f32_e32 v108, v108
	v_cvt_f16_f32_e32 v150, v150
	;; [unrolled: 1-line block ×3, first 2 shown]
	v_cvt_f32_f16_e32 v100, v100
	v_cvt_f32_f16_e32 v108, v108
	;; [unrolled: 1-line block ×4, first 2 shown]
	s_waitcnt lgkmcnt(0)
	v_perm_b32 v151, v155, v154, s93
	v_perm_b32 v150, v153, v152, s93
	v_accvgpr_write_b32 a0, v100
	ds_read_u16 v100, v201 offset:448
	ds_read_u16 v152, v201 offset:976
	;; [unrolled: 1-line block ×4, first 2 shown]
	v_accvgpr_write_b32 a1, v108
	v_accvgpr_write_b32 a2, v229
	;; [unrolled: 1-line block ×3, first 2 shown]
	v_cvt_f32_f16_e32 v155, v39
	v_cvt_f32_f16_sdwa v39, v39 dst_sel:DWORD dst_unused:UNUSED_PAD src0_sel:WORD_1
	v_mfma_f32_16x16x16_f16 a[0:3], v[150:151], v[34:35], a[0:3]
	v_cvt_f32_f16_e32 v244, v86
	v_cvt_f32_f16_sdwa v86, v86 dst_sel:DWORD dst_unused:UNUSED_PAD src0_sel:WORD_1
	s_waitcnt lgkmcnt(0)
	v_perm_b32 v153, v154, v153, s93
	v_perm_b32 v152, v152, v100, s93
	s_nop 2
	v_accvgpr_read_b32 v108, a0
	v_accvgpr_read_b32 v229, a1
	;; [unrolled: 1-line block ×4, first 2 shown]
	v_accvgpr_write_b32 a0, v155
	v_accvgpr_write_b32 a1, v39
	;; [unrolled: 1-line block ×4, first 2 shown]
	v_cvt_pk_f16_f32 v108, v108, v229
	v_cvt_pk_f16_f32 v229, v148, v149
	v_mfma_f32_16x16x16_f16 a[0:3], v[152:153], v[36:37], a[0:3]
	ds_read_u16 v154, v201 offset:17344
	ds_read_u16 v155, v201 offset:17872
	;; [unrolled: 1-line block ×4, first 2 shown]
	s_waitcnt lgkmcnt(0)
	v_perm_b32 v153, v244, v153, s93
	s_nop 1
	v_accvgpr_read_b32 v100, a2
	v_accvgpr_read_b32 v152, a3
	v_cvt_f16_f32_e32 v100, v100
	v_cvt_f16_f32_e32 v152, v152
	v_accvgpr_read_b32 v39, a0
	v_accvgpr_read_b32 v86, a1
	v_cvt_f16_f32_e32 v39, v39
	v_cvt_f16_f32_e32 v86, v86
	v_cvt_f32_f16_e32 v100, v100
	v_cvt_f32_f16_e32 v242, v152
	;; [unrolled: 1-line block ×4, first 2 shown]
	v_perm_b32 v152, v155, v154, s93
	v_accvgpr_write_b32 a2, v100
	v_accvgpr_write_b32 a3, v242
	ds_read_u16 v100, v201 offset:480
	ds_read_u16 v154, v201 offset:1008
	;; [unrolled: 1-line block ×4, first 2 shown]
	v_accvgpr_write_b32 a0, v39
	v_accvgpr_write_b32 a1, v86
	v_cvt_f32_f16_e32 v244, v235
	v_cvt_f32_f16_sdwa v235, v235 dst_sel:DWORD dst_unused:UNUSED_PAD src0_sel:WORD_1
	v_mfma_f32_16x16x16_f16 a[0:3], v[152:153], v[34:35], a[0:3]
	s_waitcnt lgkmcnt(0)
	v_perm_b32 v155, v242, v155, s93
	v_perm_b32 v154, v154, v100, s93
	s_nop 4
	v_accvgpr_read_b32 v39, a0
	v_accvgpr_read_b32 v86, a1
	;; [unrolled: 1-line block ×4, first 2 shown]
	v_accvgpr_write_b32 a0, v244
	v_accvgpr_write_b32 a1, v235
	v_accvgpr_write_b32 a2, v241
	v_accvgpr_write_b32 a3, v217
	s_nop 1
	v_mfma_f32_16x16x16_f16 a[0:3], v[154:155], v[36:37], a[0:3]
	s_nop 7
	v_accvgpr_read_b32 v100, a2
	v_cvt_f16_f32_e32 v217, v100
	v_accvgpr_read_b32 v100, a3
	v_accvgpr_read_b32 v36, a0
	;; [unrolled: 1-line block ×3, first 2 shown]
	v_cvt_f16_f32_e32 v154, v100
	ds_read_u16 v235, v201 offset:17376
	ds_read_u16 v155, v201 offset:17904
	;; [unrolled: 1-line block ×4, first 2 shown]
	v_cvt_f16_f32_e32 v36, v36
	v_cvt_f16_f32_e32 v37, v37
	v_cvt_f32_f16_e32 v217, v217
	v_cvt_f32_f16_e32 v154, v154
	;; [unrolled: 1-line block ×4, first 2 shown]
	s_waitcnt lgkmcnt(0)
	v_perm_b32 v37, v100, v244, s93
	v_perm_b32 v36, v155, v235, s93
	v_accvgpr_write_b32 a0, v241
	v_accvgpr_write_b32 a1, v242
	;; [unrolled: 1-line block ×4, first 2 shown]
	v_cvt_pk_f16_f32 v235, v91, v95
	v_cvt_pk_f16_f32 v95, v134, v135
	v_mfma_f32_16x16x16_f16 a[0:3], v[36:37], v[34:35], a[0:3]
	v_cvt_pk_f16_f32 v91, v140, v141
	v_cvt_pk_f16_f32 v135, v136, v137
	v_cvt_pk_f16_f32 v134, v138, v139
	s_barrier
	s_nop 3
	v_accvgpr_read_b32 v34, a0
	v_accvgpr_read_b32 v35, a1
	;; [unrolled: 1-line block ×4, first 2 shown]
	v_cvt_pk_f16_f32 v37, v34, v35
	v_cvt_pk_f16_f32 v217, v36, v100
	;; [unrolled: 1-line block ×5, first 2 shown]
	s_cbranch_vccz .LBB31_185
; %bb.183:                              ;   in Loop: Header=BB31_182 Depth=2
	v_mov_b32_e32 v34, v117
	v_mov_b32_e32 v35, v115
	s_and_saveexec_b64 s[10:11], s[4:5]
	s_cbranch_execnz .LBB31_181
	s_branch .LBB31_182
.LBB31_184:                             ;   in Loop: Header=BB31_12 Depth=1
	v_mov_b32_e32 v115, 0xfeffffff
	v_mov_b32_e32 v117, 0
	;; [unrolled: 1-line block ×3, first 2 shown]
	v_mov_b64_e32 v[34:35], 0
	v_mov_b32_e32 v123, 0
	v_mov_b32_e32 v97, 0
	;; [unrolled: 1-line block ×31, first 2 shown]
	s_and_saveexec_b64 s[10:11], s[4:5]
	s_cbranch_execnz .LBB31_186
	s_branch .LBB31_187
.LBB31_185:                             ;   in Loop: Header=BB31_12 Depth=1
	v_lshlrev_b32_e32 v44, 6, v225
	v_mov_b64_e32 v[34:35], v[44:45]
	v_accvgpr_read_b32 v218, a50
	v_accvgpr_read_b32 v219, a51
	;; [unrolled: 1-line block ×4, first 2 shown]
	s_and_saveexec_b64 s[10:11], s[4:5]
	s_cbranch_execz .LBB31_187
.LBB31_186:                             ;   in Loop: Header=BB31_12 Depth=1
	v_lshlrev_b64 v[136:137], 1, v[34:35]
	v_or_b32_e32 v35, v113, v103
	v_mul_hi_u32 v44, s44, v35
	v_add_u32_e32 v44, v35, v44
	v_lshrrev_b32_e32 v44, s45, v44
	v_mul_lo_u32 v44, v44, s36
	v_sub_u32_e32 v35, v35, v44
	v_lshl_add_u64 v[136:137], v[164:165], 0, v[136:137]
	v_mad_i64_i32 v[138:139], s[14:15], v35, s46, 0
	v_lshl_add_u64 v[136:137], v[138:139], 1, v[136:137]
	v_lshlrev_b32_e32 v44, 1, v46
	v_lshl_add_u64 v[136:137], v[136:137], 0, v[44:45]
	global_load_dword v35, v[136:137], off
	s_waitcnt vmcnt(0)
	ds_write_b32 v206, v35 offset:33792
.LBB31_187:                             ;   in Loop: Header=BB31_12 Depth=1
	s_or_b64 exec, exec, s[10:11]
	v_mul_lo_u32 v35, v34, s39
	v_mul_hi_u32 v44, v34, s38
	v_add_u32_e32 v137, v44, v35
	v_mul_lo_u32 v136, v34, s38
	v_lshlrev_b64 v[136:137], 2, v[136:137]
	v_lshl_add_u64 v[136:137], v[162:163], 0, v[136:137]
	v_lshl_add_u64 v[138:139], v[48:49], 2, v[136:137]
	v_lshlrev_b32_e32 v44, 2, v42
	v_lshl_add_u64 v[138:139], v[138:139], 0, v[44:45]
	v_lshl_add_u64 v[140:141], v[50:51], 2, v[136:137]
	;; [unrolled: 1-line block ×9, first 2 shown]
	global_load_dwordx4 v[136:139], v[138:139], off
	v_lshl_add_u64 v[140:141], v[140:141], 0, v[44:45]
	v_lshl_add_u64 v[142:143], v[142:143], 0, v[44:45]
	;; [unrolled: 1-line block ×6, first 2 shown]
	v_add_u32_e32 v35, 0x4000, v111
	s_waitcnt vmcnt(0)
	ds_write_b128 v105, v[136:139]
	global_load_dwordx4 v[136:139], v[140:141], off
	s_waitcnt vmcnt(0)
	ds_write_b128 v250, v[136:139]
	global_load_dwordx4 v[136:139], v[142:143], off
	;; [unrolled: 3-line block ×7, first 2 shown]
	s_waitcnt vmcnt(0)
	ds_write_b128 v247, v[136:139]
	s_waitcnt lgkmcnt(0)
	s_barrier
	ds_read2_b64 v[136:139], v111 offset1:4
	s_waitcnt lgkmcnt(0)
	v_mfma_f32_16x16x16_f16 a[0:3], v[136:137], v[30:31], 0
	v_mfma_f32_16x16x16_f16 a[0:3], v[138:139], v[32:33], a[0:3]
	ds_read2_b64 v[136:139], v111 offset0:8 offset1:12
	s_waitcnt lgkmcnt(0)
	v_mfma_f32_16x16x16_f16 a[0:3], v[136:137], v[26:27], a[0:3]
	v_mfma_f32_16x16x16_f16 a[0:3], v[138:139], v[28:29], a[0:3]
	ds_read2_b64 v[136:139], v111 offset0:16 offset1:20
	;; [unrolled: 4-line block ×15, first 2 shown]
	s_waitcnt lgkmcnt(0)
	s_barrier
	v_mfma_f32_16x16x16_f16 a[4:7], v[6:7], v[2:3], a[4:7]
	v_add_u32_e32 v2, 0x8400, v200
	ds_read2_b32 v[2:3], v2 offset1:1
	v_mfma_f32_16x16x16_f16 a[4:7], v[8:9], v[4:5], a[4:7]
	v_accvgpr_read_b32 v5, a0
	s_waitcnt lgkmcnt(0)
	v_cvt_f32_f16_e32 v4, v2
	v_cvt_f32_f16_sdwa v2, v2 dst_sel:DWORD dst_unused:UNUSED_PAD src0_sel:WORD_1
	v_add_f32_e32 v10, v5, v4
	v_accvgpr_read_b32 v4, a1
	v_add_f32_e32 v11, v4, v2
	v_cvt_f32_f16_e32 v2, v3
	v_cvt_f32_f16_sdwa v3, v3 dst_sel:DWORD dst_unused:UNUSED_PAD src0_sel:WORD_1
	v_accvgpr_read_b32 v4, a2
	v_accvgpr_read_b32 v6, a6
	v_add_f32_e32 v12, v4, v2
	v_accvgpr_read_b32 v2, a3
	v_add_f32_e32 v9, v2, v3
	ds_read_b32 v2, v207 offset:33792
	v_accvgpr_read_b32 v4, a4
	v_add_f32_e32 v7, 0x40051340, v11
	v_add_f32_e32 v8, 0x40051340, v9
	s_waitcnt lgkmcnt(0)
	v_cvt_f32_f16_e32 v3, v2
	v_cvt_f32_f16_sdwa v2, v2 dst_sel:DWORD dst_unused:UNUSED_PAD src0_sel:WORD_1
	v_add_f32_e32 v5, v4, v3
	v_accvgpr_read_b32 v3, a5
	v_add_f32_e32 v4, v3, v2
	ds_read_b32 v2, v208 offset:33792
	s_waitcnt lgkmcnt(0)
	v_cvt_f32_f16_e32 v3, v2
	v_cvt_f32_f16_sdwa v2, v2 dst_sel:DWORD dst_unused:UNUSED_PAD src0_sel:WORD_1
	v_add_f32_e32 v3, v6, v3
	v_accvgpr_read_b32 v6, a7
	v_add_f32_e32 v2, v6, v2
	v_add_f32_e32 v6, 0x40051340, v10
	v_max3_f32 v6, v115, v6, v7
	v_add_f32_e32 v7, 0x40051340, v12
	v_max3_f32 v6, v6, v7, v8
	v_add_f32_e32 v7, 0x40051340, v5
	v_add_f32_e32 v8, 0x40051340, v4
	v_max3_f32 v6, v6, v7, v8
	v_add_f32_e32 v7, 0x40051340, v3
	v_add_f32_e32 v8, 0x40051340, v2
	v_max3_f32 v6, v6, v7, v8
	v_and_b32_e32 v7, 64, v248
	v_add_u32_e32 v8, 64, v7
	v_xor_b32_e32 v7, 32, v248
	v_cmp_lt_i32_e32 vcc, v7, v8
	s_nop 1
	v_cndmask_b32_e32 v7, v248, v7, vcc
	v_lshlrev_b32_e32 v7, 2, v7
	ds_bpermute_b32 v13, v7, v6
	s_waitcnt lgkmcnt(0)
	v_max_f32_e32 v13, v13, v13
	v_max_f32_e32 v6, v6, v13
	v_xor_b32_e32 v13, 16, v248
	v_cmp_lt_i32_e32 vcc, v13, v8
	s_nop 1
	v_cndmask_b32_e32 v8, v248, v13, vcc
	v_lshlrev_b32_e32 v8, 2, v8
	ds_bpermute_b32 v13, v8, v6
	s_waitcnt lgkmcnt(0)
	v_max_f32_e32 v13, v13, v13
	v_max_f32_e32 v6, v6, v13
	v_sub_f32_e32 v10, v10, v6
	v_mul_f32_e32 v13, 0x3fb8aa3b, v10
	v_fma_f32 v14, v10, s47, -v13
	v_rndne_f32_e32 v15, v13
	v_fmac_f32_e32 v14, 0x32a5705f, v10
	v_sub_f32_e32 v13, v13, v15
	v_add_f32_e32 v13, v13, v14
	v_exp_f32_e32 v13, v13
	v_cvt_i32_f32_e32 v14, v15
	v_cmp_ngt_f32_e32 vcc, s65, v10
	v_sub_f32_e32 v11, v11, v6
	v_sub_f32_e32 v12, v12, v6
	v_ldexp_f32 v13, v13, v14
	v_cndmask_b32_e32 v13, 0, v13, vcc
	v_cmp_nlt_f32_e32 vcc, s91, v10
	v_sub_f32_e32 v9, v9, v6
	v_sub_f32_e32 v5, v5, v6
	v_cndmask_b32_e32 v10, v227, v13, vcc
	v_mul_f32_e32 v13, 0x3fb8aa3b, v11
	v_fma_f32 v14, v11, s47, -v13
	v_rndne_f32_e32 v15, v13
	v_fmac_f32_e32 v14, 0x32a5705f, v11
	v_sub_f32_e32 v13, v13, v15
	v_add_f32_e32 v13, v13, v14
	v_exp_f32_e32 v13, v13
	v_cvt_i32_f32_e32 v14, v15
	v_cmp_ngt_f32_e32 vcc, s65, v11
	v_sub_f32_e32 v4, v4, v6
	v_sub_f32_e32 v3, v3, v6
	v_ldexp_f32 v13, v13, v14
	v_mul_f32_e32 v14, 0x3fb8aa3b, v12
	v_fma_f32 v15, v12, s47, -v14
	v_rndne_f32_e32 v16, v14
	v_fmac_f32_e32 v15, 0x32a5705f, v12
	v_sub_f32_e32 v14, v14, v16
	v_add_f32_e32 v14, v14, v15
	v_exp_f32_e32 v14, v14
	v_cvt_i32_f32_e32 v15, v16
	v_cndmask_b32_e32 v13, 0, v13, vcc
	v_cmp_nlt_f32_e32 vcc, s91, v11
	v_sub_f32_e32 v2, v2, v6
	v_ldexp_f32 v14, v14, v15
	v_cndmask_b32_e32 v11, v227, v13, vcc
	v_cmp_ngt_f32_e32 vcc, s65, v12
	v_add_f32_e32 v13, v10, v11
	s_nop 0
	v_cndmask_b32_e32 v14, 0, v14, vcc
	v_cmp_nlt_f32_e32 vcc, s91, v12
	s_nop 1
	v_cndmask_b32_e32 v12, v227, v14, vcc
	v_add_f32_e32 v14, v12, v13
	v_mul_f32_e32 v13, 0x3fb8aa3b, v9
	v_fma_f32 v15, v9, s47, -v13
	v_rndne_f32_e32 v16, v13
	v_fmac_f32_e32 v15, 0x32a5705f, v9
	v_sub_f32_e32 v13, v13, v16
	v_add_f32_e32 v13, v13, v15
	v_exp_f32_e32 v13, v13
	v_cvt_i32_f32_e32 v15, v16
	v_cmp_ngt_f32_e32 vcc, s65, v9
	v_ldexp_f32 v13, v13, v15
	s_nop 0
	v_cndmask_b32_e32 v13, 0, v13, vcc
	v_cmp_nlt_f32_e32 vcc, s91, v9
	s_nop 1
	v_cndmask_b32_e32 v13, v227, v13, vcc
	v_add_f32_e32 v9, v13, v14
	v_mul_f32_e32 v14, 0x3fb8aa3b, v5
	v_fma_f32 v15, v5, s47, -v14
	v_rndne_f32_e32 v16, v14
	v_fmac_f32_e32 v15, 0x32a5705f, v5
	v_sub_f32_e32 v14, v14, v16
	v_add_f32_e32 v14, v14, v15
	v_exp_f32_e32 v14, v14
	v_cvt_i32_f32_e32 v15, v16
	v_cmp_ngt_f32_e32 vcc, s65, v5
	v_ldexp_f32 v14, v14, v15
	;; [unrolled: 16-line block ×5, first 2 shown]
	s_nop 0
	v_cndmask_b32_e32 v4, 0, v4, vcc
	v_cmp_nlt_f32_e32 vcc, s91, v2
	v_sub_f32_e32 v2, v115, v6
	s_nop 0
	v_cndmask_b32_e32 v21, v227, v4, vcc
	v_add_f32_e32 v9, v21, v3
	v_mul_f32_e32 v3, 0x3fb8aa3b, v2
	v_fma_f32 v4, v2, s47, -v3
	v_rndne_f32_e32 v5, v3
	v_fmac_f32_e32 v4, 0x32a5705f, v2
	v_sub_f32_e32 v3, v3, v5
	v_add_f32_e32 v3, v3, v4
	v_exp_f32_e32 v3, v3
	v_cvt_i32_f32_e32 v4, v5
	v_cmp_ngt_f32_e32 vcc, s65, v2
	v_ldexp_f32 v3, v3, v4
	s_nop 0
	v_cndmask_b32_e32 v3, 0, v3, vcc
	v_cmp_nlt_f32_e32 vcc, s91, v2
	s_nop 1
	v_cndmask_b32_e32 v3, v227, v3, vcc
	v_cmp_le_f32_e32 vcc, s92, v2
	s_nop 1
	v_cndmask_b32_e32 v2, 0, v3, vcc
	v_fmac_f32_e32 v9, v117, v2
	v_cvt_f16_f32_e32 v2, v2
	v_mul_hi_u32 v3, v34, s34
	ds_bpermute_b32 v7, v7, v9
	v_cmp_ne_u64_e32 vcc, 0, v[158:159]
	v_mul_u32_u24_e32 v2, 0x10001, v2
	v_pk_mul_f16 v25, v123, v2
	v_pk_mul_f16 v23, v122, v2
	;; [unrolled: 1-line block ×32, first 2 shown]
	v_mul_lo_u32 v2, v34, s35
	v_add_u32_e32 v3, v3, v2
	v_mul_lo_u32 v2, v34, s34
	v_lshlrev_b64 v[2:3], 2, v[2:3]
	v_lshl_add_u64 v[2:3], v[160:161], 0, v[2:3]
	v_lshl_add_u64 v[4:5], v[64:65], 2, v[2:3]
	;; [unrolled: 1-line block ×11, first 2 shown]
	global_load_dwordx4 v[2:5], v[4:5], off
	v_lshl_add_u64 v[32:33], v[32:33], 0, v[44:45]
	v_lshl_add_u64 v[124:125], v[124:125], 0, v[44:45]
	v_lshl_add_u64 v[130:131], v[130:131], 0, v[44:45]
	v_lshl_add_u64 v[132:133], v[132:133], 0, v[44:45]
	v_lshl_add_u64 v[134:135], v[134:135], 0, v[44:45]
	v_lshl_add_u64 v[136:137], v[136:137], 0, v[44:45]
	v_cvt_f32_f16_e32 v26, v25
	v_cvt_f32_f16_sdwa v25, v25 dst_sel:DWORD dst_unused:UNUSED_PAD src0_sel:WORD_1
	v_cvt_f32_f16_e32 v30, v23
	v_cvt_f32_f16_sdwa v23, v23 dst_sel:DWORD dst_unused:UNUSED_PAD src0_sel:WORD_1
	v_accvgpr_write_b32 a0, v26
	v_accvgpr_write_b32 a1, v25
	;; [unrolled: 1-line block ×4, first 2 shown]
	v_cvt_f32_f16_e32 v39, v19
	v_cvt_f32_f16_sdwa v19, v19 dst_sel:DWORD dst_unused:UNUSED_PAD src0_sel:WORD_1
	v_cvt_f32_f16_e32 v86, v115
	v_cvt_f32_f16_sdwa v100, v115 dst_sel:DWORD dst_unused:UNUSED_PAD src0_sel:WORD_1
	;; [unrolled: 2-line block ×3, first 2 shown]
	v_cvt_f32_f16_sdwa v126, v128 dst_sel:DWORD dst_unused:UNUSED_PAD src0_sel:WORD_1
	v_cvt_f32_f16_e32 v129, v91
	v_cvt_f32_f16_sdwa v91, v91 dst_sel:DWORD dst_unused:UNUSED_PAD src0_sel:WORD_1
	v_cvt_f32_f16_e32 v140, v97
	;; [unrolled: 2-line block ×9, first 2 shown]
	v_cvt_f32_f16_sdwa v27, v27 dst_sel:DWORD dst_unused:UNUSED_PAD src0_sel:WORD_1
	s_waitcnt lgkmcnt(0)
	v_add_f32_e32 v7, v9, v7
	ds_bpermute_b32 v9, v8, v7
	s_and_b64 s[14:15], s[0:1], vcc
	s_waitcnt lgkmcnt(0)
	v_add_f32_e32 v7, v7, v9
	s_waitcnt vmcnt(0)
	ds_write_b128 v105, v[2:5]
	global_load_dwordx4 v[2:5], v[32:33], off
	s_waitcnt vmcnt(0)
	ds_write_b128 v250, v[2:5]
	global_load_dwordx4 v[2:5], v[124:125], off
	;; [unrolled: 3-line block ×3, first 2 shown]
	v_cvt_f32_f16_e32 v131, v87
	v_cvt_f32_f16_sdwa v87, v87 dst_sel:DWORD dst_unused:UNUSED_PAD src0_sel:WORD_1
	s_waitcnt vmcnt(0)
	ds_write_b128 v252, v[2:5]
	global_load_dwordx4 v[2:5], v[132:133], off
	v_cvt_f32_f16_e32 v132, v84
	v_cvt_f32_f16_sdwa v84, v84 dst_sel:DWORD dst_unused:UNUSED_PAD src0_sel:WORD_1
	s_waitcnt vmcnt(0)
	ds_write_b128 v253, v[2:5]
	global_load_dwordx4 v[2:5], v[134:135], off
	v_cvt_f32_f16_e32 v134, v47
	v_cvt_f32_f16_sdwa v47, v47 dst_sel:DWORD dst_unused:UNUSED_PAD src0_sel:WORD_1
	v_cvt_f32_f16_e32 v135, v1
	v_cvt_f32_f16_sdwa v1, v1 dst_sel:DWORD dst_unused:UNUSED_PAD src0_sel:WORD_1
	s_waitcnt vmcnt(0)
	ds_write_b128 v254, v[2:5]
	global_load_dwordx4 v[2:5], v[136:137], off
	s_waitcnt vmcnt(0)
	ds_write_b128 v255, v[2:5]
	global_load_dwordx4 v[2:5], v[138:139], off
	v_cvt_f32_f16_e32 v138, v93
	v_cvt_f32_f16_sdwa v93, v93 dst_sel:DWORD dst_unused:UNUSED_PAD src0_sel:WORD_1
	v_cvt_f32_f16_e32 v139, v89
	v_cvt_f32_f16_sdwa v89, v89 dst_sel:DWORD dst_unused:UNUSED_PAD src0_sel:WORD_1
	s_waitcnt vmcnt(0)
	ds_write_b128 v247, v[2:5]
	s_waitcnt lgkmcnt(0)
	s_barrier
	ds_read_u16 v2, v201 offset:528
	ds_read_u16 v3, v201 offset:1056
	ds_read_u16 v4, v202
	ds_read_u16 v32, v202 offset:32
	v_cvt_pk_f16_f32 v5, v12, v13
	s_waitcnt lgkmcnt(1)
	v_perm_b32 v3, v4, v3, s93
	ds_read_u16 v4, v201
	ds_read_u16 v33, v201 offset:32
	ds_read_u16 v12, v201 offset:16896
	;; [unrolled: 1-line block ×5, first 2 shown]
	s_waitcnt lgkmcnt(5)
	v_perm_b32 v2, v2, v4, s93
	v_cvt_pk_f16_f32 v4, v10, v11
	s_nop 1
	v_mfma_f32_16x16x16_f16 a[0:3], v[2:3], v[4:5], a[0:3]
	s_nop 7
	v_accvgpr_read_b32 v2, a0
	v_accvgpr_read_b32 v3, a1
	;; [unrolled: 1-line block ×4, first 2 shown]
	v_cvt_f16_f32_e32 v2, v2
	v_cvt_f16_f32_e32 v3, v3
	;; [unrolled: 1-line block ×4, first 2 shown]
	v_cvt_f32_f16_e32 v26, v2
	v_cvt_f32_f16_e32 v30, v3
	;; [unrolled: 1-line block ×4, first 2 shown]
	s_waitcnt lgkmcnt(0)
	v_perm_b32 v11, v25, v23, s93
	v_perm_b32 v10, v13, v12, s93
	v_cvt_pk_f16_f32 v3, v20, v21
	v_cvt_pk_f16_f32 v2, v14, v15
	v_accvgpr_write_b32 a0, v26
	v_accvgpr_write_b32 a1, v30
	;; [unrolled: 1-line block ×4, first 2 shown]
	v_cvt_f32_f16_e32 v23, v18
	v_cvt_f32_f16_sdwa v18, v18 dst_sel:DWORD dst_unused:UNUSED_PAD src0_sel:WORD_1
	v_mfma_f32_16x16x16_f16 a[0:3], v[10:11], v[2:3], a[0:3]
	v_cvt_f32_f16_e32 v25, v17
	v_cvt_f32_f16_sdwa v17, v17 dst_sel:DWORD dst_unused:UNUSED_PAD src0_sel:WORD_1
	v_cvt_f32_f16_e32 v34, v16
	v_cvt_f32_f16_sdwa v16, v16 dst_sel:DWORD dst_unused:UNUSED_PAD src0_sel:WORD_1
	s_nop 3
	v_accvgpr_read_b32 v10, a2
	v_accvgpr_read_b32 v11, a3
	v_cvt_f16_f32_e32 v10, v10
	v_cvt_f16_f32_e32 v11, v11
	v_accvgpr_read_b32 v12, a0
	v_accvgpr_read_b32 v13, a1
	v_accvgpr_write_b32 a0, v23
	v_perm_b32 v10, v11, v10, s93
	ds_read_u16 v11, v201 offset:560
	ds_read_u16 v20, v201 offset:1088
	v_accvgpr_write_b32 a1, v18
	v_accvgpr_write_b32 a2, v25
	;; [unrolled: 1-line block ×3, first 2 shown]
	v_cvt_f16_f32_e32 v14, v12
	s_waitcnt lgkmcnt(0)
	v_perm_b32 v21, v32, v20, s93
	v_perm_b32 v20, v11, v33, s93
	v_cvt_f32_f16_e32 v32, v22
	v_cvt_f32_f16_sdwa v33, v22 dst_sel:DWORD dst_unused:UNUSED_PAD src0_sel:WORD_1
	v_mfma_f32_16x16x16_f16 a[0:3], v[20:21], v[4:5], a[0:3]
	ds_read_u16 v23, v201 offset:16928
	ds_read_u16 v25, v201 offset:17456
	;; [unrolled: 1-line block ×4, first 2 shown]
	v_cvt_f16_f32_e32 v15, v13
	s_waitcnt lgkmcnt(0)
	v_perm_b32 v21, v26, v21, s93
	s_nop 0
	v_accvgpr_read_b32 v11, a0
	v_accvgpr_read_b32 v17, a1
	;; [unrolled: 1-line block ×4, first 2 shown]
	v_cvt_f16_f32_e32 v11, v11
	v_cvt_f16_f32_e32 v17, v17
	;; [unrolled: 1-line block ×4, first 2 shown]
	v_cvt_f32_f16_e32 v11, v11
	v_cvt_f32_f16_e32 v17, v17
	;; [unrolled: 1-line block ×4, first 2 shown]
	v_perm_b32 v20, v25, v23, s93
	v_accvgpr_write_b32 a0, v11
	v_accvgpr_write_b32 a1, v17
	;; [unrolled: 1-line block ×4, first 2 shown]
	v_perm_b32 v14, v15, v14, s93
	s_nop 0
	v_mfma_f32_16x16x16_f16 a[0:3], v[20:21], v[2:3], a[0:3]
	s_nop 7
	v_accvgpr_read_b32 v11, a2
	v_accvgpr_read_b32 v23, a3
	v_cvt_f16_f32_e32 v11, v11
	v_cvt_f16_f32_e32 v23, v23
	v_accvgpr_read_b32 v17, a0
	v_accvgpr_read_b32 v18, a1
	v_accvgpr_write_b32 a0, v32
	v_perm_b32 v11, v23, v11, s93
	ds_read_u16 v25, v201 offset:64
	ds_read_u16 v26, v201 offset:592
	;; [unrolled: 1-line block ×4, first 2 shown]
	v_accvgpr_write_b32 a1, v33
	v_accvgpr_write_b32 a2, v34
	s_waitcnt lgkmcnt(2)
	v_perm_b32 v22, v26, v25, s93
	v_accvgpr_write_b32 a3, v16
	s_waitcnt lgkmcnt(0)
	v_perm_b32 v23, v30, v23, s93
	ds_read_u16 v26, v201 offset:16960
	ds_read_u16 v30, v201 offset:17488
	;; [unrolled: 1-line block ×4, first 2 shown]
	v_mfma_f32_16x16x16_f16 a[0:3], v[22:23], v[4:5], a[0:3]
	v_cvt_f16_f32_e32 v20, v17
	v_cvt_f16_f32_e32 v21, v18
	v_perm_b32 v20, v21, v20, s93
	s_nop 4
	v_accvgpr_read_b32 v16, a0
	v_accvgpr_read_b32 v22, a1
	;; [unrolled: 1-line block ×4, first 2 shown]
	v_cvt_f16_f32_e32 v16, v16
	v_cvt_f16_f32_e32 v22, v22
	;; [unrolled: 1-line block ×4, first 2 shown]
	v_cvt_f32_f16_e32 v16, v16
	v_cvt_f32_f16_e32 v34, v22
	;; [unrolled: 1-line block ×4, first 2 shown]
	s_waitcnt lgkmcnt(0)
	v_perm_b32 v23, v33, v32, s93
	v_perm_b32 v22, v30, v26, s93
	v_accvgpr_write_b32 a0, v16
	v_accvgpr_write_b32 a1, v34
	;; [unrolled: 1-line block ×4, first 2 shown]
	v_cvt_f32_f16_e32 v37, v29
	v_cvt_f32_f16_sdwa v29, v29 dst_sel:DWORD dst_unused:UNUSED_PAD src0_sel:WORD_1
	v_mfma_f32_16x16x16_f16 a[0:3], v[22:23], v[2:3], a[0:3]
	s_nop 7
	v_accvgpr_read_b32 v16, a2
	v_accvgpr_read_b32 v30, a3
	v_cvt_f16_f32_e32 v16, v16
	v_cvt_f16_f32_e32 v30, v30
	v_accvgpr_read_b32 v22, a0
	v_accvgpr_read_b32 v23, a1
	v_accvgpr_write_b32 a0, v37
	v_perm_b32 v16, v30, v16, s93
	ds_read_u16 v30, v201 offset:96
	ds_read_u16 v32, v201 offset:624
	;; [unrolled: 1-line block ×4, first 2 shown]
	v_accvgpr_write_b32 a1, v29
	v_accvgpr_write_b32 a2, v39
	s_waitcnt lgkmcnt(2)
	v_perm_b32 v32, v32, v30, s93
	v_accvgpr_write_b32 a3, v19
	s_waitcnt lgkmcnt(0)
	v_perm_b32 v33, v34, v33, s93
	v_cvt_f16_f32_e32 v25, v22
	v_cvt_f16_f32_e32 v26, v23
	v_mfma_f32_16x16x16_f16 a[0:3], v[32:33], v[4:5], a[0:3]
	ds_read_u16 v34, v201 offset:16992
	ds_read_u16 v37, v201 offset:17520
	;; [unrolled: 1-line block ×4, first 2 shown]
	v_perm_b32 v25, v26, v25, s93
	s_waitcnt lgkmcnt(0)
	v_perm_b32 v33, v39, v33, s93
	s_nop 0
	v_accvgpr_read_b32 v19, a0
	v_accvgpr_read_b32 v29, a1
	;; [unrolled: 1-line block ×4, first 2 shown]
	v_cvt_f16_f32_e32 v19, v19
	v_cvt_f16_f32_e32 v29, v29
	;; [unrolled: 1-line block ×4, first 2 shown]
	v_cvt_f32_f16_e32 v19, v19
	v_cvt_f32_f16_e32 v29, v29
	v_cvt_f32_f16_e32 v30, v30
	v_cvt_f32_f16_e32 v44, v32
	v_perm_b32 v32, v37, v34, s93
	v_accvgpr_write_b32 a0, v19
	v_accvgpr_write_b32 a1, v29
	;; [unrolled: 1-line block ×4, first 2 shown]
	s_nop 1
	v_mfma_f32_16x16x16_f16 a[0:3], v[32:33], v[2:3], a[0:3]
	s_nop 7
	v_accvgpr_read_b32 v19, a2
	v_accvgpr_read_b32 v34, a3
	v_cvt_f16_f32_e32 v19, v19
	v_cvt_f16_f32_e32 v34, v34
	v_accvgpr_read_b32 v29, a0
	v_accvgpr_read_b32 v30, a1
	v_accvgpr_write_b32 a0, v86
	v_perm_b32 v19, v34, v19, s93
	ds_read_u16 v34, v201 offset:128
	ds_read_u16 v37, v201 offset:656
	;; [unrolled: 1-line block ×4, first 2 shown]
	v_accvgpr_write_b32 a1, v100
	v_accvgpr_write_b32 a2, v108
	s_waitcnt lgkmcnt(2)
	v_perm_b32 v124, v37, v34, s93
	v_accvgpr_write_b32 a3, v24
	s_waitcnt lgkmcnt(0)
	v_perm_b32 v125, v44, v39, s93
	ds_read_u16 v44, v201 offset:17024
	ds_read_u16 v86, v201 offset:17552
	;; [unrolled: 1-line block ×4, first 2 shown]
	v_mfma_f32_16x16x16_f16 a[0:3], v[124:125], v[4:5], a[0:3]
	s_waitcnt lgkmcnt(0)
	v_perm_b32 v125, v108, v100, s93
	v_perm_b32 v124, v86, v44, s93
	v_cvt_f32_f16_e32 v108, v128
	v_cvt_f32_f16_e32 v128, v31
	v_cvt_f32_f16_sdwa v31, v31 dst_sel:DWORD dst_unused:UNUSED_PAD src0_sel:WORD_1
	s_nop 1
	v_accvgpr_read_b32 v24, a0
	v_accvgpr_read_b32 v34, a1
	;; [unrolled: 1-line block ×4, first 2 shown]
	v_cvt_f16_f32_e32 v24, v24
	v_cvt_f16_f32_e32 v34, v34
	;; [unrolled: 1-line block ×4, first 2 shown]
	v_cvt_f32_f16_e32 v24, v24
	v_cvt_f32_f16_e32 v34, v34
	;; [unrolled: 1-line block ×4, first 2 shown]
	v_accvgpr_write_b32 a0, v24
	v_accvgpr_write_b32 a1, v34
	;; [unrolled: 1-line block ×4, first 2 shown]
	v_cvt_f16_f32_e32 v32, v29
	v_cvt_f16_f32_e32 v33, v30
	v_mfma_f32_16x16x16_f16 a[0:3], v[124:125], v[2:3], a[0:3]
	v_perm_b32 v32, v33, v32, s93
	s_nop 6
	v_accvgpr_read_b32 v24, a2
	v_accvgpr_read_b32 v39, a3
	v_cvt_f16_f32_e32 v24, v24
	v_cvt_f16_f32_e32 v39, v39
	v_accvgpr_read_b32 v34, a0
	v_accvgpr_read_b32 v37, a1
	v_accvgpr_write_b32 a0, v108
	v_perm_b32 v24, v39, v24, s93
	ds_read_u16 v39, v201 offset:160
	ds_read_u16 v44, v201 offset:688
	;; [unrolled: 1-line block ×4, first 2 shown]
	v_accvgpr_write_b32 a1, v126
	v_accvgpr_write_b32 a2, v128
	s_waitcnt lgkmcnt(2)
	v_perm_b32 v124, v44, v39, s93
	v_accvgpr_write_b32 a3, v31
	s_waitcnt lgkmcnt(0)
	v_perm_b32 v125, v100, v86, s93
	v_cvt_f32_f16_sdwa v126, v127 dst_sel:DWORD dst_unused:UNUSED_PAD src0_sel:WORD_1
	v_cvt_f16_f32_e32 v115, v34
	v_mfma_f32_16x16x16_f16 a[0:3], v[124:125], v[4:5], a[0:3]
	ds_read_u16 v100, v201 offset:17056
	ds_read_u16 v108, v201 offset:17584
	;; [unrolled: 1-line block ×4, first 2 shown]
	v_cvt_f16_f32_e32 v117, v37
	s_waitcnt lgkmcnt(0)
	v_perm_b32 v125, v125, v124, s93
	s_nop 0
	v_accvgpr_read_b32 v31, a0
	v_accvgpr_read_b32 v39, a1
	;; [unrolled: 1-line block ×4, first 2 shown]
	v_cvt_f16_f32_e32 v31, v31
	v_cvt_f16_f32_e32 v39, v39
	v_cvt_f16_f32_e32 v44, v44
	v_cvt_f16_f32_e32 v86, v86
	v_cvt_f32_f16_e32 v31, v31
	v_cvt_f32_f16_e32 v39, v39
	;; [unrolled: 1-line block ×4, first 2 shown]
	v_perm_b32 v124, v108, v100, s93
	v_accvgpr_write_b32 a0, v31
	v_accvgpr_write_b32 a1, v39
	;; [unrolled: 1-line block ×4, first 2 shown]
	v_cvt_f32_f16_e32 v108, v127
	v_cvt_f32_f16_e32 v127, v123
	v_mfma_f32_16x16x16_f16 a[0:3], v[124:125], v[2:3], a[0:3]
	v_cvt_f32_f16_sdwa v123, v123 dst_sel:DWORD dst_unused:UNUSED_PAD src0_sel:WORD_1
	v_perm_b32 v115, v117, v115, s93
	s_nop 5
	v_accvgpr_read_b32 v31, a2
	v_accvgpr_read_b32 v39, a3
	v_cvt_f16_f32_e32 v31, v31
	v_cvt_f16_f32_e32 v39, v39
	v_accvgpr_read_b32 v160, a0
	v_accvgpr_read_b32 v161, a1
	v_accvgpr_write_b32 a0, v108
	v_perm_b32 v31, v39, v31, s93
	ds_read_u16 v39, v201 offset:192
	ds_read_u16 v44, v201 offset:720
	;; [unrolled: 1-line block ×4, first 2 shown]
	v_accvgpr_write_b32 a1, v126
	v_accvgpr_write_b32 a2, v127
	s_waitcnt lgkmcnt(2)
	v_perm_b32 v124, v44, v39, s93
	v_accvgpr_write_b32 a3, v123
	s_waitcnt lgkmcnt(0)
	v_perm_b32 v125, v100, v86, s93
	v_cvt_f32_f16_e32 v126, v109
	v_cvt_f32_f16_sdwa v127, v109 dst_sel:DWORD dst_unused:UNUSED_PAD src0_sel:WORD_1
	v_mfma_f32_16x16x16_f16 a[0:3], v[124:125], v[4:5], a[0:3]
	ds_read_u16 v108, v201 offset:17088
	ds_read_u16 v123, v201 offset:17616
	;; [unrolled: 1-line block ×4, first 2 shown]
	v_cvt_f16_f32_e32 v162, v160
	v_cvt_f16_f32_e32 v163, v161
	s_nop 1
	v_accvgpr_read_b32 v39, a0
	v_accvgpr_read_b32 v44, a1
	v_accvgpr_read_b32 v86, a2
	v_accvgpr_read_b32 v100, a3
	v_cvt_f16_f32_e32 v39, v39
	v_cvt_f16_f32_e32 v44, v44
	;; [unrolled: 1-line block ×4, first 2 shown]
	v_cvt_f32_f16_e32 v39, v39
	v_cvt_f32_f16_e32 v44, v44
	;; [unrolled: 1-line block ×4, first 2 shown]
	s_waitcnt lgkmcnt(0)
	v_perm_b32 v125, v125, v124, s93
	v_perm_b32 v124, v123, v108, s93
	v_accvgpr_write_b32 a0, v39
	v_accvgpr_write_b32 a1, v44
	;; [unrolled: 1-line block ×4, first 2 shown]
	s_nop 1
	v_mfma_f32_16x16x16_f16 a[0:3], v[124:125], v[2:3], a[0:3]
	v_cvt_f32_f16_e32 v125, v122
	v_cvt_f32_f16_sdwa v122, v122 dst_sel:DWORD dst_unused:UNUSED_PAD src0_sel:WORD_1
	s_nop 5
	v_accvgpr_read_b32 v44, a2
	v_accvgpr_read_b32 v100, a3
	v_cvt_f16_f32_e32 v44, v44
	v_cvt_f16_f32_e32 v100, v100
	v_accvgpr_read_b32 v164, a0
	v_accvgpr_read_b32 v165, a1
	v_accvgpr_write_b32 a0, v125
	v_perm_b32 v44, v100, v44, s93
	ds_read_u16 v100, v201 offset:224
	ds_read_u16 v108, v201 offset:752
	;; [unrolled: 1-line block ×4, first 2 shown]
	v_accvgpr_write_b32 a1, v122
	v_accvgpr_write_b32 a2, v126
	s_waitcnt lgkmcnt(2)
	v_perm_b32 v108, v108, v100, s93
	v_accvgpr_write_b32 a3, v127
	s_waitcnt lgkmcnt(0)
	v_perm_b32 v109, v124, v123, s93
	ds_read_u16 v123, v201 offset:17120
	ds_read_u16 v125, v201 offset:17648
	;; [unrolled: 1-line block ×4, first 2 shown]
	v_mfma_f32_16x16x16_f16 a[0:3], v[108:109], v[4:5], a[0:3]
	v_cvt_f16_f32_e32 v39, v164
	v_cvt_f16_f32_e32 v86, v165
	v_perm_b32 v39, v86, v39, s93
	s_nop 4
	v_accvgpr_read_b32 v100, a0
	v_cvt_f16_f32_e32 v108, v100
	v_accvgpr_read_b32 v100, a1
	v_cvt_f16_f32_e32 v109, v100
	;; [unrolled: 2-line block ×4, first 2 shown]
	v_cvt_f32_f16_e32 v100, v108
	v_cvt_f32_f16_e32 v128, v109
	;; [unrolled: 1-line block ×4, first 2 shown]
	s_waitcnt lgkmcnt(0)
	v_perm_b32 v109, v127, v126, s93
	v_perm_b32 v108, v125, v123, s93
	v_accvgpr_write_b32 a0, v100
	v_accvgpr_write_b32 a1, v128
	;; [unrolled: 1-line block ×4, first 2 shown]
	v_cvt_f32_f16_e32 v128, v95
	v_cvt_f32_f16_sdwa v95, v95 dst_sel:DWORD dst_unused:UNUSED_PAD src0_sel:WORD_1
	v_mfma_f32_16x16x16_f16 a[0:3], v[108:109], v[2:3], a[0:3]
	v_perm_b32 v86, v163, v162, s93
	s_nop 6
	v_accvgpr_read_b32 v100, a2
	v_accvgpr_read_b32 v108, a3
	v_cvt_f16_f32_e32 v100, v100
	v_cvt_f16_f32_e32 v108, v108
	v_accvgpr_read_b32 v109, a0
	v_accvgpr_read_b32 v122, a1
	v_accvgpr_write_b32 a0, v128
	v_perm_b32 v108, v108, v100, s93
	ds_read_u16 v100, v201 offset:256
	ds_read_u16 v125, v201 offset:784
	;; [unrolled: 1-line block ×4, first 2 shown]
	v_accvgpr_write_b32 a1, v95
	v_accvgpr_write_b32 a2, v129
	;; [unrolled: 1-line block ×3, first 2 shown]
	v_cvt_f16_f32_e32 v123, v109
	s_waitcnt lgkmcnt(0)
	v_perm_b32 v127, v127, v126, s93
	v_perm_b32 v126, v125, v100, s93
	v_cvt_f16_f32_e32 v124, v122
	v_perm_b32 v123, v124, v123, s93
	v_mfma_f32_16x16x16_f16 a[0:3], v[126:127], v[4:5], a[0:3]
	ds_read_u16 v126, v201 offset:17152
	ds_read_u16 v128, v201 offset:17680
	;; [unrolled: 1-line block ×4, first 2 shown]
	s_waitcnt lgkmcnt(2)
	v_perm_b32 v126, v128, v126, s93
	s_waitcnt lgkmcnt(0)
	v_perm_b32 v127, v129, v127, s93
	v_accvgpr_read_b32 v91, a0
	v_accvgpr_read_b32 v95, a1
	;; [unrolled: 1-line block ×4, first 2 shown]
	v_cvt_f16_f32_e32 v91, v91
	v_cvt_f16_f32_e32 v95, v95
	;; [unrolled: 1-line block ×4, first 2 shown]
	v_cvt_f32_f16_e32 v91, v91
	v_cvt_f32_f16_e32 v95, v95
	;; [unrolled: 1-line block ×4, first 2 shown]
	v_accvgpr_write_b32 a0, v91
	v_accvgpr_write_b32 a1, v95
	;; [unrolled: 1-line block ×4, first 2 shown]
	s_nop 1
	v_mfma_f32_16x16x16_f16 a[0:3], v[126:127], v[2:3], a[0:3]
	s_nop 7
	v_accvgpr_read_b32 v91, a2
	v_accvgpr_read_b32 v100, a3
	v_cvt_f16_f32_e32 v91, v91
	v_cvt_f16_f32_e32 v100, v100
	v_accvgpr_read_b32 v95, a0
	v_accvgpr_read_b32 v125, a1
	v_accvgpr_write_b32 a0, v131
	v_perm_b32 v91, v100, v91, s93
	ds_read_u16 v100, v201 offset:288
	ds_read_u16 v128, v201 offset:816
	;; [unrolled: 1-line block ×4, first 2 shown]
	v_accvgpr_write_b32 a1, v87
	v_accvgpr_write_b32 a2, v132
	s_waitcnt lgkmcnt(2)
	v_perm_b32 v128, v128, v100, s93
	v_accvgpr_write_b32 a3, v84
	s_waitcnt lgkmcnt(0)
	v_perm_b32 v129, v130, v129, s93
	v_cvt_f16_f32_e32 v126, v95
	v_cvt_f16_f32_e32 v127, v125
	v_mfma_f32_16x16x16_f16 a[0:3], v[128:129], v[4:5], a[0:3]
	ds_read_u16 v130, v201 offset:17184
	ds_read_u16 v131, v201 offset:17712
	;; [unrolled: 1-line block ×4, first 2 shown]
	v_perm_b32 v126, v127, v126, s93
	s_waitcnt lgkmcnt(0)
	v_perm_b32 v129, v132, v129, s93
	s_nop 0
	v_accvgpr_read_b32 v84, a0
	v_accvgpr_read_b32 v87, a1
	;; [unrolled: 1-line block ×4, first 2 shown]
	v_cvt_f16_f32_e32 v84, v84
	v_cvt_f16_f32_e32 v87, v87
	;; [unrolled: 1-line block ×4, first 2 shown]
	v_cvt_f32_f16_e32 v84, v84
	v_cvt_f32_f16_e32 v87, v87
	;; [unrolled: 1-line block ×4, first 2 shown]
	v_perm_b32 v128, v131, v130, s93
	v_accvgpr_write_b32 a0, v84
	v_accvgpr_write_b32 a1, v87
	;; [unrolled: 1-line block ×4, first 2 shown]
	s_nop 1
	v_mfma_f32_16x16x16_f16 a[0:3], v[128:129], v[2:3], a[0:3]
	s_nop 7
	v_accvgpr_read_b32 v84, a2
	v_accvgpr_read_b32 v100, a3
	v_cvt_f16_f32_e32 v84, v84
	v_cvt_f16_f32_e32 v100, v100
	v_accvgpr_read_b32 v87, a0
	v_accvgpr_read_b32 v128, a1
	v_accvgpr_write_b32 a0, v134
	v_perm_b32 v84, v100, v84, s93
	ds_read_u16 v100, v201 offset:320
	ds_read_u16 v131, v201 offset:848
	;; [unrolled: 1-line block ×4, first 2 shown]
	v_accvgpr_write_b32 a1, v47
	v_accvgpr_write_b32 a2, v135
	;; [unrolled: 1-line block ×3, first 2 shown]
	v_cvt_f16_f32_e32 v129, v87
	s_waitcnt lgkmcnt(0)
	v_perm_b32 v133, v133, v132, s93
	v_perm_b32 v132, v131, v100, s93
	v_cvt_f16_f32_e32 v130, v128
	v_perm_b32 v129, v130, v129, s93
	v_mfma_f32_16x16x16_f16 a[0:3], v[132:133], v[4:5], a[0:3]
	ds_read_u16 v132, v201 offset:17216
	ds_read_u16 v134, v201 offset:17744
	;; [unrolled: 1-line block ×4, first 2 shown]
	s_waitcnt lgkmcnt(2)
	v_perm_b32 v132, v134, v132, s93
	s_waitcnt lgkmcnt(0)
	v_perm_b32 v133, v135, v133, s93
	v_accvgpr_read_b32 v1, a0
	v_accvgpr_read_b32 v47, a1
	;; [unrolled: 1-line block ×4, first 2 shown]
	v_cvt_f16_f32_e32 v1, v1
	v_cvt_f16_f32_e32 v47, v47
	;; [unrolled: 1-line block ×4, first 2 shown]
	v_cvt_f32_f16_e32 v1, v1
	v_cvt_f32_f16_e32 v47, v47
	;; [unrolled: 1-line block ×4, first 2 shown]
	v_accvgpr_write_b32 a0, v1
	v_accvgpr_write_b32 a1, v47
	;; [unrolled: 1-line block ×4, first 2 shown]
	s_nop 1
	v_mfma_f32_16x16x16_f16 a[0:3], v[132:133], v[2:3], a[0:3]
	s_nop 7
	v_accvgpr_read_b32 v1, a2
	v_accvgpr_read_b32 v47, a3
	v_cvt_f16_f32_e32 v1, v1
	v_cvt_f16_f32_e32 v47, v47
	v_accvgpr_read_b32 v131, a0
	v_accvgpr_read_b32 v132, a1
	v_accvgpr_write_b32 a0, v138
	v_perm_b32 v1, v47, v1, s93
	ds_read_u16 v47, v201 offset:352
	ds_read_u16 v100, v201 offset:880
	;; [unrolled: 1-line block ×4, first 2 shown]
	v_accvgpr_write_b32 a1, v93
	v_accvgpr_write_b32 a2, v139
	;; [unrolled: 1-line block ×3, first 2 shown]
	v_cvt_f16_f32_e32 v133, v131
	s_waitcnt lgkmcnt(0)
	v_perm_b32 v137, v136, v135, s93
	v_perm_b32 v136, v100, v47, s93
	v_cvt_f16_f32_e32 v134, v132
	v_perm_b32 v133, v134, v133, s93
	v_mfma_f32_16x16x16_f16 a[0:3], v[136:137], v[4:5], a[0:3]
	ds_read_u16 v135, v201 offset:17248
	ds_read_u16 v136, v201 offset:17776
	;; [unrolled: 1-line block ×4, first 2 shown]
	s_waitcnt lgkmcnt(2)
	v_perm_b32 v136, v136, v135, s93
	s_waitcnt lgkmcnt(0)
	v_perm_b32 v137, v138, v137, s93
	v_accvgpr_read_b32 v47, a0
	v_accvgpr_read_b32 v89, a1
	;; [unrolled: 1-line block ×4, first 2 shown]
	v_cvt_f16_f32_e32 v47, v47
	v_cvt_f16_f32_e32 v89, v89
	;; [unrolled: 1-line block ×4, first 2 shown]
	v_cvt_f32_f16_e32 v47, v47
	v_cvt_f32_f16_e32 v89, v89
	v_cvt_f32_f16_e32 v93, v93
	v_cvt_f32_f16_e32 v100, v100
	v_accvgpr_write_b32 a0, v47
	v_accvgpr_write_b32 a1, v89
	v_accvgpr_write_b32 a2, v93
	v_accvgpr_write_b32 a3, v100
	s_nop 1
	v_mfma_f32_16x16x16_f16 a[0:3], v[136:137], v[2:3], a[0:3]
	s_nop 7
	v_accvgpr_read_b32 v47, a2
	v_accvgpr_read_b32 v100, a3
	v_cvt_f16_f32_e32 v47, v47
	v_cvt_f16_f32_e32 v100, v100
	v_accvgpr_read_b32 v89, a0
	v_accvgpr_read_b32 v93, a1
	v_accvgpr_write_b32 a0, v140
	v_perm_b32 v47, v100, v47, s93
	ds_read_u16 v100, v201 offset:384
	ds_read_u16 v137, v201 offset:912
	ds_read_u16 v138, v201 offset:1440
	ds_read_u16 v139, v202 offset:384
	v_accvgpr_write_b32 a1, v97
	v_accvgpr_write_b32 a2, v141
	v_accvgpr_write_b32 a3, v85
	v_cvt_f16_f32_e32 v135, v89
	s_waitcnt lgkmcnt(0)
	v_perm_b32 v139, v139, v138, s93
	v_perm_b32 v138, v137, v100, s93
	v_cvt_f16_f32_e32 v136, v93
	s_nop 0
	v_mfma_f32_16x16x16_f16 a[0:3], v[138:139], v[4:5], a[0:3]
	ds_read_u16 v138, v201 offset:17280
	ds_read_u16 v140, v201 offset:17808
	ds_read_u16 v139, v201 offset:18336
	ds_read_u16 v141, v202 offset:17280
	s_waitcnt lgkmcnt(2)
	v_perm_b32 v138, v140, v138, s93
	s_nop 1
	v_accvgpr_read_b32 v85, a0
	v_accvgpr_read_b32 v97, a1
	v_accvgpr_read_b32 v100, a2
	v_accvgpr_read_b32 v137, a3
	v_cvt_f16_f32_e32 v85, v85
	v_cvt_f16_f32_e32 v97, v97
	v_cvt_f16_f32_e32 v100, v100
	v_cvt_f16_f32_e32 v137, v137
	v_cvt_f32_f16_e32 v85, v85
	v_cvt_f32_f16_e32 v97, v97
	v_cvt_f32_f16_e32 v100, v100
	v_cvt_f32_f16_e32 v137, v137
	s_waitcnt lgkmcnt(0)
	v_perm_b32 v139, v141, v139, s93
	v_accvgpr_write_b32 a0, v85
	v_accvgpr_write_b32 a1, v97
	v_accvgpr_write_b32 a2, v100
	v_accvgpr_write_b32 a3, v137
	s_nop 1
	v_mfma_f32_16x16x16_f16 a[0:3], v[138:139], v[2:3], a[0:3]
	s_nop 7
	v_accvgpr_read_b32 v85, a2
	v_accvgpr_read_b32 v97, a3
	v_cvt_f16_f32_e32 v85, v85
	v_cvt_f16_f32_e32 v97, v97
	v_accvgpr_read_b32 v137, a0
	v_accvgpr_read_b32 v138, a1
	v_accvgpr_write_b32 a0, v144
	v_perm_b32 v85, v97, v85, s93
	ds_read_u16 v97, v201 offset:416
	ds_read_u16 v100, v201 offset:944
	ds_read_u16 v141, v201 offset:1472
	ds_read_u16 v142, v202 offset:416
	v_accvgpr_write_b32 a1, v121
	v_accvgpr_write_b32 a2, v145
	v_accvgpr_write_b32 a3, v119
	v_cvt_f16_f32_e32 v139, v137
	s_waitcnt lgkmcnt(0)
	v_perm_b32 v143, v142, v141, s93
	v_perm_b32 v142, v100, v97, s93
	v_cvt_f16_f32_e32 v140, v138
	s_nop 0
	v_mfma_f32_16x16x16_f16 a[0:3], v[142:143], v[4:5], a[0:3]
	ds_read_u16 v141, v201 offset:17312
	ds_read_u16 v142, v201 offset:17840
	ds_read_u16 v143, v201 offset:18368
	ds_read_u16 v144, v202 offset:17312
	s_waitcnt lgkmcnt(2)
	v_perm_b32 v142, v142, v141, s93
	s_nop 1
	v_accvgpr_read_b32 v97, a0
	v_accvgpr_read_b32 v100, a1
	v_accvgpr_read_b32 v119, a2
	v_accvgpr_read_b32 v121, a3
	v_cvt_f16_f32_e32 v97, v97
	v_cvt_f16_f32_e32 v100, v100
	v_cvt_f16_f32_e32 v119, v119
	v_cvt_f16_f32_e32 v121, v121
	v_cvt_f32_f16_e32 v97, v97
	v_cvt_f32_f16_e32 v100, v100
	v_cvt_f32_f16_e32 v119, v119
	v_cvt_f32_f16_e32 v121, v121
	s_waitcnt lgkmcnt(0)
	v_perm_b32 v143, v144, v143, s93
	;; [unrolled: 50-line block ×3, first 2 shown]
	v_accvgpr_write_b32 a0, v35
	v_accvgpr_write_b32 a1, v36
	v_accvgpr_write_b32 a2, v100
	v_accvgpr_write_b32 a3, v143
	s_nop 1
	v_mfma_f32_16x16x16_f16 a[0:3], v[144:145], v[2:3], a[0:3]
	s_nop 7
	v_accvgpr_read_b32 v35, a2
	v_accvgpr_read_b32 v100, a3
	v_cvt_f16_f32_e32 v35, v35
	v_cvt_f16_f32_e32 v100, v100
	v_accvgpr_read_b32 v36, a0
	v_accvgpr_read_b32 v143, a1
	v_accvgpr_write_b32 a0, v149
	v_perm_b32 v35, v100, v35, s93
	ds_read_u16 v100, v201 offset:480
	ds_read_u16 v146, v201 offset:1008
	;; [unrolled: 1-line block ×4, first 2 shown]
	v_accvgpr_write_b32 a1, v28
	v_accvgpr_write_b32 a2, v150
	s_waitcnt lgkmcnt(2)
	v_perm_b32 v146, v146, v100, s93
	v_accvgpr_write_b32 a3, v27
	s_waitcnt lgkmcnt(0)
	v_perm_b32 v147, v148, v147, s93
	v_cvt_f16_f32_e32 v144, v36
	v_cvt_f16_f32_e32 v145, v143
	v_mfma_f32_16x16x16_f16 a[0:3], v[146:147], v[4:5], a[0:3]
	v_perm_b32 v9, v145, v144, s93
	s_nop 6
	v_accvgpr_read_b32 v28, a3
	v_accvgpr_read_b32 v4, a0
	;; [unrolled: 1-line block ×4, first 2 shown]
	v_cvt_f16_f32_e32 v146, v28
	ds_read_u16 v28, v201 offset:17376
	ds_read_u16 v147, v201 offset:17904
	;; [unrolled: 1-line block ×4, first 2 shown]
	v_cvt_f16_f32_e32 v4, v4
	v_cvt_f16_f32_e32 v5, v5
	;; [unrolled: 1-line block ×3, first 2 shown]
	v_cvt_f32_f16_e32 v146, v146
	v_cvt_f32_f16_e32 v100, v4
	v_cvt_f32_f16_e32 v150, v5
	v_cvt_f32_f16_e32 v27, v27
	s_waitcnt lgkmcnt(0)
	v_perm_b32 v5, v149, v148, s93
	v_perm_b32 v4, v147, v28, s93
	v_accvgpr_write_b32 a0, v100
	v_accvgpr_write_b32 a1, v150
	;; [unrolled: 1-line block ×4, first 2 shown]
	v_perm_b32 v100, v136, v135, s93
	s_nop 0
	v_mfma_f32_16x16x16_f16 a[0:3], v[4:5], v[2:3], a[0:3]
	s_barrier
	s_nop 6
	v_accvgpr_read_b32 v2, a0
	v_accvgpr_read_b32 v3, a1
	;; [unrolled: 1-line block ×4, first 2 shown]
	v_cvt_f16_f32_e32 v5, v2
	v_cvt_f16_f32_e32 v27, v3
	;; [unrolled: 1-line block ×4, first 2 shown]
	v_perm_b32 v5, v27, v5, s93
	v_perm_b32 v27, v142, v141, s93
	;; [unrolled: 1-line block ×4, first 2 shown]
	s_and_saveexec_b64 s[10:11], s[14:15]
	s_cbranch_execz .LBB31_189
; %bb.188:                              ;   in Loop: Header=BB31_12 Depth=1
	v_lshlrev_b32_e32 v5, 2, v106
	v_readfirstlane_b32 s14, v158
	v_readfirstlane_b32 s15, v159
	v_cvt_pk_f16_f32 v9, v12, v13
	v_max_f32_e32 v12, v6, v6
	v_cvt_pk_f16_f32 v21, v34, v37
	v_cvt_pk_f16_f32 v2, v2, v3
	;; [unrolled: 1-line block ×3, first 2 shown]
	global_load_dword v5, v5, s[14:15]
	v_cvt_pk_f16_f32 v17, v22, v23
	v_cvt_pk_f16_f32 v18, v29, v30
	;; [unrolled: 1-line block ×12, first 2 shown]
	s_waitcnt vmcnt(0)
	v_max_f32_e32 v13, v5, v5
	v_max_f32_e32 v12, v12, v13
	v_sub_f32_e32 v6, v6, v12
	v_sub_f32_e32 v5, v5, v12
	v_mul_f32_e32 v13, 0x3fb8aa3b, v6
	v_mul_f32_e32 v14, 0x3fb8aa3b, v5
	v_fma_f32 v20, v6, s47, -v13
	v_rndne_f32_e32 v25, v13
	v_fma_f32 v32, v5, s47, -v14
	v_rndne_f32_e32 v37, v14
	v_fmac_f32_e32 v20, 0x32a5705f, v6
	v_sub_f32_e32 v13, v13, v25
	v_fmac_f32_e32 v32, 0x32a5705f, v5
	v_sub_f32_e32 v14, v14, v37
	v_add_f32_e32 v13, v13, v20
	v_cvt_i32_f32_e32 v25, v25
	v_add_f32_e32 v14, v14, v32
	v_exp_f32_e32 v13, v13
	v_cvt_i32_f32_e32 v37, v37
	v_exp_f32_e32 v14, v14
	v_cmp_ngt_f32_e32 vcc, s65, v6
	v_ldexp_f32 v3, v13, v25
	v_ldexp_f32 v13, v14, v37
	v_cndmask_b32_e32 v3, 0, v3, vcc
	v_cmp_ngt_f32_e32 vcc, s65, v5
	s_nop 1
	v_cndmask_b32_e32 v13, 0, v13, vcc
	v_cmp_nlt_f32_e32 vcc, s91, v6
	s_nop 1
	v_cndmask_b32_e32 v3, v227, v3, vcc
	v_cmp_le_f32_e32 vcc, s92, v6
	s_nop 1
	v_cndmask_b32_e32 v3, 0, v3, vcc
	v_cvt_f16_f32_e32 v6, v3
	v_cmp_nlt_f32_e32 vcc, s91, v5
	s_nop 1
	v_cndmask_b32_e32 v13, v227, v13, vcc
	v_fmac_f32_e32 v13, v7, v3
	v_mul_u32_u24_e32 v3, 0x10001, v6
	v_pk_mul_f16 v14, v9, v3
	v_pk_mul_f16 v10, v10, v3
	v_pk_mul_f16 v20, v15, v3
	v_pk_mul_f16 v11, v11, v3
	v_pk_mul_f16 v25, v17, v3
	v_pk_mul_f16 v16, v16, v3
	v_pk_mul_f16 v32, v18, v3
	v_pk_mul_f16 v19, v19, v3
	v_pk_mul_f16 v115, v21, v3
	v_pk_mul_f16 v24, v24, v3
	v_pk_mul_f16 v86, v22, v3
	v_pk_mul_f16 v31, v31, v3
	v_pk_mul_f16 v39, v23, v3
	v_pk_mul_f16 v44, v44, v3
	v_pk_mul_f16 v123, v26, v3
	v_pk_mul_f16 v108, v108, v3
	v_pk_mul_f16 v126, v27, v3
	v_pk_mul_f16 v91, v91, v3
	v_pk_mul_f16 v129, v28, v3
	v_pk_mul_f16 v84, v84, v3
	v_pk_mul_f16 v133, v29, v3
	v_pk_mul_f16 v1, v1, v3
	v_pk_mul_f16 v100, v30, v3
	v_pk_mul_f16 v47, v47, v3
	v_pk_mul_f16 v28, v33, v3
	v_pk_mul_f16 v85, v85, v3
	v_pk_mul_f16 v27, v34, v3
	v_pk_mul_f16 v97, v97, v3
	v_pk_mul_f16 v9, v36, v3
	v_pk_mul_f16 v35, v35, v3
	v_pk_mul_f16 v5, v2, v3
	v_pk_mul_f16 v4, v4, v3
	v_mov_b64_e32 v[6:7], v[12:13]
.LBB31_189:                             ;   in Loop: Header=BB31_12 Depth=1
	s_or_b64 exec, exec, s[10:11]
	s_and_saveexec_b64 s[10:11], s[6:7]
; %bb.190:                              ;   in Loop: Header=BB31_12 Depth=1
	v_add_u32_e32 v2, 0, v209
	ds_write2_b32 v2, v6, v7 offset0:128 offset1:129
; %bb.191:                              ;   in Loop: Header=BB31_12 Depth=1
	s_or_b64 exec, exec, s[10:11]
	s_waitcnt lgkmcnt(0)
	s_barrier
	s_and_saveexec_b64 s[10:11], s[12:13]
	s_xor_b64 s[10:11], exec, s[10:11]
	s_cbranch_execz .LBB31_193
; %bb.192:                              ;   in Loop: Header=BB31_12 Depth=1
	s_barrier
                                        ; implicit-def: $vgpr8
.LBB31_193:                             ;   in Loop: Header=BB31_12 Depth=1
	s_andn2_saveexec_b64 s[10:11], s[10:11]
	s_cbranch_execz .LBB31_197
; %bb.194:                              ;   in Loop: Header=BB31_12 Depth=1
	v_add_u32_e32 v6, 0, v210
	ds_read_b64 v[2:3], v6 offset:512
	s_waitcnt lgkmcnt(0)
	s_barrier
	ds_bpermute_b32 v7, v8, v2
	v_max_f32_e32 v12, v2, v2
	s_waitcnt lgkmcnt(0)
	v_max_f32_e32 v7, v7, v7
	v_max_f32_e32 v7, v12, v7
	v_sub_f32_e32 v2, v2, v7
	v_mul_f32_e32 v7, 0x3fb8aa3b, v2
	v_fma_f32 v12, v2, s47, -v7
	v_rndne_f32_e32 v13, v7
	v_fmac_f32_e32 v12, 0x32a5705f, v2
	v_sub_f32_e32 v7, v7, v13
	v_add_f32_e32 v7, v7, v12
	v_cvt_i32_f32_e32 v13, v13
	v_exp_f32_e32 v7, v7
	v_cmp_ngt_f32_e32 vcc, s65, v2
	v_ldexp_f32 v7, v7, v13
	s_nop 0
	v_cndmask_b32_e32 v7, 0, v7, vcc
	v_cmp_nlt_f32_e32 vcc, s91, v2
	s_nop 1
	v_cndmask_b32_e32 v2, v227, v7, vcc
	v_mul_f32_e32 v3, v3, v2
	ds_bpermute_b32 v7, v8, v3
	s_and_saveexec_b64 s[14:15], s[8:9]
	s_cbranch_execz .LBB31_196
; %bb.195:                              ;   in Loop: Header=BB31_12 Depth=1
	s_waitcnt lgkmcnt(0)
	v_add_f32_e32 v3, v3, v7
	ds_write_b64 v6, v[2:3] offset:512
.LBB31_196:                             ;   in Loop: Header=BB31_12 Depth=1
	s_or_b64 exec, exec, s[14:15]
.LBB31_197:                             ;   in Loop: Header=BB31_12 Depth=1
	s_or_b64 exec, exec, s[10:11]
	v_add_u32_e32 v2, v107, v211
	ds_write2_b32 v2, v14, v10 offset1:1
	ds_write2_b32 v2, v20, v11 offset0:8 offset1:9
	ds_write2_b32 v2, v25, v16 offset0:16 offset1:17
	;; [unrolled: 1-line block ×15, first 2 shown]
	s_waitcnt lgkmcnt(0)
	s_barrier
	s_and_saveexec_b64 s[72:73], s[0:1]
	s_cbranch_execz .LBB31_10
; %bb.198:                              ;   in Loop: Header=BB31_12 Depth=1
	v_add_u32_e32 v1, v88, v113
	v_or_b32_e32 v2, v110, v43
	v_cmp_gt_i32_e32 vcc, s36, v1
	v_cmp_gt_i32_e64 s[10:11], s3, v2
	s_and_b64 s[74:75], vcc, s[10:11]
	v_mov_b32_e32 v2, 0x47
	s_and_saveexec_b64 s[14:15], s[74:75]
	s_cbranch_execz .LBB31_200
; %bb.199:                              ;   in Loop: Header=BB31_12 Depth=1
	ds_read2st64_b32 v[2:3], v232 offset1:1
	ds_read2st64_b32 v[4:5], v232 offset0:33 offset1:34
	ds_read2_b32 v[6:7], v212 offset0:128 offset1:129
	ds_read_b32 v8, v212 offset:8960
	v_mad_u64_u32 v[14:15], s[74:75], v1, s37, v[110:111]
	s_waitcnt lgkmcnt(3)
	v_cvt_f32_f16_sdwa v11, v2 dst_sel:DWORD dst_unused:UNUSED_PAD src0_sel:WORD_1
	v_cvt_f32_f16_e32 v10, v2
	s_waitcnt lgkmcnt(2)
	v_cvt_f32_f16_sdwa v13, v4 dst_sel:DWORD dst_unused:UNUSED_PAD src0_sel:WORD_1
	v_cvt_f32_f16_e32 v12, v4
	v_cvt_f32_f16_sdwa v15, v3 dst_sel:DWORD dst_unused:UNUSED_PAD src0_sel:WORD_1
	s_waitcnt lgkmcnt(1)
	v_pk_fma_f32 v[10:11], v[6:7], v[10:11], 0 op_sel_hi:[0,1,0]
	s_waitcnt lgkmcnt(0)
	v_pk_fma_f32 v[10:11], v[8:9], v[12:13], v[10:11] op_sel_hi:[0,1,1]
	v_div_scale_f32 v1, s[74:75], v7, v7, v11
	v_rcp_f32_e32 v2, v1
	v_lshl_add_u32 v12, v14, 7, v40
	v_ashrrev_i32_e32 v13, 31, v12
	v_lshl_add_u64 v[12:13], v[12:13], 3, v[156:157]
	v_fma_f32 v4, -v1, v2, 1.0
	v_fmac_f32_e32 v2, v4, v2
	v_div_scale_f32 v4, vcc, v11, v7, v11
	v_mul_f32_e32 v9, v4, v2
	v_fma_f32 v14, -v1, v9, v4
	v_fmac_f32_e32 v9, v14, v2
	v_fma_f32 v1, -v1, v9, v4
	v_div_scale_f32 v4, s[74:75], v7, v7, v10
	v_rcp_f32_e32 v16, v4
	v_div_fmas_f32 v1, v1, v2, v9
	v_div_fixup_f32 v9, v1, v7, v11
	v_cvt_f32_f16_e32 v14, v3
	v_fma_f32 v1, -v4, v16, 1.0
	v_fmac_f32_e32 v16, v1, v16
	v_div_scale_f32 v1, vcc, v10, v7, v10
	v_mul_f32_e32 v11, v1, v16
	v_cvt_f32_f16_sdwa v3, v5 dst_sel:DWORD dst_unused:UNUSED_PAD src0_sel:WORD_1
	v_cvt_f32_f16_e32 v2, v5
	v_fma_f32 v17, -v4, v11, v1
	v_fmac_f32_e32 v11, v17, v16
	v_fma_f32 v1, -v4, v11, v1
	v_pk_fma_f32 v[4:5], v[6:7], v[14:15], 0 op_sel_hi:[0,1,0]
	v_pk_fma_f32 v[2:3], v[8:9], v[2:3], v[4:5] op_sel_hi:[0,1,1]
	v_div_scale_f32 v4, s[74:75], v7, v7, v3
	v_rcp_f32_e32 v5, v4
	v_div_fmas_f32 v1, v1, v16, v11
	v_div_fixup_f32 v8, v1, v7, v10
	global_store_dwordx2 v[12:13], v[8:9], off
	v_fma_f32 v1, -v4, v5, 1.0
	v_fmac_f32_e32 v5, v1, v5
	v_div_scale_f32 v1, vcc, v3, v7, v3
	v_mul_f32_e32 v6, v1, v5
	v_fma_f32 v8, -v4, v6, v1
	v_fmac_f32_e32 v6, v8, v5
	v_fma_f32 v1, -v4, v6, v1
	v_div_scale_f32 v4, s[74:75], v7, v7, v2
	v_rcp_f32_e32 v8, v4
	v_div_fmas_f32 v1, v1, v5, v6
	v_div_fixup_f32 v3, v1, v7, v3
	v_fma_f32 v1, -v4, v8, 1.0
	v_fmac_f32_e32 v8, v1, v8
	v_div_scale_f32 v1, vcc, v2, v7, v2
	v_mul_f32_e32 v5, v1, v8
	v_fma_f32 v6, -v4, v5, v1
	v_fmac_f32_e32 v5, v6, v8
	v_fma_f32 v1, -v4, v5, v1
	v_div_fmas_f32 v1, v1, v8, v5
	v_div_fixup_f32 v2, v1, v7, v2
	global_store_dwordx2 v[12:13], v[2:3], off offset:512
	v_mov_b32_e32 v2, 0
.LBB31_200:                             ;   in Loop: Header=BB31_12 Depth=1
	s_or_b64 exec, exec, s[14:15]
	v_cmp_gt_i32_e32 vcc, s94, v2
	s_mov_b64 s[14:15], -1
	s_and_saveexec_b64 s[74:75], vcc
; %bb.201:                              ;   in Loop: Header=BB31_12 Depth=1
	v_cmp_eq_u32_e32 vcc, 0, v2
	s_orn2_b64 s[14:15], vcc, exec
; %bb.202:                              ;   in Loop: Header=BB31_12 Depth=1
	s_or_b64 exec, exec, s[74:75]
	s_and_b64 exec, exec, s[14:15]
	s_cbranch_execz .LBB31_10
; %bb.203:                              ;   in Loop: Header=BB31_12 Depth=1
	v_add_u32_e32 v1, v230, v113
	v_or_b32_e32 v2, v82, v43
	v_cmp_gt_i32_e32 vcc, s36, v1
	v_cmp_gt_i32_e64 s[14:15], s3, v2
	s_and_b64 s[74:75], vcc, s[14:15]
	v_mov_b32_e32 v2, 0x47
	s_and_saveexec_b64 s[14:15], s[74:75]
	s_cbranch_execz .LBB31_205
; %bb.204:                              ;   in Loop: Header=BB31_12 Depth=1
	ds_read2st64_b32 v[2:3], v233 offset1:1
	ds_read2st64_b32 v[4:5], v233 offset0:33 offset1:34
	v_accvgpr_read_b32 v8, a18
	ds_read2_b32 v[6:7], v8 offset0:128 offset1:129
	ds_read_b32 v8, v8 offset:8960
	v_mad_u64_u32 v[14:15], s[74:75], v1, s37, v[82:83]
	s_waitcnt lgkmcnt(3)
	v_cvt_f32_f16_sdwa v11, v2 dst_sel:DWORD dst_unused:UNUSED_PAD src0_sel:WORD_1
	v_cvt_f32_f16_e32 v10, v2
	s_waitcnt lgkmcnt(2)
	v_cvt_f32_f16_sdwa v13, v4 dst_sel:DWORD dst_unused:UNUSED_PAD src0_sel:WORD_1
	v_cvt_f32_f16_e32 v12, v4
	v_cvt_f32_f16_sdwa v15, v3 dst_sel:DWORD dst_unused:UNUSED_PAD src0_sel:WORD_1
	s_waitcnt lgkmcnt(1)
	v_pk_fma_f32 v[10:11], v[6:7], v[10:11], 0 op_sel_hi:[0,1,0]
	s_waitcnt lgkmcnt(0)
	v_pk_fma_f32 v[10:11], v[8:9], v[12:13], v[10:11] op_sel_hi:[0,1,1]
	v_div_scale_f32 v1, s[74:75], v7, v7, v11
	v_rcp_f32_e32 v2, v1
	v_lshl_add_u32 v12, v14, 7, v40
	v_ashrrev_i32_e32 v13, 31, v12
	v_lshl_add_u64 v[12:13], v[12:13], 3, v[156:157]
	v_fma_f32 v4, -v1, v2, 1.0
	v_fmac_f32_e32 v2, v4, v2
	v_div_scale_f32 v4, vcc, v11, v7, v11
	v_mul_f32_e32 v9, v4, v2
	v_fma_f32 v14, -v1, v9, v4
	v_fmac_f32_e32 v9, v14, v2
	v_fma_f32 v1, -v1, v9, v4
	v_div_scale_f32 v4, s[74:75], v7, v7, v10
	v_rcp_f32_e32 v16, v4
	v_div_fmas_f32 v1, v1, v2, v9
	v_div_fixup_f32 v9, v1, v7, v11
	v_cvt_f32_f16_e32 v14, v3
	v_fma_f32 v1, -v4, v16, 1.0
	v_fmac_f32_e32 v16, v1, v16
	v_div_scale_f32 v1, vcc, v10, v7, v10
	v_mul_f32_e32 v11, v1, v16
	v_cvt_f32_f16_sdwa v3, v5 dst_sel:DWORD dst_unused:UNUSED_PAD src0_sel:WORD_1
	v_cvt_f32_f16_e32 v2, v5
	v_fma_f32 v17, -v4, v11, v1
	v_fmac_f32_e32 v11, v17, v16
	v_fma_f32 v1, -v4, v11, v1
	v_pk_fma_f32 v[4:5], v[6:7], v[14:15], 0 op_sel_hi:[0,1,0]
	v_pk_fma_f32 v[2:3], v[8:9], v[2:3], v[4:5] op_sel_hi:[0,1,1]
	v_div_scale_f32 v4, s[74:75], v7, v7, v3
	v_rcp_f32_e32 v5, v4
	v_div_fmas_f32 v1, v1, v16, v11
	v_div_fixup_f32 v8, v1, v7, v10
	global_store_dwordx2 v[12:13], v[8:9], off
	v_fma_f32 v1, -v4, v5, 1.0
	v_fmac_f32_e32 v5, v1, v5
	v_div_scale_f32 v1, vcc, v3, v7, v3
	v_mul_f32_e32 v6, v1, v5
	v_fma_f32 v8, -v4, v6, v1
	v_fmac_f32_e32 v6, v8, v5
	v_fma_f32 v1, -v4, v6, v1
	v_div_scale_f32 v4, s[74:75], v7, v7, v2
	v_rcp_f32_e32 v8, v4
	v_div_fmas_f32 v1, v1, v5, v6
	v_div_fixup_f32 v3, v1, v7, v3
	v_fma_f32 v1, -v4, v8, 1.0
	v_fmac_f32_e32 v8, v1, v8
	v_div_scale_f32 v1, vcc, v2, v7, v2
	v_mul_f32_e32 v5, v1, v8
	v_fma_f32 v6, -v4, v5, v1
	v_fmac_f32_e32 v5, v6, v8
	v_fma_f32 v1, -v4, v5, v1
	v_div_fmas_f32 v1, v1, v8, v5
	v_div_fixup_f32 v2, v1, v7, v2
	global_store_dwordx2 v[12:13], v[2:3], off offset:512
	v_mov_b32_e32 v2, 0
.LBB31_205:                             ;   in Loop: Header=BB31_12 Depth=1
	s_or_b64 exec, exec, s[14:15]
	v_cmp_gt_i32_e32 vcc, s94, v2
	s_mov_b64 s[14:15], -1
	s_and_saveexec_b64 s[74:75], vcc
; %bb.206:                              ;   in Loop: Header=BB31_12 Depth=1
	v_cmp_eq_u32_e32 vcc, 0, v2
	s_orn2_b64 s[14:15], vcc, exec
; %bb.207:                              ;   in Loop: Header=BB31_12 Depth=1
	s_or_b64 exec, exec, s[74:75]
	s_and_b64 exec, exec, s[14:15]
	s_cbranch_execz .LBB31_10
; %bb.208:                              ;   in Loop: Header=BB31_12 Depth=1
	v_accvgpr_read_b32 v1, a54
	v_accvgpr_read_b32 v2, a56
	v_add_u32_e32 v1, v1, v113
	v_or_b32_e32 v2, v2, v43
	v_cmp_gt_i32_e32 vcc, s36, v1
	v_cmp_gt_i32_e64 s[14:15], s3, v2
	s_and_b64 s[74:75], vcc, s[14:15]
	v_mov_b32_e32 v2, 0x47
	s_and_saveexec_b64 s[14:15], s[74:75]
	s_cbranch_execz .LBB31_210
; %bb.209:                              ;   in Loop: Header=BB31_12 Depth=1
	v_accvgpr_read_b32 v4, a36
	ds_read2st64_b32 v[2:3], v4 offset1:1
	ds_read2st64_b32 v[4:5], v4 offset0:33 offset1:34
	v_accvgpr_read_b32 v8, a19
	ds_read2_b32 v[6:7], v8 offset0:128 offset1:129
	ds_read_b32 v8, v8 offset:8960
	s_waitcnt lgkmcnt(3)
	v_cvt_f32_f16_sdwa v11, v2 dst_sel:DWORD dst_unused:UNUSED_PAD src0_sel:WORD_1
	v_cvt_f32_f16_e32 v10, v2
	s_waitcnt lgkmcnt(2)
	v_cvt_f32_f16_sdwa v13, v4 dst_sel:DWORD dst_unused:UNUSED_PAD src0_sel:WORD_1
	v_cvt_f32_f16_e32 v12, v4
	v_accvgpr_read_b32 v2, a56
	s_waitcnt lgkmcnt(1)
	v_pk_fma_f32 v[10:11], v[6:7], v[10:11], 0 op_sel_hi:[0,1,0]
	v_mad_u64_u32 v[14:15], s[74:75], v1, s37, v[2:3]
	s_waitcnt lgkmcnt(0)
	v_pk_fma_f32 v[10:11], v[8:9], v[12:13], v[10:11] op_sel_hi:[0,1,1]
	v_div_scale_f32 v1, s[74:75], v7, v7, v11
	v_rcp_f32_e32 v2, v1
	v_lshl_add_u32 v12, v14, 7, v40
	v_cvt_f32_f16_sdwa v15, v3 dst_sel:DWORD dst_unused:UNUSED_PAD src0_sel:WORD_1
	v_ashrrev_i32_e32 v13, 31, v12
	v_fma_f32 v4, -v1, v2, 1.0
	v_fmac_f32_e32 v2, v4, v2
	v_div_scale_f32 v4, vcc, v11, v7, v11
	v_mul_f32_e32 v9, v4, v2
	v_fma_f32 v14, -v1, v9, v4
	v_fmac_f32_e32 v9, v14, v2
	v_fma_f32 v1, -v1, v9, v4
	v_div_scale_f32 v4, s[74:75], v7, v7, v10
	v_rcp_f32_e32 v16, v4
	v_div_fmas_f32 v1, v1, v2, v9
	v_div_fixup_f32 v9, v1, v7, v11
	v_cvt_f32_f16_e32 v14, v3
	v_fma_f32 v1, -v4, v16, 1.0
	v_fmac_f32_e32 v16, v1, v16
	v_div_scale_f32 v1, vcc, v10, v7, v10
	v_mul_f32_e32 v11, v1, v16
	v_cvt_f32_f16_sdwa v3, v5 dst_sel:DWORD dst_unused:UNUSED_PAD src0_sel:WORD_1
	v_cvt_f32_f16_e32 v2, v5
	v_fma_f32 v17, -v4, v11, v1
	v_fmac_f32_e32 v11, v17, v16
	v_fma_f32 v1, -v4, v11, v1
	v_pk_fma_f32 v[4:5], v[6:7], v[14:15], 0 op_sel_hi:[0,1,0]
	v_pk_fma_f32 v[2:3], v[8:9], v[2:3], v[4:5] op_sel_hi:[0,1,1]
	v_div_scale_f32 v4, s[74:75], v7, v7, v3
	v_rcp_f32_e32 v5, v4
	v_div_fmas_f32 v1, v1, v16, v11
	v_div_fixup_f32 v8, v1, v7, v10
	v_lshl_add_u64 v[12:13], v[12:13], 3, v[156:157]
	v_fma_f32 v1, -v4, v5, 1.0
	v_fmac_f32_e32 v5, v1, v5
	v_div_scale_f32 v1, vcc, v3, v7, v3
	v_mul_f32_e32 v6, v1, v5
	global_store_dwordx2 v[12:13], v[8:9], off
	v_fma_f32 v8, -v4, v6, v1
	v_fmac_f32_e32 v6, v8, v5
	v_fma_f32 v1, -v4, v6, v1
	v_div_scale_f32 v4, s[74:75], v7, v7, v2
	v_rcp_f32_e32 v8, v4
	v_div_fmas_f32 v1, v1, v5, v6
	v_div_fixup_f32 v3, v1, v7, v3
	v_fma_f32 v1, -v4, v8, 1.0
	v_fmac_f32_e32 v8, v1, v8
	v_div_scale_f32 v1, vcc, v2, v7, v2
	v_mul_f32_e32 v5, v1, v8
	v_fma_f32 v6, -v4, v5, v1
	v_fmac_f32_e32 v5, v6, v8
	v_fma_f32 v1, -v4, v5, v1
	v_div_fmas_f32 v1, v1, v8, v5
	v_div_fixup_f32 v2, v1, v7, v2
	global_store_dwordx2 v[12:13], v[2:3], off offset:512
	v_mov_b32_e32 v2, 0
.LBB31_210:                             ;   in Loop: Header=BB31_12 Depth=1
	s_or_b64 exec, exec, s[14:15]
	v_cmp_gt_i32_e32 vcc, s94, v2
	s_mov_b64 s[14:15], -1
	s_and_saveexec_b64 s[74:75], vcc
; %bb.211:                              ;   in Loop: Header=BB31_12 Depth=1
	v_cmp_eq_u32_e32 vcc, 0, v2
	s_orn2_b64 s[14:15], vcc, exec
; %bb.212:                              ;   in Loop: Header=BB31_12 Depth=1
	s_or_b64 exec, exec, s[74:75]
	s_and_b64 exec, exec, s[14:15]
	s_cbranch_execz .LBB31_10
; %bb.213:                              ;   in Loop: Header=BB31_12 Depth=1
	v_accvgpr_read_b32 v1, a55
	v_accvgpr_read_b32 v2, a58
	v_add_u32_e32 v1, v1, v113
	v_or_b32_e32 v2, v2, v43
	v_cmp_gt_i32_e32 vcc, s36, v1
	v_cmp_gt_i32_e64 s[14:15], s3, v2
	s_and_b64 s[74:75], vcc, s[14:15]
	v_mov_b32_e32 v2, 0x47
	s_and_saveexec_b64 s[14:15], s[74:75]
	s_cbranch_execz .LBB31_215
; %bb.214:                              ;   in Loop: Header=BB31_12 Depth=1
	v_accvgpr_read_b32 v4, a37
	ds_read2st64_b32 v[2:3], v4 offset1:1
	ds_read2st64_b32 v[4:5], v4 offset0:33 offset1:34
	v_accvgpr_read_b32 v8, a20
	ds_read2_b32 v[6:7], v8 offset0:128 offset1:129
	ds_read_b32 v8, v8 offset:8960
	s_waitcnt lgkmcnt(3)
	v_cvt_f32_f16_sdwa v11, v2 dst_sel:DWORD dst_unused:UNUSED_PAD src0_sel:WORD_1
	v_cvt_f32_f16_e32 v10, v2
	s_waitcnt lgkmcnt(2)
	v_cvt_f32_f16_sdwa v13, v4 dst_sel:DWORD dst_unused:UNUSED_PAD src0_sel:WORD_1
	v_cvt_f32_f16_e32 v12, v4
	v_accvgpr_read_b32 v2, a58
	s_waitcnt lgkmcnt(1)
	v_pk_fma_f32 v[10:11], v[6:7], v[10:11], 0 op_sel_hi:[0,1,0]
	v_mad_u64_u32 v[14:15], s[74:75], v1, s37, v[2:3]
	s_waitcnt lgkmcnt(0)
	v_pk_fma_f32 v[10:11], v[8:9], v[12:13], v[10:11] op_sel_hi:[0,1,1]
	v_div_scale_f32 v1, s[74:75], v7, v7, v11
	v_rcp_f32_e32 v2, v1
	v_lshl_add_u32 v12, v14, 7, v40
	v_cvt_f32_f16_sdwa v15, v3 dst_sel:DWORD dst_unused:UNUSED_PAD src0_sel:WORD_1
	v_ashrrev_i32_e32 v13, 31, v12
	v_fma_f32 v4, -v1, v2, 1.0
	v_fmac_f32_e32 v2, v4, v2
	v_div_scale_f32 v4, vcc, v11, v7, v11
	v_mul_f32_e32 v9, v4, v2
	v_fma_f32 v14, -v1, v9, v4
	v_fmac_f32_e32 v9, v14, v2
	v_fma_f32 v1, -v1, v9, v4
	v_div_scale_f32 v4, s[74:75], v7, v7, v10
	v_rcp_f32_e32 v16, v4
	v_div_fmas_f32 v1, v1, v2, v9
	v_div_fixup_f32 v9, v1, v7, v11
	v_cvt_f32_f16_e32 v14, v3
	v_fma_f32 v1, -v4, v16, 1.0
	v_fmac_f32_e32 v16, v1, v16
	v_div_scale_f32 v1, vcc, v10, v7, v10
	v_mul_f32_e32 v11, v1, v16
	v_cvt_f32_f16_sdwa v3, v5 dst_sel:DWORD dst_unused:UNUSED_PAD src0_sel:WORD_1
	v_cvt_f32_f16_e32 v2, v5
	v_fma_f32 v17, -v4, v11, v1
	v_fmac_f32_e32 v11, v17, v16
	v_fma_f32 v1, -v4, v11, v1
	v_pk_fma_f32 v[4:5], v[6:7], v[14:15], 0 op_sel_hi:[0,1,0]
	v_pk_fma_f32 v[2:3], v[8:9], v[2:3], v[4:5] op_sel_hi:[0,1,1]
	v_div_scale_f32 v4, s[74:75], v7, v7, v3
	v_rcp_f32_e32 v5, v4
	v_div_fmas_f32 v1, v1, v16, v11
	v_div_fixup_f32 v8, v1, v7, v10
	v_lshl_add_u64 v[12:13], v[12:13], 3, v[156:157]
	v_fma_f32 v1, -v4, v5, 1.0
	v_fmac_f32_e32 v5, v1, v5
	v_div_scale_f32 v1, vcc, v3, v7, v3
	v_mul_f32_e32 v6, v1, v5
	global_store_dwordx2 v[12:13], v[8:9], off
	v_fma_f32 v8, -v4, v6, v1
	v_fmac_f32_e32 v6, v8, v5
	v_fma_f32 v1, -v4, v6, v1
	v_div_scale_f32 v4, s[74:75], v7, v7, v2
	v_rcp_f32_e32 v8, v4
	v_div_fmas_f32 v1, v1, v5, v6
	v_div_fixup_f32 v3, v1, v7, v3
	v_fma_f32 v1, -v4, v8, 1.0
	v_fmac_f32_e32 v8, v1, v8
	v_div_scale_f32 v1, vcc, v2, v7, v2
	v_mul_f32_e32 v5, v1, v8
	v_fma_f32 v6, -v4, v5, v1
	v_fmac_f32_e32 v5, v6, v8
	v_fma_f32 v1, -v4, v5, v1
	v_div_fmas_f32 v1, v1, v8, v5
	v_div_fixup_f32 v2, v1, v7, v2
	global_store_dwordx2 v[12:13], v[2:3], off offset:512
	v_mov_b32_e32 v2, 0
.LBB31_215:                             ;   in Loop: Header=BB31_12 Depth=1
	s_or_b64 exec, exec, s[14:15]
	v_cmp_gt_i32_e32 vcc, s94, v2
	s_mov_b64 s[14:15], -1
	s_and_saveexec_b64 s[74:75], vcc
; %bb.216:                              ;   in Loop: Header=BB31_12 Depth=1
	v_cmp_eq_u32_e32 vcc, 0, v2
	s_orn2_b64 s[14:15], vcc, exec
; %bb.217:                              ;   in Loop: Header=BB31_12 Depth=1
	s_or_b64 exec, exec, s[74:75]
	s_and_b64 exec, exec, s[14:15]
	s_cbranch_execz .LBB31_10
; %bb.218:                              ;   in Loop: Header=BB31_12 Depth=1
	v_accvgpr_read_b32 v1, a21
	v_add_u32_e32 v1, v1, v113
	v_cmp_gt_i32_e32 vcc, s36, v1
	s_and_b64 s[74:75], vcc, s[10:11]
	v_mov_b32_e32 v2, 0x47
	s_and_saveexec_b64 s[14:15], s[74:75]
	s_cbranch_execz .LBB31_220
; %bb.219:                              ;   in Loop: Header=BB31_12 Depth=1
	v_accvgpr_read_b32 v4, a38
	ds_read2st64_b32 v[2:3], v4 offset1:1
	ds_read2st64_b32 v[4:5], v4 offset0:33 offset1:34
	v_accvgpr_read_b32 v8, a22
	ds_read2_b32 v[6:7], v8 offset0:128 offset1:129
	ds_read_b32 v8, v8 offset:8960
	v_mad_u64_u32 v[14:15], s[74:75], v1, s37, v[110:111]
	s_waitcnt lgkmcnt(3)
	v_cvt_f32_f16_sdwa v11, v2 dst_sel:DWORD dst_unused:UNUSED_PAD src0_sel:WORD_1
	v_cvt_f32_f16_e32 v10, v2
	s_waitcnt lgkmcnt(2)
	v_cvt_f32_f16_sdwa v13, v4 dst_sel:DWORD dst_unused:UNUSED_PAD src0_sel:WORD_1
	v_cvt_f32_f16_e32 v12, v4
	v_cvt_f32_f16_sdwa v15, v3 dst_sel:DWORD dst_unused:UNUSED_PAD src0_sel:WORD_1
	s_waitcnt lgkmcnt(1)
	v_pk_fma_f32 v[10:11], v[6:7], v[10:11], 0 op_sel_hi:[0,1,0]
	s_waitcnt lgkmcnt(0)
	v_pk_fma_f32 v[10:11], v[8:9], v[12:13], v[10:11] op_sel_hi:[0,1,1]
	v_div_scale_f32 v1, s[74:75], v7, v7, v11
	v_rcp_f32_e32 v2, v1
	v_lshl_add_u32 v12, v14, 7, v40
	v_ashrrev_i32_e32 v13, 31, v12
	v_lshl_add_u64 v[12:13], v[12:13], 3, v[156:157]
	v_fma_f32 v4, -v1, v2, 1.0
	v_fmac_f32_e32 v2, v4, v2
	v_div_scale_f32 v4, vcc, v11, v7, v11
	v_mul_f32_e32 v9, v4, v2
	v_fma_f32 v14, -v1, v9, v4
	v_fmac_f32_e32 v9, v14, v2
	v_fma_f32 v1, -v1, v9, v4
	v_div_scale_f32 v4, s[74:75], v7, v7, v10
	v_rcp_f32_e32 v16, v4
	v_div_fmas_f32 v1, v1, v2, v9
	v_div_fixup_f32 v9, v1, v7, v11
	v_cvt_f32_f16_e32 v14, v3
	v_fma_f32 v1, -v4, v16, 1.0
	v_fmac_f32_e32 v16, v1, v16
	v_div_scale_f32 v1, vcc, v10, v7, v10
	v_mul_f32_e32 v11, v1, v16
	v_cvt_f32_f16_sdwa v3, v5 dst_sel:DWORD dst_unused:UNUSED_PAD src0_sel:WORD_1
	v_cvt_f32_f16_e32 v2, v5
	v_fma_f32 v17, -v4, v11, v1
	v_fmac_f32_e32 v11, v17, v16
	v_fma_f32 v1, -v4, v11, v1
	v_pk_fma_f32 v[4:5], v[6:7], v[14:15], 0 op_sel_hi:[0,1,0]
	v_pk_fma_f32 v[2:3], v[8:9], v[2:3], v[4:5] op_sel_hi:[0,1,1]
	v_div_scale_f32 v4, s[74:75], v7, v7, v3
	v_rcp_f32_e32 v5, v4
	v_div_fmas_f32 v1, v1, v16, v11
	v_div_fixup_f32 v8, v1, v7, v10
	global_store_dwordx2 v[12:13], v[8:9], off
	v_fma_f32 v1, -v4, v5, 1.0
	v_fmac_f32_e32 v5, v1, v5
	v_div_scale_f32 v1, vcc, v3, v7, v3
	v_mul_f32_e32 v6, v1, v5
	v_fma_f32 v8, -v4, v6, v1
	v_fmac_f32_e32 v6, v8, v5
	v_fma_f32 v1, -v4, v6, v1
	v_div_scale_f32 v4, s[74:75], v7, v7, v2
	v_rcp_f32_e32 v8, v4
	v_div_fmas_f32 v1, v1, v5, v6
	v_div_fixup_f32 v3, v1, v7, v3
	v_fma_f32 v1, -v4, v8, 1.0
	v_fmac_f32_e32 v8, v1, v8
	v_div_scale_f32 v1, vcc, v2, v7, v2
	v_mul_f32_e32 v5, v1, v8
	v_fma_f32 v6, -v4, v5, v1
	v_fmac_f32_e32 v5, v6, v8
	v_fma_f32 v1, -v4, v5, v1
	v_div_fmas_f32 v1, v1, v8, v5
	v_div_fixup_f32 v2, v1, v7, v2
	global_store_dwordx2 v[12:13], v[2:3], off offset:512
	v_mov_b32_e32 v2, 0
.LBB31_220:                             ;   in Loop: Header=BB31_12 Depth=1
	s_or_b64 exec, exec, s[14:15]
	v_cmp_gt_i32_e32 vcc, s94, v2
	s_mov_b64 s[14:15], -1
	s_and_saveexec_b64 s[74:75], vcc
; %bb.221:                              ;   in Loop: Header=BB31_12 Depth=1
	v_cmp_eq_u32_e32 vcc, 0, v2
	s_orn2_b64 s[14:15], vcc, exec
; %bb.222:                              ;   in Loop: Header=BB31_12 Depth=1
	s_or_b64 exec, exec, s[74:75]
	s_and_b64 exec, exec, s[14:15]
	s_cbranch_execz .LBB31_10
; %bb.223:                              ;   in Loop: Header=BB31_12 Depth=1
	v_accvgpr_read_b32 v1, a57
	v_accvgpr_read_b32 v2, a60
	v_add_u32_e32 v1, v1, v113
	v_or_b32_e32 v2, v2, v43
	v_cmp_gt_i32_e32 vcc, s36, v1
	v_cmp_gt_i32_e64 s[14:15], s3, v2
	s_and_b64 s[74:75], vcc, s[14:15]
	v_mov_b32_e32 v2, 0x47
	s_and_saveexec_b64 s[14:15], s[74:75]
	s_cbranch_execz .LBB31_225
; %bb.224:                              ;   in Loop: Header=BB31_12 Depth=1
	v_accvgpr_read_b32 v4, a39
	ds_read2st64_b32 v[2:3], v4 offset1:1
	ds_read2st64_b32 v[4:5], v4 offset0:33 offset1:34
	v_accvgpr_read_b32 v8, a23
	ds_read2_b32 v[6:7], v8 offset0:128 offset1:129
	ds_read_b32 v8, v8 offset:8960
	s_waitcnt lgkmcnt(3)
	v_cvt_f32_f16_sdwa v11, v2 dst_sel:DWORD dst_unused:UNUSED_PAD src0_sel:WORD_1
	v_cvt_f32_f16_e32 v10, v2
	s_waitcnt lgkmcnt(2)
	v_cvt_f32_f16_sdwa v13, v4 dst_sel:DWORD dst_unused:UNUSED_PAD src0_sel:WORD_1
	v_cvt_f32_f16_e32 v12, v4
	v_accvgpr_read_b32 v2, a60
	s_waitcnt lgkmcnt(1)
	v_pk_fma_f32 v[10:11], v[6:7], v[10:11], 0 op_sel_hi:[0,1,0]
	v_mad_u64_u32 v[14:15], s[74:75], v1, s37, v[2:3]
	s_waitcnt lgkmcnt(0)
	v_pk_fma_f32 v[10:11], v[8:9], v[12:13], v[10:11] op_sel_hi:[0,1,1]
	v_div_scale_f32 v1, s[74:75], v7, v7, v11
	v_rcp_f32_e32 v2, v1
	v_lshl_add_u32 v12, v14, 7, v40
	v_cvt_f32_f16_sdwa v15, v3 dst_sel:DWORD dst_unused:UNUSED_PAD src0_sel:WORD_1
	v_ashrrev_i32_e32 v13, 31, v12
	v_fma_f32 v4, -v1, v2, 1.0
	v_fmac_f32_e32 v2, v4, v2
	v_div_scale_f32 v4, vcc, v11, v7, v11
	v_mul_f32_e32 v9, v4, v2
	v_fma_f32 v14, -v1, v9, v4
	v_fmac_f32_e32 v9, v14, v2
	v_fma_f32 v1, -v1, v9, v4
	v_div_scale_f32 v4, s[74:75], v7, v7, v10
	v_rcp_f32_e32 v16, v4
	v_div_fmas_f32 v1, v1, v2, v9
	v_div_fixup_f32 v9, v1, v7, v11
	v_cvt_f32_f16_e32 v14, v3
	v_fma_f32 v1, -v4, v16, 1.0
	v_fmac_f32_e32 v16, v1, v16
	v_div_scale_f32 v1, vcc, v10, v7, v10
	v_mul_f32_e32 v11, v1, v16
	v_cvt_f32_f16_sdwa v3, v5 dst_sel:DWORD dst_unused:UNUSED_PAD src0_sel:WORD_1
	v_cvt_f32_f16_e32 v2, v5
	v_fma_f32 v17, -v4, v11, v1
	v_fmac_f32_e32 v11, v17, v16
	v_fma_f32 v1, -v4, v11, v1
	v_pk_fma_f32 v[4:5], v[6:7], v[14:15], 0 op_sel_hi:[0,1,0]
	v_pk_fma_f32 v[2:3], v[8:9], v[2:3], v[4:5] op_sel_hi:[0,1,1]
	v_div_scale_f32 v4, s[74:75], v7, v7, v3
	v_rcp_f32_e32 v5, v4
	v_div_fmas_f32 v1, v1, v16, v11
	v_div_fixup_f32 v8, v1, v7, v10
	v_lshl_add_u64 v[12:13], v[12:13], 3, v[156:157]
	v_fma_f32 v1, -v4, v5, 1.0
	v_fmac_f32_e32 v5, v1, v5
	v_div_scale_f32 v1, vcc, v3, v7, v3
	v_mul_f32_e32 v6, v1, v5
	global_store_dwordx2 v[12:13], v[8:9], off
	v_fma_f32 v8, -v4, v6, v1
	v_fmac_f32_e32 v6, v8, v5
	v_fma_f32 v1, -v4, v6, v1
	v_div_scale_f32 v4, s[74:75], v7, v7, v2
	v_rcp_f32_e32 v8, v4
	v_div_fmas_f32 v1, v1, v5, v6
	v_div_fixup_f32 v3, v1, v7, v3
	v_fma_f32 v1, -v4, v8, 1.0
	v_fmac_f32_e32 v8, v1, v8
	v_div_scale_f32 v1, vcc, v2, v7, v2
	v_mul_f32_e32 v5, v1, v8
	v_fma_f32 v6, -v4, v5, v1
	v_fmac_f32_e32 v5, v6, v8
	v_fma_f32 v1, -v4, v5, v1
	v_div_fmas_f32 v1, v1, v8, v5
	v_div_fixup_f32 v2, v1, v7, v2
	global_store_dwordx2 v[12:13], v[2:3], off offset:512
	v_mov_b32_e32 v2, 0
.LBB31_225:                             ;   in Loop: Header=BB31_12 Depth=1
	s_or_b64 exec, exec, s[14:15]
	v_cmp_gt_i32_e32 vcc, s94, v2
	s_mov_b64 s[14:15], -1
	s_and_saveexec_b64 s[74:75], vcc
; %bb.226:                              ;   in Loop: Header=BB31_12 Depth=1
	v_cmp_eq_u32_e32 vcc, 0, v2
	s_orn2_b64 s[14:15], vcc, exec
; %bb.227:                              ;   in Loop: Header=BB31_12 Depth=1
	s_or_b64 exec, exec, s[74:75]
	s_and_b64 exec, exec, s[14:15]
	s_cbranch_execz .LBB31_10
; %bb.228:                              ;   in Loop: Header=BB31_12 Depth=1
	v_accvgpr_read_b32 v1, a59
	v_accvgpr_read_b32 v2, a62
	v_add_u32_e32 v1, v1, v113
	v_or_b32_e32 v2, v2, v43
	v_cmp_gt_i32_e32 vcc, s36, v1
	v_cmp_gt_i32_e64 s[14:15], s3, v2
	s_and_b64 s[74:75], vcc, s[14:15]
	v_mov_b32_e32 v2, 0x47
	s_and_saveexec_b64 s[14:15], s[74:75]
	s_cbranch_execz .LBB31_230
; %bb.229:                              ;   in Loop: Header=BB31_12 Depth=1
	v_accvgpr_read_b32 v4, a40
	ds_read2st64_b32 v[2:3], v4 offset1:1
	ds_read2st64_b32 v[4:5], v4 offset0:33 offset1:34
	v_accvgpr_read_b32 v8, a24
	ds_read2_b32 v[6:7], v8 offset0:128 offset1:129
	ds_read_b32 v8, v8 offset:8960
	s_waitcnt lgkmcnt(3)
	v_cvt_f32_f16_sdwa v11, v2 dst_sel:DWORD dst_unused:UNUSED_PAD src0_sel:WORD_1
	v_cvt_f32_f16_e32 v10, v2
	s_waitcnt lgkmcnt(2)
	v_cvt_f32_f16_sdwa v13, v4 dst_sel:DWORD dst_unused:UNUSED_PAD src0_sel:WORD_1
	v_cvt_f32_f16_e32 v12, v4
	v_accvgpr_read_b32 v2, a62
	s_waitcnt lgkmcnt(1)
	v_pk_fma_f32 v[10:11], v[6:7], v[10:11], 0 op_sel_hi:[0,1,0]
	v_mad_u64_u32 v[14:15], s[74:75], v1, s37, v[2:3]
	s_waitcnt lgkmcnt(0)
	v_pk_fma_f32 v[10:11], v[8:9], v[12:13], v[10:11] op_sel_hi:[0,1,1]
	v_div_scale_f32 v1, s[74:75], v7, v7, v11
	v_rcp_f32_e32 v2, v1
	v_lshl_add_u32 v12, v14, 7, v40
	v_cvt_f32_f16_sdwa v15, v3 dst_sel:DWORD dst_unused:UNUSED_PAD src0_sel:WORD_1
	v_ashrrev_i32_e32 v13, 31, v12
	v_fma_f32 v4, -v1, v2, 1.0
	v_fmac_f32_e32 v2, v4, v2
	v_div_scale_f32 v4, vcc, v11, v7, v11
	v_mul_f32_e32 v9, v4, v2
	v_fma_f32 v14, -v1, v9, v4
	v_fmac_f32_e32 v9, v14, v2
	v_fma_f32 v1, -v1, v9, v4
	v_div_scale_f32 v4, s[74:75], v7, v7, v10
	v_rcp_f32_e32 v16, v4
	v_div_fmas_f32 v1, v1, v2, v9
	v_div_fixup_f32 v9, v1, v7, v11
	v_cvt_f32_f16_e32 v14, v3
	v_fma_f32 v1, -v4, v16, 1.0
	v_fmac_f32_e32 v16, v1, v16
	v_div_scale_f32 v1, vcc, v10, v7, v10
	v_mul_f32_e32 v11, v1, v16
	v_cvt_f32_f16_sdwa v3, v5 dst_sel:DWORD dst_unused:UNUSED_PAD src0_sel:WORD_1
	v_cvt_f32_f16_e32 v2, v5
	v_fma_f32 v17, -v4, v11, v1
	v_fmac_f32_e32 v11, v17, v16
	v_fma_f32 v1, -v4, v11, v1
	v_pk_fma_f32 v[4:5], v[6:7], v[14:15], 0 op_sel_hi:[0,1,0]
	v_pk_fma_f32 v[2:3], v[8:9], v[2:3], v[4:5] op_sel_hi:[0,1,1]
	v_div_scale_f32 v4, s[74:75], v7, v7, v3
	v_rcp_f32_e32 v5, v4
	v_div_fmas_f32 v1, v1, v16, v11
	v_div_fixup_f32 v8, v1, v7, v10
	v_lshl_add_u64 v[12:13], v[12:13], 3, v[156:157]
	v_fma_f32 v1, -v4, v5, 1.0
	v_fmac_f32_e32 v5, v1, v5
	v_div_scale_f32 v1, vcc, v3, v7, v3
	v_mul_f32_e32 v6, v1, v5
	global_store_dwordx2 v[12:13], v[8:9], off
	v_fma_f32 v8, -v4, v6, v1
	v_fmac_f32_e32 v6, v8, v5
	v_fma_f32 v1, -v4, v6, v1
	v_div_scale_f32 v4, s[74:75], v7, v7, v2
	v_rcp_f32_e32 v8, v4
	v_div_fmas_f32 v1, v1, v5, v6
	v_div_fixup_f32 v3, v1, v7, v3
	v_fma_f32 v1, -v4, v8, 1.0
	v_fmac_f32_e32 v8, v1, v8
	v_div_scale_f32 v1, vcc, v2, v7, v2
	v_mul_f32_e32 v5, v1, v8
	v_fma_f32 v6, -v4, v5, v1
	v_fmac_f32_e32 v5, v6, v8
	v_fma_f32 v1, -v4, v5, v1
	v_div_fmas_f32 v1, v1, v8, v5
	v_div_fixup_f32 v2, v1, v7, v2
	global_store_dwordx2 v[12:13], v[2:3], off offset:512
	v_mov_b32_e32 v2, 0
.LBB31_230:                             ;   in Loop: Header=BB31_12 Depth=1
	s_or_b64 exec, exec, s[14:15]
	v_cmp_gt_i32_e32 vcc, s94, v2
	s_mov_b64 s[14:15], -1
	s_and_saveexec_b64 s[74:75], vcc
; %bb.231:                              ;   in Loop: Header=BB31_12 Depth=1
	v_cmp_eq_u32_e32 vcc, 0, v2
	s_orn2_b64 s[14:15], vcc, exec
; %bb.232:                              ;   in Loop: Header=BB31_12 Depth=1
	s_or_b64 exec, exec, s[74:75]
	s_and_b64 exec, exec, s[14:15]
	s_cbranch_execz .LBB31_10
; %bb.233:                              ;   in Loop: Header=BB31_12 Depth=1
	v_accvgpr_read_b32 v1, a61
	v_accvgpr_read_b32 v2, a64
	v_add_u32_e32 v1, v1, v113
	v_or_b32_e32 v2, v2, v43
	v_cmp_gt_i32_e32 vcc, s36, v1
	v_cmp_gt_i32_e64 s[14:15], s3, v2
	s_and_b64 s[74:75], vcc, s[14:15]
	v_mov_b32_e32 v2, 0x47
	s_and_saveexec_b64 s[14:15], s[74:75]
	s_cbranch_execz .LBB31_235
; %bb.234:                              ;   in Loop: Header=BB31_12 Depth=1
	v_accvgpr_read_b32 v4, a41
	ds_read2st64_b32 v[2:3], v4 offset1:1
	ds_read2st64_b32 v[4:5], v4 offset0:33 offset1:34
	v_accvgpr_read_b32 v8, a25
	ds_read2_b32 v[6:7], v8 offset0:128 offset1:129
	ds_read_b32 v8, v8 offset:8960
	s_waitcnt lgkmcnt(3)
	v_cvt_f32_f16_sdwa v11, v2 dst_sel:DWORD dst_unused:UNUSED_PAD src0_sel:WORD_1
	v_cvt_f32_f16_e32 v10, v2
	s_waitcnt lgkmcnt(2)
	v_cvt_f32_f16_sdwa v13, v4 dst_sel:DWORD dst_unused:UNUSED_PAD src0_sel:WORD_1
	v_cvt_f32_f16_e32 v12, v4
	v_accvgpr_read_b32 v2, a64
	s_waitcnt lgkmcnt(1)
	v_pk_fma_f32 v[10:11], v[6:7], v[10:11], 0 op_sel_hi:[0,1,0]
	v_mad_u64_u32 v[14:15], s[74:75], v1, s37, v[2:3]
	s_waitcnt lgkmcnt(0)
	v_pk_fma_f32 v[10:11], v[8:9], v[12:13], v[10:11] op_sel_hi:[0,1,1]
	v_div_scale_f32 v1, s[74:75], v7, v7, v11
	v_rcp_f32_e32 v2, v1
	v_lshl_add_u32 v12, v14, 7, v40
	v_cvt_f32_f16_sdwa v15, v3 dst_sel:DWORD dst_unused:UNUSED_PAD src0_sel:WORD_1
	v_ashrrev_i32_e32 v13, 31, v12
	v_fma_f32 v4, -v1, v2, 1.0
	v_fmac_f32_e32 v2, v4, v2
	v_div_scale_f32 v4, vcc, v11, v7, v11
	v_mul_f32_e32 v9, v4, v2
	v_fma_f32 v14, -v1, v9, v4
	v_fmac_f32_e32 v9, v14, v2
	v_fma_f32 v1, -v1, v9, v4
	v_div_scale_f32 v4, s[74:75], v7, v7, v10
	v_rcp_f32_e32 v16, v4
	v_div_fmas_f32 v1, v1, v2, v9
	v_div_fixup_f32 v9, v1, v7, v11
	v_cvt_f32_f16_e32 v14, v3
	v_fma_f32 v1, -v4, v16, 1.0
	v_fmac_f32_e32 v16, v1, v16
	v_div_scale_f32 v1, vcc, v10, v7, v10
	v_mul_f32_e32 v11, v1, v16
	v_cvt_f32_f16_sdwa v3, v5 dst_sel:DWORD dst_unused:UNUSED_PAD src0_sel:WORD_1
	v_cvt_f32_f16_e32 v2, v5
	v_fma_f32 v17, -v4, v11, v1
	v_fmac_f32_e32 v11, v17, v16
	v_fma_f32 v1, -v4, v11, v1
	v_pk_fma_f32 v[4:5], v[6:7], v[14:15], 0 op_sel_hi:[0,1,0]
	v_pk_fma_f32 v[2:3], v[8:9], v[2:3], v[4:5] op_sel_hi:[0,1,1]
	v_div_scale_f32 v4, s[74:75], v7, v7, v3
	v_rcp_f32_e32 v5, v4
	v_div_fmas_f32 v1, v1, v16, v11
	v_div_fixup_f32 v8, v1, v7, v10
	v_lshl_add_u64 v[12:13], v[12:13], 3, v[156:157]
	v_fma_f32 v1, -v4, v5, 1.0
	v_fmac_f32_e32 v5, v1, v5
	v_div_scale_f32 v1, vcc, v3, v7, v3
	v_mul_f32_e32 v6, v1, v5
	global_store_dwordx2 v[12:13], v[8:9], off
	v_fma_f32 v8, -v4, v6, v1
	v_fmac_f32_e32 v6, v8, v5
	v_fma_f32 v1, -v4, v6, v1
	v_div_scale_f32 v4, s[74:75], v7, v7, v2
	v_rcp_f32_e32 v8, v4
	v_div_fmas_f32 v1, v1, v5, v6
	v_div_fixup_f32 v3, v1, v7, v3
	v_fma_f32 v1, -v4, v8, 1.0
	v_fmac_f32_e32 v8, v1, v8
	v_div_scale_f32 v1, vcc, v2, v7, v2
	v_mul_f32_e32 v5, v1, v8
	v_fma_f32 v6, -v4, v5, v1
	v_fmac_f32_e32 v5, v6, v8
	v_fma_f32 v1, -v4, v5, v1
	v_div_fmas_f32 v1, v1, v8, v5
	v_div_fixup_f32 v2, v1, v7, v2
	global_store_dwordx2 v[12:13], v[2:3], off offset:512
	v_mov_b32_e32 v2, 0
.LBB31_235:                             ;   in Loop: Header=BB31_12 Depth=1
	s_or_b64 exec, exec, s[14:15]
	v_cmp_gt_i32_e32 vcc, s94, v2
	s_mov_b64 s[14:15], -1
	s_and_saveexec_b64 s[74:75], vcc
; %bb.236:                              ;   in Loop: Header=BB31_12 Depth=1
	v_cmp_eq_u32_e32 vcc, 0, v2
	s_orn2_b64 s[14:15], vcc, exec
; %bb.237:                              ;   in Loop: Header=BB31_12 Depth=1
	s_or_b64 exec, exec, s[74:75]
	s_and_b64 exec, exec, s[14:15]
	s_cbranch_execz .LBB31_10
; %bb.238:                              ;   in Loop: Header=BB31_12 Depth=1
	v_accvgpr_read_b32 v1, a26
	v_add_u32_e32 v1, v1, v113
	v_cmp_gt_i32_e32 vcc, s36, v1
	s_and_b64 s[74:75], vcc, s[10:11]
	v_mov_b32_e32 v2, 0x47
	s_and_saveexec_b64 s[14:15], s[74:75]
	s_cbranch_execz .LBB31_240
; %bb.239:                              ;   in Loop: Header=BB31_12 Depth=1
	v_accvgpr_read_b32 v4, a42
	ds_read2st64_b32 v[2:3], v4 offset1:1
	ds_read2st64_b32 v[4:5], v4 offset0:33 offset1:34
	v_accvgpr_read_b32 v8, a27
	ds_read2_b32 v[6:7], v8 offset0:128 offset1:129
	ds_read_b32 v8, v8 offset:8960
	v_mad_u64_u32 v[14:15], s[74:75], v1, s37, v[110:111]
	s_waitcnt lgkmcnt(3)
	v_cvt_f32_f16_sdwa v11, v2 dst_sel:DWORD dst_unused:UNUSED_PAD src0_sel:WORD_1
	v_cvt_f32_f16_e32 v10, v2
	s_waitcnt lgkmcnt(2)
	v_cvt_f32_f16_sdwa v13, v4 dst_sel:DWORD dst_unused:UNUSED_PAD src0_sel:WORD_1
	v_cvt_f32_f16_e32 v12, v4
	v_cvt_f32_f16_sdwa v15, v3 dst_sel:DWORD dst_unused:UNUSED_PAD src0_sel:WORD_1
	s_waitcnt lgkmcnt(1)
	v_pk_fma_f32 v[10:11], v[6:7], v[10:11], 0 op_sel_hi:[0,1,0]
	s_waitcnt lgkmcnt(0)
	v_pk_fma_f32 v[10:11], v[8:9], v[12:13], v[10:11] op_sel_hi:[0,1,1]
	v_div_scale_f32 v1, s[74:75], v7, v7, v11
	v_rcp_f32_e32 v2, v1
	v_lshl_add_u32 v12, v14, 7, v40
	v_ashrrev_i32_e32 v13, 31, v12
	v_lshl_add_u64 v[12:13], v[12:13], 3, v[156:157]
	v_fma_f32 v4, -v1, v2, 1.0
	v_fmac_f32_e32 v2, v4, v2
	v_div_scale_f32 v4, vcc, v11, v7, v11
	v_mul_f32_e32 v9, v4, v2
	v_fma_f32 v14, -v1, v9, v4
	v_fmac_f32_e32 v9, v14, v2
	v_fma_f32 v1, -v1, v9, v4
	v_div_scale_f32 v4, s[74:75], v7, v7, v10
	v_rcp_f32_e32 v16, v4
	v_div_fmas_f32 v1, v1, v2, v9
	v_div_fixup_f32 v9, v1, v7, v11
	v_cvt_f32_f16_e32 v14, v3
	v_fma_f32 v1, -v4, v16, 1.0
	v_fmac_f32_e32 v16, v1, v16
	v_div_scale_f32 v1, vcc, v10, v7, v10
	v_mul_f32_e32 v11, v1, v16
	v_cvt_f32_f16_sdwa v3, v5 dst_sel:DWORD dst_unused:UNUSED_PAD src0_sel:WORD_1
	v_cvt_f32_f16_e32 v2, v5
	v_fma_f32 v17, -v4, v11, v1
	v_fmac_f32_e32 v11, v17, v16
	v_fma_f32 v1, -v4, v11, v1
	v_pk_fma_f32 v[4:5], v[6:7], v[14:15], 0 op_sel_hi:[0,1,0]
	v_pk_fma_f32 v[2:3], v[8:9], v[2:3], v[4:5] op_sel_hi:[0,1,1]
	v_div_scale_f32 v4, s[74:75], v7, v7, v3
	v_rcp_f32_e32 v5, v4
	v_div_fmas_f32 v1, v1, v16, v11
	v_div_fixup_f32 v8, v1, v7, v10
	global_store_dwordx2 v[12:13], v[8:9], off
	v_fma_f32 v1, -v4, v5, 1.0
	v_fmac_f32_e32 v5, v1, v5
	v_div_scale_f32 v1, vcc, v3, v7, v3
	v_mul_f32_e32 v6, v1, v5
	v_fma_f32 v8, -v4, v6, v1
	v_fmac_f32_e32 v6, v8, v5
	v_fma_f32 v1, -v4, v6, v1
	v_div_scale_f32 v4, s[74:75], v7, v7, v2
	v_rcp_f32_e32 v8, v4
	v_div_fmas_f32 v1, v1, v5, v6
	v_div_fixup_f32 v3, v1, v7, v3
	v_fma_f32 v1, -v4, v8, 1.0
	v_fmac_f32_e32 v8, v1, v8
	v_div_scale_f32 v1, vcc, v2, v7, v2
	v_mul_f32_e32 v5, v1, v8
	v_fma_f32 v6, -v4, v5, v1
	v_fmac_f32_e32 v5, v6, v8
	v_fma_f32 v1, -v4, v5, v1
	v_div_fmas_f32 v1, v1, v8, v5
	v_div_fixup_f32 v2, v1, v7, v2
	global_store_dwordx2 v[12:13], v[2:3], off offset:512
	v_mov_b32_e32 v2, 0
.LBB31_240:                             ;   in Loop: Header=BB31_12 Depth=1
	s_or_b64 exec, exec, s[14:15]
	v_cmp_gt_i32_e32 vcc, s94, v2
	s_mov_b64 s[14:15], -1
	s_and_saveexec_b64 s[74:75], vcc
; %bb.241:                              ;   in Loop: Header=BB31_12 Depth=1
	v_cmp_eq_u32_e32 vcc, 0, v2
	s_orn2_b64 s[14:15], vcc, exec
; %bb.242:                              ;   in Loop: Header=BB31_12 Depth=1
	s_or_b64 exec, exec, s[74:75]
	s_and_b64 exec, exec, s[14:15]
	s_cbranch_execz .LBB31_10
; %bb.243:                              ;   in Loop: Header=BB31_12 Depth=1
	v_accvgpr_read_b32 v1, a63
	v_accvgpr_read_b32 v2, a66
	v_add_u32_e32 v1, v1, v113
	v_or_b32_e32 v2, v2, v43
	v_cmp_gt_i32_e32 vcc, s36, v1
	v_cmp_gt_i32_e64 s[14:15], s3, v2
	s_and_b64 s[74:75], vcc, s[14:15]
	v_mov_b32_e32 v2, 0x47
	s_and_saveexec_b64 s[14:15], s[74:75]
	s_cbranch_execz .LBB31_245
; %bb.244:                              ;   in Loop: Header=BB31_12 Depth=1
	v_accvgpr_read_b32 v4, a43
	ds_read2st64_b32 v[2:3], v4 offset1:1
	ds_read2st64_b32 v[4:5], v4 offset0:33 offset1:34
	v_accvgpr_read_b32 v8, a28
	ds_read2_b32 v[6:7], v8 offset0:128 offset1:129
	ds_read_b32 v8, v8 offset:8960
	s_waitcnt lgkmcnt(3)
	v_cvt_f32_f16_sdwa v11, v2 dst_sel:DWORD dst_unused:UNUSED_PAD src0_sel:WORD_1
	v_cvt_f32_f16_e32 v10, v2
	s_waitcnt lgkmcnt(2)
	v_cvt_f32_f16_sdwa v13, v4 dst_sel:DWORD dst_unused:UNUSED_PAD src0_sel:WORD_1
	v_cvt_f32_f16_e32 v12, v4
	v_accvgpr_read_b32 v2, a66
	s_waitcnt lgkmcnt(1)
	v_pk_fma_f32 v[10:11], v[6:7], v[10:11], 0 op_sel_hi:[0,1,0]
	v_mad_u64_u32 v[14:15], s[74:75], v1, s37, v[2:3]
	s_waitcnt lgkmcnt(0)
	v_pk_fma_f32 v[10:11], v[8:9], v[12:13], v[10:11] op_sel_hi:[0,1,1]
	v_div_scale_f32 v1, s[74:75], v7, v7, v11
	v_rcp_f32_e32 v2, v1
	v_lshl_add_u32 v12, v14, 7, v40
	v_cvt_f32_f16_sdwa v15, v3 dst_sel:DWORD dst_unused:UNUSED_PAD src0_sel:WORD_1
	v_ashrrev_i32_e32 v13, 31, v12
	v_fma_f32 v4, -v1, v2, 1.0
	v_fmac_f32_e32 v2, v4, v2
	v_div_scale_f32 v4, vcc, v11, v7, v11
	v_mul_f32_e32 v9, v4, v2
	v_fma_f32 v14, -v1, v9, v4
	v_fmac_f32_e32 v9, v14, v2
	v_fma_f32 v1, -v1, v9, v4
	v_div_scale_f32 v4, s[74:75], v7, v7, v10
	v_rcp_f32_e32 v16, v4
	v_div_fmas_f32 v1, v1, v2, v9
	v_div_fixup_f32 v9, v1, v7, v11
	v_cvt_f32_f16_e32 v14, v3
	v_fma_f32 v1, -v4, v16, 1.0
	v_fmac_f32_e32 v16, v1, v16
	v_div_scale_f32 v1, vcc, v10, v7, v10
	v_mul_f32_e32 v11, v1, v16
	v_cvt_f32_f16_sdwa v3, v5 dst_sel:DWORD dst_unused:UNUSED_PAD src0_sel:WORD_1
	v_cvt_f32_f16_e32 v2, v5
	v_fma_f32 v17, -v4, v11, v1
	v_fmac_f32_e32 v11, v17, v16
	v_fma_f32 v1, -v4, v11, v1
	v_pk_fma_f32 v[4:5], v[6:7], v[14:15], 0 op_sel_hi:[0,1,0]
	v_pk_fma_f32 v[2:3], v[8:9], v[2:3], v[4:5] op_sel_hi:[0,1,1]
	v_div_scale_f32 v4, s[74:75], v7, v7, v3
	v_rcp_f32_e32 v5, v4
	v_div_fmas_f32 v1, v1, v16, v11
	v_div_fixup_f32 v8, v1, v7, v10
	v_lshl_add_u64 v[12:13], v[12:13], 3, v[156:157]
	v_fma_f32 v1, -v4, v5, 1.0
	v_fmac_f32_e32 v5, v1, v5
	v_div_scale_f32 v1, vcc, v3, v7, v3
	v_mul_f32_e32 v6, v1, v5
	global_store_dwordx2 v[12:13], v[8:9], off
	v_fma_f32 v8, -v4, v6, v1
	v_fmac_f32_e32 v6, v8, v5
	v_fma_f32 v1, -v4, v6, v1
	v_div_scale_f32 v4, s[74:75], v7, v7, v2
	v_rcp_f32_e32 v8, v4
	v_div_fmas_f32 v1, v1, v5, v6
	v_div_fixup_f32 v3, v1, v7, v3
	v_fma_f32 v1, -v4, v8, 1.0
	v_fmac_f32_e32 v8, v1, v8
	v_div_scale_f32 v1, vcc, v2, v7, v2
	v_mul_f32_e32 v5, v1, v8
	v_fma_f32 v6, -v4, v5, v1
	v_fmac_f32_e32 v5, v6, v8
	v_fma_f32 v1, -v4, v5, v1
	v_div_fmas_f32 v1, v1, v8, v5
	v_div_fixup_f32 v2, v1, v7, v2
	global_store_dwordx2 v[12:13], v[2:3], off offset:512
	v_mov_b32_e32 v2, 0
.LBB31_245:                             ;   in Loop: Header=BB31_12 Depth=1
	s_or_b64 exec, exec, s[14:15]
	v_cmp_gt_i32_e32 vcc, s94, v2
	s_mov_b64 s[14:15], -1
	s_and_saveexec_b64 s[74:75], vcc
; %bb.246:                              ;   in Loop: Header=BB31_12 Depth=1
	v_cmp_eq_u32_e32 vcc, 0, v2
	s_orn2_b64 s[14:15], vcc, exec
; %bb.247:                              ;   in Loop: Header=BB31_12 Depth=1
	s_or_b64 exec, exec, s[74:75]
	s_and_b64 exec, exec, s[14:15]
	s_cbranch_execz .LBB31_10
; %bb.248:                              ;   in Loop: Header=BB31_12 Depth=1
	v_accvgpr_read_b32 v1, a65
	v_accvgpr_read_b32 v2, a68
	v_add_u32_e32 v1, v1, v113
	v_or_b32_e32 v2, v2, v43
	v_cmp_gt_i32_e32 vcc, s36, v1
	v_cmp_gt_i32_e64 s[14:15], s3, v2
	s_and_b64 s[74:75], vcc, s[14:15]
	v_mov_b32_e32 v2, 0x47
	s_and_saveexec_b64 s[14:15], s[74:75]
	s_cbranch_execz .LBB31_250
; %bb.249:                              ;   in Loop: Header=BB31_12 Depth=1
	v_accvgpr_read_b32 v4, a44
	ds_read2st64_b32 v[2:3], v4 offset1:1
	ds_read2st64_b32 v[4:5], v4 offset0:33 offset1:34
	v_accvgpr_read_b32 v8, a29
	ds_read2_b32 v[6:7], v8 offset0:128 offset1:129
	ds_read_b32 v8, v8 offset:8960
	s_waitcnt lgkmcnt(3)
	v_cvt_f32_f16_sdwa v11, v2 dst_sel:DWORD dst_unused:UNUSED_PAD src0_sel:WORD_1
	v_cvt_f32_f16_e32 v10, v2
	s_waitcnt lgkmcnt(2)
	v_cvt_f32_f16_sdwa v13, v4 dst_sel:DWORD dst_unused:UNUSED_PAD src0_sel:WORD_1
	v_cvt_f32_f16_e32 v12, v4
	v_accvgpr_read_b32 v2, a68
	s_waitcnt lgkmcnt(1)
	v_pk_fma_f32 v[10:11], v[6:7], v[10:11], 0 op_sel_hi:[0,1,0]
	v_mad_u64_u32 v[14:15], s[74:75], v1, s37, v[2:3]
	s_waitcnt lgkmcnt(0)
	v_pk_fma_f32 v[10:11], v[8:9], v[12:13], v[10:11] op_sel_hi:[0,1,1]
	v_div_scale_f32 v1, s[74:75], v7, v7, v11
	v_rcp_f32_e32 v2, v1
	v_lshl_add_u32 v12, v14, 7, v40
	v_cvt_f32_f16_sdwa v15, v3 dst_sel:DWORD dst_unused:UNUSED_PAD src0_sel:WORD_1
	v_ashrrev_i32_e32 v13, 31, v12
	v_fma_f32 v4, -v1, v2, 1.0
	v_fmac_f32_e32 v2, v4, v2
	v_div_scale_f32 v4, vcc, v11, v7, v11
	v_mul_f32_e32 v9, v4, v2
	v_fma_f32 v14, -v1, v9, v4
	v_fmac_f32_e32 v9, v14, v2
	v_fma_f32 v1, -v1, v9, v4
	v_div_scale_f32 v4, s[74:75], v7, v7, v10
	v_rcp_f32_e32 v16, v4
	v_div_fmas_f32 v1, v1, v2, v9
	v_div_fixup_f32 v9, v1, v7, v11
	v_cvt_f32_f16_e32 v14, v3
	v_fma_f32 v1, -v4, v16, 1.0
	v_fmac_f32_e32 v16, v1, v16
	v_div_scale_f32 v1, vcc, v10, v7, v10
	v_mul_f32_e32 v11, v1, v16
	v_cvt_f32_f16_sdwa v3, v5 dst_sel:DWORD dst_unused:UNUSED_PAD src0_sel:WORD_1
	v_cvt_f32_f16_e32 v2, v5
	v_fma_f32 v17, -v4, v11, v1
	v_fmac_f32_e32 v11, v17, v16
	v_fma_f32 v1, -v4, v11, v1
	v_pk_fma_f32 v[4:5], v[6:7], v[14:15], 0 op_sel_hi:[0,1,0]
	v_pk_fma_f32 v[2:3], v[8:9], v[2:3], v[4:5] op_sel_hi:[0,1,1]
	v_div_scale_f32 v4, s[74:75], v7, v7, v3
	v_rcp_f32_e32 v5, v4
	v_div_fmas_f32 v1, v1, v16, v11
	v_div_fixup_f32 v8, v1, v7, v10
	v_lshl_add_u64 v[12:13], v[12:13], 3, v[156:157]
	v_fma_f32 v1, -v4, v5, 1.0
	v_fmac_f32_e32 v5, v1, v5
	v_div_scale_f32 v1, vcc, v3, v7, v3
	v_mul_f32_e32 v6, v1, v5
	global_store_dwordx2 v[12:13], v[8:9], off
	v_fma_f32 v8, -v4, v6, v1
	v_fmac_f32_e32 v6, v8, v5
	v_fma_f32 v1, -v4, v6, v1
	v_div_scale_f32 v4, s[74:75], v7, v7, v2
	v_rcp_f32_e32 v8, v4
	v_div_fmas_f32 v1, v1, v5, v6
	v_div_fixup_f32 v3, v1, v7, v3
	v_fma_f32 v1, -v4, v8, 1.0
	v_fmac_f32_e32 v8, v1, v8
	v_div_scale_f32 v1, vcc, v2, v7, v2
	v_mul_f32_e32 v5, v1, v8
	v_fma_f32 v6, -v4, v5, v1
	v_fmac_f32_e32 v5, v6, v8
	v_fma_f32 v1, -v4, v5, v1
	v_div_fmas_f32 v1, v1, v8, v5
	v_div_fixup_f32 v2, v1, v7, v2
	global_store_dwordx2 v[12:13], v[2:3], off offset:512
	v_mov_b32_e32 v2, 0
.LBB31_250:                             ;   in Loop: Header=BB31_12 Depth=1
	s_or_b64 exec, exec, s[14:15]
	v_cmp_gt_i32_e32 vcc, s94, v2
	s_mov_b64 s[14:15], -1
	s_and_saveexec_b64 s[74:75], vcc
; %bb.251:                              ;   in Loop: Header=BB31_12 Depth=1
	v_cmp_eq_u32_e32 vcc, 0, v2
	s_orn2_b64 s[14:15], vcc, exec
; %bb.252:                              ;   in Loop: Header=BB31_12 Depth=1
	s_or_b64 exec, exec, s[74:75]
	s_and_b64 exec, exec, s[14:15]
	s_cbranch_execz .LBB31_10
; %bb.253:                              ;   in Loop: Header=BB31_12 Depth=1
	v_accvgpr_read_b32 v1, a67
	v_accvgpr_read_b32 v2, a70
	v_add_u32_e32 v1, v1, v113
	v_or_b32_e32 v2, v2, v43
	v_cmp_gt_i32_e32 vcc, s36, v1
	v_cmp_gt_i32_e64 s[14:15], s3, v2
	s_and_b64 s[74:75], vcc, s[14:15]
	v_mov_b32_e32 v2, 0x47
	s_and_saveexec_b64 s[14:15], s[74:75]
	s_cbranch_execz .LBB31_255
; %bb.254:                              ;   in Loop: Header=BB31_12 Depth=1
	v_accvgpr_read_b32 v4, a45
	ds_read2st64_b32 v[2:3], v4 offset1:1
	ds_read2st64_b32 v[4:5], v4 offset0:33 offset1:34
	v_accvgpr_read_b32 v8, a30
	ds_read2_b32 v[6:7], v8 offset0:128 offset1:129
	ds_read_b32 v8, v8 offset:8960
	s_waitcnt lgkmcnt(3)
	v_cvt_f32_f16_sdwa v11, v2 dst_sel:DWORD dst_unused:UNUSED_PAD src0_sel:WORD_1
	v_cvt_f32_f16_e32 v10, v2
	s_waitcnt lgkmcnt(2)
	v_cvt_f32_f16_sdwa v13, v4 dst_sel:DWORD dst_unused:UNUSED_PAD src0_sel:WORD_1
	v_cvt_f32_f16_e32 v12, v4
	v_accvgpr_read_b32 v2, a70
	s_waitcnt lgkmcnt(1)
	v_pk_fma_f32 v[10:11], v[6:7], v[10:11], 0 op_sel_hi:[0,1,0]
	v_mad_u64_u32 v[14:15], s[74:75], v1, s37, v[2:3]
	s_waitcnt lgkmcnt(0)
	v_pk_fma_f32 v[10:11], v[8:9], v[12:13], v[10:11] op_sel_hi:[0,1,1]
	v_div_scale_f32 v1, s[74:75], v7, v7, v11
	v_rcp_f32_e32 v2, v1
	v_lshl_add_u32 v12, v14, 7, v40
	v_cvt_f32_f16_sdwa v15, v3 dst_sel:DWORD dst_unused:UNUSED_PAD src0_sel:WORD_1
	v_ashrrev_i32_e32 v13, 31, v12
	v_fma_f32 v4, -v1, v2, 1.0
	v_fmac_f32_e32 v2, v4, v2
	v_div_scale_f32 v4, vcc, v11, v7, v11
	v_mul_f32_e32 v9, v4, v2
	v_fma_f32 v14, -v1, v9, v4
	v_fmac_f32_e32 v9, v14, v2
	v_fma_f32 v1, -v1, v9, v4
	v_div_scale_f32 v4, s[74:75], v7, v7, v10
	v_rcp_f32_e32 v16, v4
	v_div_fmas_f32 v1, v1, v2, v9
	v_div_fixup_f32 v9, v1, v7, v11
	v_cvt_f32_f16_e32 v14, v3
	v_fma_f32 v1, -v4, v16, 1.0
	v_fmac_f32_e32 v16, v1, v16
	v_div_scale_f32 v1, vcc, v10, v7, v10
	v_mul_f32_e32 v11, v1, v16
	v_cvt_f32_f16_sdwa v3, v5 dst_sel:DWORD dst_unused:UNUSED_PAD src0_sel:WORD_1
	v_cvt_f32_f16_e32 v2, v5
	v_fma_f32 v17, -v4, v11, v1
	v_fmac_f32_e32 v11, v17, v16
	v_fma_f32 v1, -v4, v11, v1
	v_pk_fma_f32 v[4:5], v[6:7], v[14:15], 0 op_sel_hi:[0,1,0]
	v_pk_fma_f32 v[2:3], v[8:9], v[2:3], v[4:5] op_sel_hi:[0,1,1]
	v_div_scale_f32 v4, s[74:75], v7, v7, v3
	v_rcp_f32_e32 v5, v4
	v_div_fmas_f32 v1, v1, v16, v11
	v_div_fixup_f32 v8, v1, v7, v10
	v_lshl_add_u64 v[12:13], v[12:13], 3, v[156:157]
	v_fma_f32 v1, -v4, v5, 1.0
	v_fmac_f32_e32 v5, v1, v5
	v_div_scale_f32 v1, vcc, v3, v7, v3
	v_mul_f32_e32 v6, v1, v5
	global_store_dwordx2 v[12:13], v[8:9], off
	v_fma_f32 v8, -v4, v6, v1
	v_fmac_f32_e32 v6, v8, v5
	v_fma_f32 v1, -v4, v6, v1
	v_div_scale_f32 v4, s[74:75], v7, v7, v2
	v_rcp_f32_e32 v8, v4
	v_div_fmas_f32 v1, v1, v5, v6
	v_div_fixup_f32 v3, v1, v7, v3
	v_fma_f32 v1, -v4, v8, 1.0
	v_fmac_f32_e32 v8, v1, v8
	v_div_scale_f32 v1, vcc, v2, v7, v2
	v_mul_f32_e32 v5, v1, v8
	v_fma_f32 v6, -v4, v5, v1
	v_fmac_f32_e32 v5, v6, v8
	v_fma_f32 v1, -v4, v5, v1
	v_div_fmas_f32 v1, v1, v8, v5
	v_div_fixup_f32 v2, v1, v7, v2
	global_store_dwordx2 v[12:13], v[2:3], off offset:512
	v_mov_b32_e32 v2, 0
.LBB31_255:                             ;   in Loop: Header=BB31_12 Depth=1
	s_or_b64 exec, exec, s[14:15]
	v_cmp_gt_i32_e32 vcc, s94, v2
	s_mov_b64 s[14:15], -1
	s_and_saveexec_b64 s[74:75], vcc
; %bb.256:                              ;   in Loop: Header=BB31_12 Depth=1
	v_cmp_eq_u32_e32 vcc, 0, v2
	s_orn2_b64 s[14:15], vcc, exec
; %bb.257:                              ;   in Loop: Header=BB31_12 Depth=1
	s_or_b64 exec, exec, s[74:75]
	s_and_b64 exec, exec, s[14:15]
	s_cbranch_execz .LBB31_10
; %bb.258:                              ;   in Loop: Header=BB31_12 Depth=1
	v_accvgpr_read_b32 v1, a31
	v_add_u32_e32 v1, v1, v113
	v_cmp_gt_i32_e32 vcc, s36, v1
	s_and_b64 s[14:15], vcc, s[10:11]
	v_mov_b32_e32 v2, 0x47
	s_and_saveexec_b64 s[10:11], s[14:15]
	s_cbranch_execz .LBB31_260
; %bb.259:                              ;   in Loop: Header=BB31_12 Depth=1
	v_accvgpr_read_b32 v4, a46
	ds_read2st64_b32 v[2:3], v4 offset1:1
	ds_read2st64_b32 v[4:5], v4 offset0:33 offset1:34
	v_accvgpr_read_b32 v8, a32
	ds_read2_b32 v[6:7], v8 offset0:128 offset1:129
	ds_read_b32 v8, v8 offset:8960
	v_mad_u64_u32 v[14:15], s[14:15], v1, s37, v[110:111]
	s_waitcnt lgkmcnt(3)
	v_cvt_f32_f16_sdwa v11, v2 dst_sel:DWORD dst_unused:UNUSED_PAD src0_sel:WORD_1
	v_cvt_f32_f16_e32 v10, v2
	s_waitcnt lgkmcnt(2)
	v_cvt_f32_f16_sdwa v13, v4 dst_sel:DWORD dst_unused:UNUSED_PAD src0_sel:WORD_1
	v_cvt_f32_f16_e32 v12, v4
	v_cvt_f32_f16_sdwa v15, v3 dst_sel:DWORD dst_unused:UNUSED_PAD src0_sel:WORD_1
	s_waitcnt lgkmcnt(1)
	v_pk_fma_f32 v[10:11], v[6:7], v[10:11], 0 op_sel_hi:[0,1,0]
	s_waitcnt lgkmcnt(0)
	v_pk_fma_f32 v[10:11], v[8:9], v[12:13], v[10:11] op_sel_hi:[0,1,1]
	v_div_scale_f32 v1, s[14:15], v7, v7, v11
	v_rcp_f32_e32 v2, v1
	v_lshl_add_u32 v12, v14, 7, v40
	v_ashrrev_i32_e32 v13, 31, v12
	v_lshl_add_u64 v[12:13], v[12:13], 3, v[156:157]
	v_fma_f32 v4, -v1, v2, 1.0
	v_fmac_f32_e32 v2, v4, v2
	v_div_scale_f32 v4, vcc, v11, v7, v11
	v_mul_f32_e32 v9, v4, v2
	v_fma_f32 v14, -v1, v9, v4
	v_fmac_f32_e32 v9, v14, v2
	v_fma_f32 v1, -v1, v9, v4
	v_div_scale_f32 v4, s[14:15], v7, v7, v10
	v_rcp_f32_e32 v16, v4
	v_div_fmas_f32 v1, v1, v2, v9
	v_div_fixup_f32 v9, v1, v7, v11
	v_cvt_f32_f16_e32 v14, v3
	v_fma_f32 v1, -v4, v16, 1.0
	v_fmac_f32_e32 v16, v1, v16
	v_div_scale_f32 v1, vcc, v10, v7, v10
	v_mul_f32_e32 v11, v1, v16
	v_cvt_f32_f16_sdwa v3, v5 dst_sel:DWORD dst_unused:UNUSED_PAD src0_sel:WORD_1
	v_cvt_f32_f16_e32 v2, v5
	v_fma_f32 v17, -v4, v11, v1
	v_fmac_f32_e32 v11, v17, v16
	v_fma_f32 v1, -v4, v11, v1
	v_pk_fma_f32 v[4:5], v[6:7], v[14:15], 0 op_sel_hi:[0,1,0]
	v_pk_fma_f32 v[2:3], v[8:9], v[2:3], v[4:5] op_sel_hi:[0,1,1]
	v_div_scale_f32 v4, s[14:15], v7, v7, v3
	v_rcp_f32_e32 v5, v4
	v_div_fmas_f32 v1, v1, v16, v11
	v_div_fixup_f32 v8, v1, v7, v10
	global_store_dwordx2 v[12:13], v[8:9], off
	v_fma_f32 v1, -v4, v5, 1.0
	v_fmac_f32_e32 v5, v1, v5
	v_div_scale_f32 v1, vcc, v3, v7, v3
	v_mul_f32_e32 v6, v1, v5
	v_fma_f32 v8, -v4, v6, v1
	v_fmac_f32_e32 v6, v8, v5
	v_fma_f32 v1, -v4, v6, v1
	v_div_scale_f32 v4, s[14:15], v7, v7, v2
	v_rcp_f32_e32 v8, v4
	v_div_fmas_f32 v1, v1, v5, v6
	v_div_fixup_f32 v3, v1, v7, v3
	v_fma_f32 v1, -v4, v8, 1.0
	v_fmac_f32_e32 v8, v1, v8
	v_div_scale_f32 v1, vcc, v2, v7, v2
	v_mul_f32_e32 v5, v1, v8
	v_fma_f32 v6, -v4, v5, v1
	v_fmac_f32_e32 v5, v6, v8
	v_fma_f32 v1, -v4, v5, v1
	v_div_fmas_f32 v1, v1, v8, v5
	v_div_fixup_f32 v2, v1, v7, v2
	global_store_dwordx2 v[12:13], v[2:3], off offset:512
	v_mov_b32_e32 v2, 0
.LBB31_260:                             ;   in Loop: Header=BB31_12 Depth=1
	s_or_b64 exec, exec, s[10:11]
	v_cmp_gt_i32_e32 vcc, s94, v2
	s_mov_b64 s[10:11], -1
	s_and_saveexec_b64 s[14:15], vcc
; %bb.261:                              ;   in Loop: Header=BB31_12 Depth=1
	v_cmp_eq_u32_e32 vcc, 0, v2
	s_orn2_b64 s[10:11], vcc, exec
; %bb.262:                              ;   in Loop: Header=BB31_12 Depth=1
	s_or_b64 exec, exec, s[14:15]
	s_and_b64 exec, exec, s[10:11]
	s_cbranch_execz .LBB31_10
; %bb.263:                              ;   in Loop: Header=BB31_12 Depth=1
	v_accvgpr_read_b32 v1, a69
	v_accvgpr_read_b32 v2, a72
	v_add_u32_e32 v1, v1, v113
	v_or_b32_e32 v2, v2, v43
	v_cmp_gt_i32_e32 vcc, s36, v1
	v_cmp_gt_i32_e64 s[10:11], s3, v2
	s_and_b64 s[14:15], vcc, s[10:11]
	v_mov_b32_e32 v2, 0x47
	s_and_saveexec_b64 s[10:11], s[14:15]
	s_cbranch_execz .LBB31_265
; %bb.264:                              ;   in Loop: Header=BB31_12 Depth=1
	v_accvgpr_read_b32 v4, a47
	ds_read2st64_b32 v[2:3], v4 offset1:1
	ds_read2st64_b32 v[4:5], v4 offset0:33 offset1:34
	v_accvgpr_read_b32 v8, a33
	ds_read2_b32 v[6:7], v8 offset0:128 offset1:129
	ds_read_b32 v8, v8 offset:8960
	s_waitcnt lgkmcnt(3)
	v_cvt_f32_f16_sdwa v11, v2 dst_sel:DWORD dst_unused:UNUSED_PAD src0_sel:WORD_1
	v_cvt_f32_f16_e32 v10, v2
	s_waitcnt lgkmcnt(2)
	v_cvt_f32_f16_sdwa v13, v4 dst_sel:DWORD dst_unused:UNUSED_PAD src0_sel:WORD_1
	v_cvt_f32_f16_e32 v12, v4
	v_accvgpr_read_b32 v2, a72
	s_waitcnt lgkmcnt(1)
	v_pk_fma_f32 v[10:11], v[6:7], v[10:11], 0 op_sel_hi:[0,1,0]
	v_mad_u64_u32 v[14:15], s[14:15], v1, s37, v[2:3]
	s_waitcnt lgkmcnt(0)
	v_pk_fma_f32 v[10:11], v[8:9], v[12:13], v[10:11] op_sel_hi:[0,1,1]
	v_div_scale_f32 v1, s[14:15], v7, v7, v11
	v_rcp_f32_e32 v2, v1
	v_lshl_add_u32 v12, v14, 7, v40
	v_cvt_f32_f16_sdwa v15, v3 dst_sel:DWORD dst_unused:UNUSED_PAD src0_sel:WORD_1
	v_ashrrev_i32_e32 v13, 31, v12
	v_fma_f32 v4, -v1, v2, 1.0
	v_fmac_f32_e32 v2, v4, v2
	v_div_scale_f32 v4, vcc, v11, v7, v11
	v_mul_f32_e32 v9, v4, v2
	v_fma_f32 v14, -v1, v9, v4
	v_fmac_f32_e32 v9, v14, v2
	v_fma_f32 v1, -v1, v9, v4
	v_div_scale_f32 v4, s[14:15], v7, v7, v10
	v_rcp_f32_e32 v16, v4
	v_div_fmas_f32 v1, v1, v2, v9
	v_div_fixup_f32 v9, v1, v7, v11
	v_cvt_f32_f16_e32 v14, v3
	v_fma_f32 v1, -v4, v16, 1.0
	v_fmac_f32_e32 v16, v1, v16
	v_div_scale_f32 v1, vcc, v10, v7, v10
	v_mul_f32_e32 v11, v1, v16
	v_cvt_f32_f16_sdwa v3, v5 dst_sel:DWORD dst_unused:UNUSED_PAD src0_sel:WORD_1
	v_cvt_f32_f16_e32 v2, v5
	v_fma_f32 v17, -v4, v11, v1
	v_fmac_f32_e32 v11, v17, v16
	v_fma_f32 v1, -v4, v11, v1
	v_pk_fma_f32 v[4:5], v[6:7], v[14:15], 0 op_sel_hi:[0,1,0]
	v_pk_fma_f32 v[2:3], v[8:9], v[2:3], v[4:5] op_sel_hi:[0,1,1]
	v_div_scale_f32 v4, s[14:15], v7, v7, v3
	v_rcp_f32_e32 v5, v4
	v_div_fmas_f32 v1, v1, v16, v11
	v_div_fixup_f32 v8, v1, v7, v10
	v_lshl_add_u64 v[12:13], v[12:13], 3, v[156:157]
	v_fma_f32 v1, -v4, v5, 1.0
	v_fmac_f32_e32 v5, v1, v5
	v_div_scale_f32 v1, vcc, v3, v7, v3
	v_mul_f32_e32 v6, v1, v5
	global_store_dwordx2 v[12:13], v[8:9], off
	v_fma_f32 v8, -v4, v6, v1
	v_fmac_f32_e32 v6, v8, v5
	v_fma_f32 v1, -v4, v6, v1
	v_div_scale_f32 v4, s[14:15], v7, v7, v2
	v_rcp_f32_e32 v8, v4
	v_div_fmas_f32 v1, v1, v5, v6
	v_div_fixup_f32 v3, v1, v7, v3
	v_fma_f32 v1, -v4, v8, 1.0
	v_fmac_f32_e32 v8, v1, v8
	v_div_scale_f32 v1, vcc, v2, v7, v2
	v_mul_f32_e32 v5, v1, v8
	v_fma_f32 v6, -v4, v5, v1
	v_fmac_f32_e32 v5, v6, v8
	v_fma_f32 v1, -v4, v5, v1
	v_div_fmas_f32 v1, v1, v8, v5
	v_div_fixup_f32 v2, v1, v7, v2
	global_store_dwordx2 v[12:13], v[2:3], off offset:512
	v_mov_b32_e32 v2, 0
.LBB31_265:                             ;   in Loop: Header=BB31_12 Depth=1
	s_or_b64 exec, exec, s[10:11]
	v_cmp_gt_i32_e32 vcc, s94, v2
	s_mov_b64 s[10:11], -1
	s_and_saveexec_b64 s[14:15], vcc
; %bb.266:                              ;   in Loop: Header=BB31_12 Depth=1
	v_cmp_eq_u32_e32 vcc, 0, v2
	s_orn2_b64 s[10:11], vcc, exec
; %bb.267:                              ;   in Loop: Header=BB31_12 Depth=1
	s_or_b64 exec, exec, s[14:15]
	s_and_b64 exec, exec, s[10:11]
	s_cbranch_execz .LBB31_10
; %bb.268:                              ;   in Loop: Header=BB31_12 Depth=1
	v_accvgpr_read_b32 v1, a71
	v_accvgpr_read_b32 v2, a74
	v_add_u32_e32 v1, v1, v113
	v_or_b32_e32 v2, v2, v43
	v_cmp_gt_i32_e32 vcc, s36, v1
	v_cmp_gt_i32_e64 s[10:11], s3, v2
	s_and_b64 s[14:15], vcc, s[10:11]
	v_mov_b32_e32 v2, 0x47
	s_and_saveexec_b64 s[10:11], s[14:15]
	s_cbranch_execz .LBB31_270
; %bb.269:                              ;   in Loop: Header=BB31_12 Depth=1
	v_accvgpr_read_b32 v4, a48
	ds_read2st64_b32 v[2:3], v4 offset1:1
	ds_read2st64_b32 v[4:5], v4 offset0:33 offset1:34
	v_accvgpr_read_b32 v8, a34
	ds_read2_b32 v[6:7], v8 offset0:128 offset1:129
	ds_read_b32 v8, v8 offset:8960
	s_waitcnt lgkmcnt(3)
	v_cvt_f32_f16_sdwa v11, v2 dst_sel:DWORD dst_unused:UNUSED_PAD src0_sel:WORD_1
	v_cvt_f32_f16_e32 v10, v2
	s_waitcnt lgkmcnt(2)
	v_cvt_f32_f16_sdwa v13, v4 dst_sel:DWORD dst_unused:UNUSED_PAD src0_sel:WORD_1
	v_cvt_f32_f16_e32 v12, v4
	v_accvgpr_read_b32 v2, a74
	s_waitcnt lgkmcnt(1)
	v_pk_fma_f32 v[10:11], v[6:7], v[10:11], 0 op_sel_hi:[0,1,0]
	v_mad_u64_u32 v[14:15], s[14:15], v1, s37, v[2:3]
	s_waitcnt lgkmcnt(0)
	v_pk_fma_f32 v[10:11], v[8:9], v[12:13], v[10:11] op_sel_hi:[0,1,1]
	v_div_scale_f32 v1, s[14:15], v7, v7, v11
	v_rcp_f32_e32 v2, v1
	v_lshl_add_u32 v12, v14, 7, v40
	v_cvt_f32_f16_sdwa v15, v3 dst_sel:DWORD dst_unused:UNUSED_PAD src0_sel:WORD_1
	v_ashrrev_i32_e32 v13, 31, v12
	v_fma_f32 v4, -v1, v2, 1.0
	v_fmac_f32_e32 v2, v4, v2
	v_div_scale_f32 v4, vcc, v11, v7, v11
	v_mul_f32_e32 v9, v4, v2
	v_fma_f32 v14, -v1, v9, v4
	v_fmac_f32_e32 v9, v14, v2
	v_fma_f32 v1, -v1, v9, v4
	v_div_scale_f32 v4, s[14:15], v7, v7, v10
	v_rcp_f32_e32 v16, v4
	v_div_fmas_f32 v1, v1, v2, v9
	v_div_fixup_f32 v9, v1, v7, v11
	v_cvt_f32_f16_e32 v14, v3
	v_fma_f32 v1, -v4, v16, 1.0
	v_fmac_f32_e32 v16, v1, v16
	v_div_scale_f32 v1, vcc, v10, v7, v10
	v_mul_f32_e32 v11, v1, v16
	v_cvt_f32_f16_sdwa v3, v5 dst_sel:DWORD dst_unused:UNUSED_PAD src0_sel:WORD_1
	v_cvt_f32_f16_e32 v2, v5
	v_fma_f32 v17, -v4, v11, v1
	v_fmac_f32_e32 v11, v17, v16
	v_fma_f32 v1, -v4, v11, v1
	v_pk_fma_f32 v[4:5], v[6:7], v[14:15], 0 op_sel_hi:[0,1,0]
	v_pk_fma_f32 v[2:3], v[8:9], v[2:3], v[4:5] op_sel_hi:[0,1,1]
	v_div_scale_f32 v4, s[14:15], v7, v7, v3
	v_rcp_f32_e32 v5, v4
	v_div_fmas_f32 v1, v1, v16, v11
	v_div_fixup_f32 v8, v1, v7, v10
	v_lshl_add_u64 v[12:13], v[12:13], 3, v[156:157]
	v_fma_f32 v1, -v4, v5, 1.0
	v_fmac_f32_e32 v5, v1, v5
	v_div_scale_f32 v1, vcc, v3, v7, v3
	v_mul_f32_e32 v6, v1, v5
	global_store_dwordx2 v[12:13], v[8:9], off
	v_fma_f32 v8, -v4, v6, v1
	v_fmac_f32_e32 v6, v8, v5
	v_fma_f32 v1, -v4, v6, v1
	v_div_scale_f32 v4, s[14:15], v7, v7, v2
	v_rcp_f32_e32 v8, v4
	v_div_fmas_f32 v1, v1, v5, v6
	v_div_fixup_f32 v3, v1, v7, v3
	v_fma_f32 v1, -v4, v8, 1.0
	v_fmac_f32_e32 v8, v1, v8
	v_div_scale_f32 v1, vcc, v2, v7, v2
	v_mul_f32_e32 v5, v1, v8
	v_fma_f32 v6, -v4, v5, v1
	v_fmac_f32_e32 v5, v6, v8
	v_fma_f32 v1, -v4, v5, v1
	v_div_fmas_f32 v1, v1, v8, v5
	v_div_fixup_f32 v2, v1, v7, v2
	global_store_dwordx2 v[12:13], v[2:3], off offset:512
	v_mov_b32_e32 v2, 0
.LBB31_270:                             ;   in Loop: Header=BB31_12 Depth=1
	s_or_b64 exec, exec, s[10:11]
	v_cmp_gt_i32_e32 vcc, s94, v2
	s_mov_b64 s[10:11], -1
	s_and_saveexec_b64 s[14:15], vcc
; %bb.271:                              ;   in Loop: Header=BB31_12 Depth=1
	v_cmp_eq_u32_e32 vcc, 0, v2
	s_orn2_b64 s[10:11], vcc, exec
; %bb.272:                              ;   in Loop: Header=BB31_12 Depth=1
	s_or_b64 exec, exec, s[14:15]
	s_and_b64 exec, exec, s[10:11]
	s_cbranch_execz .LBB31_10
; %bb.273:                              ;   in Loop: Header=BB31_12 Depth=1
	v_accvgpr_read_b32 v1, a73
	v_accvgpr_read_b32 v2, a76
	v_add_u32_e32 v1, v1, v113
	v_or_b32_e32 v2, v2, v43
	v_cmp_gt_i32_e32 vcc, s36, v1
	v_cmp_gt_i32_e64 s[10:11], s3, v2
	s_and_b64 s[10:11], vcc, s[10:11]
	s_and_b64 exec, exec, s[10:11]
	s_cbranch_execz .LBB31_10
; %bb.274:                              ;   in Loop: Header=BB31_12 Depth=1
	v_accvgpr_read_b32 v4, a49
	ds_read2st64_b32 v[2:3], v4 offset1:1
	ds_read2st64_b32 v[4:5], v4 offset0:33 offset1:34
	v_accvgpr_read_b32 v8, a35
	ds_read2_b32 v[6:7], v8 offset0:128 offset1:129
	ds_read_b32 v8, v8 offset:8960
	s_waitcnt lgkmcnt(3)
	v_cvt_f32_f16_sdwa v11, v2 dst_sel:DWORD dst_unused:UNUSED_PAD src0_sel:WORD_1
	v_cvt_f32_f16_e32 v10, v2
	s_waitcnt lgkmcnt(2)
	v_cvt_f32_f16_sdwa v13, v4 dst_sel:DWORD dst_unused:UNUSED_PAD src0_sel:WORD_1
	v_cvt_f32_f16_e32 v12, v4
	v_accvgpr_read_b32 v2, a76
	s_waitcnt lgkmcnt(1)
	v_pk_fma_f32 v[10:11], v[6:7], v[10:11], 0 op_sel_hi:[0,1,0]
	v_mad_u64_u32 v[14:15], s[10:11], v1, s37, v[2:3]
	s_waitcnt lgkmcnt(0)
	v_pk_fma_f32 v[10:11], v[8:9], v[12:13], v[10:11] op_sel_hi:[0,1,1]
	v_div_scale_f32 v1, s[10:11], v7, v7, v11
	v_rcp_f32_e32 v2, v1
	v_lshl_add_u32 v12, v14, 7, v40
	v_cvt_f32_f16_sdwa v15, v3 dst_sel:DWORD dst_unused:UNUSED_PAD src0_sel:WORD_1
	v_ashrrev_i32_e32 v13, 31, v12
	v_fma_f32 v4, -v1, v2, 1.0
	v_fmac_f32_e32 v2, v4, v2
	v_div_scale_f32 v4, vcc, v11, v7, v11
	v_mul_f32_e32 v9, v4, v2
	v_fma_f32 v14, -v1, v9, v4
	v_fmac_f32_e32 v9, v14, v2
	v_fma_f32 v1, -v1, v9, v4
	v_div_scale_f32 v4, s[10:11], v7, v7, v10
	v_rcp_f32_e32 v16, v4
	v_div_fmas_f32 v1, v1, v2, v9
	v_div_fixup_f32 v9, v1, v7, v11
	v_cvt_f32_f16_e32 v14, v3
	v_fma_f32 v1, -v4, v16, 1.0
	v_fmac_f32_e32 v16, v1, v16
	v_div_scale_f32 v1, vcc, v10, v7, v10
	v_mul_f32_e32 v11, v1, v16
	v_cvt_f32_f16_sdwa v3, v5 dst_sel:DWORD dst_unused:UNUSED_PAD src0_sel:WORD_1
	v_cvt_f32_f16_e32 v2, v5
	v_fma_f32 v17, -v4, v11, v1
	v_fmac_f32_e32 v11, v17, v16
	v_fma_f32 v1, -v4, v11, v1
	v_pk_fma_f32 v[4:5], v[6:7], v[14:15], 0 op_sel_hi:[0,1,0]
	v_pk_fma_f32 v[2:3], v[8:9], v[2:3], v[4:5] op_sel_hi:[0,1,1]
	v_div_scale_f32 v4, s[10:11], v7, v7, v3
	v_rcp_f32_e32 v5, v4
	v_div_fmas_f32 v1, v1, v16, v11
	v_div_fixup_f32 v8, v1, v7, v10
	v_lshl_add_u64 v[12:13], v[12:13], 3, v[156:157]
	v_fma_f32 v1, -v4, v5, 1.0
	v_fmac_f32_e32 v5, v1, v5
	v_div_scale_f32 v1, vcc, v3, v7, v3
	v_mul_f32_e32 v6, v1, v5
	global_store_dwordx2 v[12:13], v[8:9], off
	v_fma_f32 v8, -v4, v6, v1
	v_fmac_f32_e32 v6, v8, v5
	v_fma_f32 v1, -v4, v6, v1
	v_div_scale_f32 v4, s[10:11], v7, v7, v2
	v_rcp_f32_e32 v8, v4
	v_div_fmas_f32 v1, v1, v5, v6
	v_div_fixup_f32 v3, v1, v7, v3
	v_fma_f32 v1, -v4, v8, 1.0
	v_fmac_f32_e32 v8, v1, v8
	v_div_scale_f32 v1, vcc, v2, v7, v2
	v_mul_f32_e32 v5, v1, v8
	v_fma_f32 v6, -v4, v5, v1
	v_fmac_f32_e32 v5, v6, v8
	v_fma_f32 v1, -v4, v5, v1
	v_div_fmas_f32 v1, v1, v8, v5
	v_div_fixup_f32 v2, v1, v7, v2
	global_store_dwordx2 v[12:13], v[2:3], off offset:512
	s_branch .LBB31_10
.LBB31_275:
	v_accvgpr_read_b32 v214, a8
	v_accvgpr_read_b32 v215, a9
	;; [unrolled: 1-line block ×10, first 2 shown]
	s_andn2_b64 vcc, exec, s[10:11]
	s_cbranch_vccnz .LBB31_8
.LBB31_276:
	s_abs_i32 s0, s80
	v_cvt_f32_u32_e32 v1, s0
	s_sub_i32 s5, 0, s0
	s_abs_i32 s4, s56
	s_xor_b32 s1, s56, s80
	v_rcp_iflag_f32_e32 v1, v1
	s_ashr_i32 s1, s1, 31
	v_mul_f32_e32 v1, 0x4f7ffffe, v1
	v_cvt_u32_f32_e32 v1, v1
	s_nop 0
	v_readfirstlane_b32 s6, v1
	s_mul_i32 s5, s5, s6
	s_mul_hi_u32 s5, s6, s5
	s_add_i32 s6, s6, s5
	s_mul_hi_u32 s5, s4, s6
	s_mul_i32 s6, s5, s0
	s_sub_i32 s4, s4, s6
	s_add_i32 s7, s5, 1
	s_sub_i32 s6, s4, s0
	s_cmp_ge_u32 s4, s0
	s_cselect_b32 s5, s7, s5
	s_cselect_b32 s4, s6, s4
	s_add_i32 s6, s5, 1
	s_cmp_ge_u32 s4, s0
	s_cselect_b32 s0, s6, s5
	s_abs_i32 s4, s79
	v_cvt_f32_u32_e32 v1, s4
	s_xor_b32 s0, s0, s1
	s_sub_i32 s5, 0, s4
	s_sub_i32 s8, s0, s1
	v_rcp_iflag_f32_e32 v1, v1
	s_mul_i32 s0, s8, s80
	s_sub_i32 s0, s56, s0
	s_abs_i32 s6, s0
	v_mul_f32_e32 v1, 0x4f7ffffe, v1
	v_cvt_u32_f32_e32 v1, v1
	s_xor_b32 s1, s0, s79
	s_ashr_i32 s1, s1, 31
	v_readfirstlane_b32 s7, v1
	s_mul_i32 s5, s5, s7
	s_mul_hi_u32 s5, s7, s5
	s_add_i32 s7, s7, s5
	s_mul_hi_u32 s5, s6, s7
	s_mul_i32 s7, s5, s4
	s_sub_i32 s6, s6, s7
	s_add_i32 s9, s5, 1
	s_sub_i32 s7, s6, s4
	s_cmp_ge_u32 s6, s4
	s_cselect_b32 s5, s9, s5
	s_cselect_b32 s6, s7, s6
	s_add_i32 s7, s5, 1
	s_cmp_ge_u32 s6, s4
	s_cselect_b32 s4, s7, s5
	s_abs_i32 s5, s78
	v_cvt_f32_u32_e32 v1, s5
	s_xor_b32 s4, s4, s1
	s_sub_i32 s6, 0, s5
	s_sub_i32 s9, s4, s1
	v_rcp_iflag_f32_e32 v1, v1
	s_mul_i32 s1, s9, s79
	s_sub_i32 s1, s0, s1
	s_abs_i32 s4, s1
	v_mul_f32_e32 v1, 0x4f7ffffe, v1
	v_cvt_u32_f32_e32 v1, v1
	s_xor_b32 s0, s1, s78
	s_ashr_i32 s0, s0, 31
	v_readfirstlane_b32 s7, v1
	s_mul_i32 s6, s6, s7
	s_mul_hi_u32 s6, s7, s6
	s_add_i32 s7, s7, s6
	s_mul_hi_u32 s6, s4, s7
	s_mul_i32 s7, s6, s5
	s_sub_i32 s4, s4, s7
	s_add_i32 s10, s6, 1
	s_sub_i32 s7, s4, s5
	s_cmp_ge_u32 s4, s5
	s_cselect_b32 s6, s10, s6
	s_cselect_b32 s4, s7, s4
	s_add_i32 s7, s6, 1
	s_cmp_ge_u32 s4, s5
	s_cselect_b32 s4, s7, s6
	s_xor_b32 s4, s4, s0
	s_sub_i32 s0, s4, s0
	s_mul_i32 s4, s0, s78
	s_sub_i32 s1, s1, s4
	s_ashr_i32 s4, s1, 31
	s_abs_i32 s1, s1
	s_mul_hi_u32 s5, s1, s52
	s_mul_i32 s6, s5, s82
	s_sub_i32 s1, s1, s6
	s_xor_b32 s4, s4, s42
	s_add_i32 s6, s5, 1
	s_sub_i32 s7, s1, s82
	s_cmp_ge_u32 s1, s82
	s_cselect_b32 s5, s6, s5
	s_cselect_b32 s1, s7, s1
	s_add_i32 s6, s5, 1
	s_cmp_ge_u32 s1, s82
	s_cselect_b32 s1, s6, s5
	s_abs_i32 s10, s58
	v_cvt_f32_u32_e32 v1, s10
	s_xor_b32 s1, s1, s4
	s_sub_i32 s1, s1, s4
	s_cmp_eq_u64 s[26:27], 0
	v_rcp_iflag_f32_e32 v1, v1
	s_nop 0
	v_mul_f32_e32 v1, 0x4f7ffffe, v1
	v_cvt_u32_f32_e32 v1, v1
	s_nop 0
	v_readfirstlane_b32 s13, v1
	s_cbranch_scc1 .LBB31_278
; %bb.277:
	s_mul_i32 s4, s8, s77
	s_add_i32 s4, s1, s4
	s_ashr_i32 s5, s4, 31
	s_lshl_b64 s[4:5], s[4:5], 2
	s_add_u32 s4, s26, s4
	s_addc_u32 s5, s27, s5
	v_mov_b32_e32 v1, 0
	global_load_dword v1, v1, s[4:5]
	s_waitcnt vmcnt(0)
	v_ashrrev_i32_e32 v2, 31, v1
	v_lshrrev_b32_e32 v2, 26, v2
	v_add_u32_e32 v1, v1, v2
	v_ashrrev_i32_e32 v1, 6, v1
	v_min_i32_e32 v180, v180, v1
.LBB31_278:
	s_mul_i32 s4, s9, s3
	s_lshl_b32 s12, s0, 3
	s_add_i32 s0, s12, s4
	s_mul_i32 s4, s8, s55
	s_ashr_i32 s5, s4, 31
	s_add_u32 s4, s16, s4
	s_mul_i32 s0, s0, s54
	s_addc_u32 s5, s17, s5
	s_ashr_i32 s7, s0, 31
	s_add_u32 s6, s4, s0
	s_addc_u32 s7, s5, s7
	v_and_b32_e32 v72, 0x3ff, v0
	s_lshl_b32 s11, s1, 2
	v_bfe_u32 v0, v99, 3, 7
	v_add_u32_e32 v2, s11, v0
	v_or_b32_e32 v0, s12, v41
	v_cmp_le_i32_e64 s[0:1], s36, v2
	v_cmp_le_i32_e64 s[4:5], s3, v0
	s_mov_b32 s14, 0x10001
	v_lshl_add_u32 v1, v72, 2, 0
	v_cmp_gt_i32_e32 vcc, s3, v0
	s_or_b64 s[0:1], s[0:1], s[4:5]
	s_and_saveexec_b64 s[4:5], s[0:1]
	s_xor_b64 s[0:1], exec, s[4:5]
; %bb.279:
	s_movk_i32 s4, 0x210
	v_mad_u32_u24 v0, v83, s4, v1
	v_mov_b32_e32 v2, 0
	ds_write2st64_b32 v0, v2, v2 offset1:1
                                        ; implicit-def: $vgpr2
; %bb.280:
	s_or_saveexec_b64 s[0:1], s[0:1]
	v_mul_lo_u32 v0, v88, s14
	s_xor_b64 exec, exec, s[0:1]
	s_cbranch_execz .LBB31_282
; %bb.281:
	v_mul_lo_u32 v2, v2, s57
	v_mul_lo_u32 v3, v41, s76
	v_add3_u32 v2, v2, v3, v72
	v_ashrrev_i32_e32 v3, 31, v2
	v_lshl_add_u64 v[2:3], v[2:3], 3, s[6:7]
	global_load_dwordx2 v[4:5], v[2:3], off
	global_load_dwordx2 v[6:7], v[2:3], off offset:512
	v_mul_u32_u24_e32 v2, 0x210, v83
	v_lshlrev_b32_e32 v3, 2, v72
	v_add3_u32 v2, 0, v2, v3
	s_waitcnt vmcnt(1)
	v_cvt_pk_f16_f32 v3, v4, v5
	s_waitcnt vmcnt(0)
	v_cvt_pk_f16_f32 v4, v6, v7
	v_pk_mul_f16 v3, v3, v0
	v_pk_mul_f16 v4, v4, v0
	ds_write2st64_b32 v2, v3, v4 offset1:1
.LBB31_282:
	s_or_b64 exec, exec, s[0:1]
	v_lshrrev_b32_e32 v3, 3, v87
	v_and_b32_e32 v2, 7, v87
	v_add_u32_e32 v3, s11, v3
	v_or_b32_e32 v4, s12, v2
	v_cmp_le_i32_e64 s[0:1], s36, v3
	v_cmp_le_i32_e64 s[4:5], s3, v4
	s_or_b64 s[0:1], s[0:1], s[4:5]
	s_and_saveexec_b64 s[4:5], s[0:1]
	s_xor_b64 s[0:1], exec, s[4:5]
; %bb.283:
	s_movk_i32 s4, 0x210
	v_mad_u32_u24 v2, v87, s4, v1
	v_mov_b32_e32 v3, 0
	ds_write2st64_b32 v2, v3, v3 offset1:1
                                        ; implicit-def: $vgpr3
                                        ; implicit-def: $vgpr2
                                        ; implicit-def: $vgpr87
; %bb.284:
	s_andn2_saveexec_b64 s[0:1], s[0:1]
	s_cbranch_execz .LBB31_286
; %bb.285:
	v_mul_lo_u32 v3, v3, s57
	v_mul_lo_u32 v2, v2, s76
	v_add3_u32 v2, v3, v2, v72
	v_ashrrev_i32_e32 v3, 31, v2
	v_lshl_add_u64 v[2:3], v[2:3], 3, s[6:7]
	global_load_dwordx2 v[4:5], v[2:3], off
	global_load_dwordx2 v[6:7], v[2:3], off offset:512
	v_mul_u32_u24_e32 v2, 0x210, v87
	v_lshlrev_b32_e32 v3, 2, v72
	v_add3_u32 v2, 0, v2, v3
	s_waitcnt vmcnt(1)
	v_cvt_pk_f16_f32 v3, v4, v5
	s_waitcnt vmcnt(0)
	v_cvt_pk_f16_f32 v4, v6, v7
	v_pk_mul_f16 v3, v3, v0
	v_pk_mul_f16 v4, v4, v0
	ds_write2st64_b32 v2, v3, v4 offset1:1
.LBB31_286:
	s_or_b64 exec, exec, s[0:1]
	v_lshrrev_b32_e32 v2, 3, v86
	v_add_u32_e32 v2, s11, v2
	v_cmp_le_i32_e64 s[0:1], s36, v2
	s_xor_b64 s[4:5], vcc, -1
	s_or_b64 s[0:1], s[0:1], s[4:5]
	s_and_saveexec_b64 s[14:15], s[0:1]
	s_xor_b64 s[0:1], exec, s[14:15]
; %bb.287:
	s_movk_i32 s14, 0x210
	v_mad_u32_u24 v2, v86, s14, v1
	v_mov_b32_e32 v3, 0
	ds_write2st64_b32 v2, v3, v3 offset1:1
                                        ; implicit-def: $vgpr2
                                        ; implicit-def: $vgpr86
; %bb.288:
	s_andn2_saveexec_b64 s[0:1], s[0:1]
	s_cbranch_execz .LBB31_290
; %bb.289:
	v_mul_lo_u32 v2, v2, s57
	v_mul_lo_u32 v3, v41, s76
	v_add3_u32 v2, v2, v3, v72
	v_ashrrev_i32_e32 v3, 31, v2
	v_lshl_add_u64 v[2:3], v[2:3], 3, s[6:7]
	global_load_dwordx2 v[4:5], v[2:3], off
	global_load_dwordx2 v[6:7], v[2:3], off offset:512
	v_mul_u32_u24_e32 v2, 0x210, v86
	v_lshlrev_b32_e32 v3, 2, v72
	v_add3_u32 v2, 0, v2, v3
	s_waitcnt vmcnt(1)
	v_cvt_pk_f16_f32 v3, v4, v5
	s_waitcnt vmcnt(0)
	v_cvt_pk_f16_f32 v4, v6, v7
	v_pk_mul_f16 v3, v3, v0
	v_pk_mul_f16 v4, v4, v0
	ds_write2st64_b32 v2, v3, v4 offset1:1
.LBB31_290:
	s_or_b64 exec, exec, s[0:1]
	v_lshrrev_b32_e32 v3, 3, v85
	v_and_b32_e32 v2, 7, v85
	v_add_u32_e32 v3, s11, v3
	v_or_b32_e32 v4, s12, v2
	v_cmp_le_i32_e32 vcc, s36, v3
	v_cmp_le_i32_e64 s[0:1], s3, v4
	s_or_b64 s[0:1], vcc, s[0:1]
	s_and_saveexec_b64 s[14:15], s[0:1]
	s_xor_b64 s[0:1], exec, s[14:15]
; %bb.291:
	s_movk_i32 s14, 0x210
	v_mad_u32_u24 v2, v85, s14, v1
	v_mov_b32_e32 v3, 0
	ds_write2st64_b32 v2, v3, v3 offset1:1
                                        ; implicit-def: $vgpr3
                                        ; implicit-def: $vgpr2
                                        ; implicit-def: $vgpr85
; %bb.292:
	s_andn2_saveexec_b64 s[0:1], s[0:1]
	s_cbranch_execz .LBB31_294
; %bb.293:
	v_mul_lo_u32 v3, v3, s57
	v_mul_lo_u32 v2, v2, s76
	v_add3_u32 v2, v3, v2, v72
	v_ashrrev_i32_e32 v3, 31, v2
	v_lshl_add_u64 v[2:3], v[2:3], 3, s[6:7]
	global_load_dwordx2 v[4:5], v[2:3], off
	global_load_dwordx2 v[6:7], v[2:3], off offset:512
	v_mul_u32_u24_e32 v2, 0x210, v85
	v_lshlrev_b32_e32 v3, 2, v72
	v_add3_u32 v2, 0, v2, v3
	s_waitcnt vmcnt(1)
	v_cvt_pk_f16_f32 v3, v4, v5
	s_waitcnt vmcnt(0)
	v_cvt_pk_f16_f32 v4, v6, v7
	v_pk_mul_f16 v3, v3, v0
	v_pk_mul_f16 v4, v4, v0
	ds_write2st64_b32 v2, v3, v4 offset1:1
.LBB31_294:
	s_or_b64 exec, exec, s[0:1]
	v_lshrrev_b32_e32 v2, 3, v84
	v_add_u32_e32 v2, s11, v2
	v_cmp_le_i32_e32 vcc, s36, v2
	s_or_b64 s[0:1], vcc, s[4:5]
	s_and_saveexec_b64 s[14:15], s[0:1]
	s_xor_b64 s[0:1], exec, s[14:15]
; %bb.295:
	s_movk_i32 s14, 0x210
	v_mad_u32_u24 v2, v84, s14, v1
	v_mov_b32_e32 v3, 0
	ds_write2st64_b32 v2, v3, v3 offset1:1
                                        ; implicit-def: $vgpr2
                                        ; implicit-def: $vgpr84
; %bb.296:
	s_andn2_saveexec_b64 s[0:1], s[0:1]
	s_cbranch_execz .LBB31_298
; %bb.297:
	v_mul_lo_u32 v2, v2, s57
	v_mul_lo_u32 v3, v41, s76
	v_add3_u32 v2, v2, v3, v72
	v_ashrrev_i32_e32 v3, 31, v2
	v_lshl_add_u64 v[2:3], v[2:3], 3, s[6:7]
	global_load_dwordx2 v[4:5], v[2:3], off
	global_load_dwordx2 v[6:7], v[2:3], off offset:512
	v_mul_u32_u24_e32 v2, 0x210, v84
	v_lshlrev_b32_e32 v3, 2, v72
	v_add3_u32 v2, 0, v2, v3
	s_waitcnt vmcnt(1)
	v_cvt_pk_f16_f32 v3, v4, v5
	s_waitcnt vmcnt(0)
	v_cvt_pk_f16_f32 v4, v6, v7
	v_pk_mul_f16 v3, v3, v0
	v_pk_mul_f16 v4, v4, v0
	ds_write2st64_b32 v2, v3, v4 offset1:1
.LBB31_298:
	s_or_b64 exec, exec, s[0:1]
	v_lshrrev_b32_e32 v3, 3, v82
	v_and_b32_e32 v2, 7, v82
	v_add_u32_e32 v3, s11, v3
	v_or_b32_e32 v4, s12, v2
	v_cmp_le_i32_e32 vcc, s36, v3
	v_cmp_le_i32_e64 s[0:1], s3, v4
	s_sub_i32 s14, 0, s10
	s_or_b64 s[0:1], vcc, s[0:1]
	s_and_saveexec_b64 s[16:17], s[0:1]
	s_xor_b64 s[0:1], exec, s[16:17]
; %bb.299:
	s_movk_i32 s15, 0x210
	v_mad_u32_u24 v2, v82, s15, v1
	v_mov_b32_e32 v3, 0
	ds_write2st64_b32 v2, v3, v3 offset1:1
                                        ; implicit-def: $vgpr3
                                        ; implicit-def: $vgpr2
                                        ; implicit-def: $vgpr82
; %bb.300:
	s_or_saveexec_b64 s[0:1], s[0:1]
	s_mul_i32 s14, s14, s13
	s_xor_b64 exec, exec, s[0:1]
	s_cbranch_execz .LBB31_302
; %bb.301:
	v_mul_lo_u32 v3, v3, s57
	v_mul_lo_u32 v2, v2, s76
	v_add3_u32 v2, v3, v2, v72
	v_ashrrev_i32_e32 v3, 31, v2
	v_lshl_add_u64 v[2:3], v[2:3], 3, s[6:7]
	global_load_dwordx2 v[4:5], v[2:3], off
	global_load_dwordx2 v[6:7], v[2:3], off offset:512
	v_mul_u32_u24_e32 v2, 0x210, v82
	v_lshlrev_b32_e32 v3, 2, v72
	v_add3_u32 v2, 0, v2, v3
	s_waitcnt vmcnt(1)
	v_cvt_pk_f16_f32 v3, v4, v5
	s_waitcnt vmcnt(0)
	v_cvt_pk_f16_f32 v4, v6, v7
	v_pk_mul_f16 v3, v3, v0
	v_pk_mul_f16 v4, v4, v0
	ds_write2st64_b32 v2, v3, v4 offset1:1
.LBB31_302:
	s_or_b64 exec, exec, s[0:1]
	v_lshrrev_b32_e32 v2, 3, v47
	v_add_u32_e32 v2, s11, v2
	v_cmp_le_i32_e32 vcc, s36, v2
	s_mul_hi_u32 s14, s13, s14
	s_or_b64 s[0:1], vcc, s[4:5]
	s_and_saveexec_b64 s[4:5], s[0:1]
	s_xor_b64 s[0:1], exec, s[4:5]
; %bb.303:
	s_movk_i32 s4, 0x210
	v_mad_u32_u24 v2, v47, s4, v1
	v_mov_b32_e32 v3, 0
	ds_write2st64_b32 v2, v3, v3 offset1:1
                                        ; implicit-def: $vgpr2
                                        ; implicit-def: $vgpr41
                                        ; implicit-def: $vgpr47
; %bb.304:
	s_or_saveexec_b64 s[0:1], s[0:1]
	s_abs_i32 s4, s8
	s_add_i32 s13, s13, s14
	s_xor_b64 exec, exec, s[0:1]
	s_cbranch_execz .LBB31_306
; %bb.305:
	v_mul_lo_u32 v2, v2, s57
	v_mul_lo_u32 v3, v41, s76
	v_add3_u32 v2, v2, v3, v72
	v_ashrrev_i32_e32 v3, 31, v2
	v_lshl_add_u64 v[2:3], v[2:3], 3, s[6:7]
	global_load_dwordx2 v[4:5], v[2:3], off
	global_load_dwordx2 v[6:7], v[2:3], off offset:512
	v_mul_u32_u24_e32 v2, 0x210, v47
	v_lshlrev_b32_e32 v3, 2, v72
	v_add3_u32 v2, 0, v2, v3
	s_waitcnt vmcnt(1)
	v_cvt_pk_f16_f32 v3, v4, v5
	s_waitcnt vmcnt(0)
	v_cvt_pk_f16_f32 v4, v6, v7
	v_pk_mul_f16 v3, v3, v0
	v_pk_mul_f16 v4, v4, v0
	ds_write2st64_b32 v2, v3, v4 offset1:1
.LBB31_306:
	s_or_b64 exec, exec, s[0:1]
	v_lshrrev_b32_e32 v3, 3, v39
	v_and_b32_e32 v2, 7, v39
	v_add_u32_e32 v3, s11, v3
	v_or_b32_e32 v4, s12, v2
	v_cmp_le_i32_e32 vcc, s36, v3
	v_cmp_le_i32_e64 s[0:1], s3, v4
	s_mul_hi_u32 s5, s4, s13
	s_or_b64 s[0:1], vcc, s[0:1]
	s_and_saveexec_b64 s[12:13], s[0:1]
	s_xor_b64 s[0:1], exec, s[12:13]
; %bb.307:
	s_movk_i32 s3, 0x210
	v_mad_u32_u24 v0, v39, s3, v1
	v_mov_b32_e32 v1, 0
	ds_write2st64_b32 v0, v1, v1 offset1:1
                                        ; implicit-def: $vgpr3
                                        ; implicit-def: $vgpr2
                                        ; implicit-def: $vgpr39
                                        ; implicit-def: $vgpr0
; %bb.308:
	s_or_saveexec_b64 s[0:1], s[0:1]
	s_ashr_i32 s3, s8, 31
	s_xor_b64 exec, exec, s[0:1]
	s_cbranch_execz .LBB31_310
; %bb.309:
	v_mul_lo_u32 v1, v3, s57
	v_mul_lo_u32 v2, v2, s76
	v_add3_u32 v2, v1, v2, v72
	v_ashrrev_i32_e32 v3, 31, v2
	v_lshl_add_u64 v[2:3], v[2:3], 3, s[6:7]
	global_load_dwordx2 v[4:5], v[2:3], off
	global_load_dwordx2 v[6:7], v[2:3], off offset:512
	v_mul_u32_u24_e32 v1, 0x210, v39
	v_lshlrev_b32_e32 v2, 2, v72
	v_add3_u32 v1, 0, v1, v2
	s_waitcnt vmcnt(1)
	v_cvt_pk_f16_f32 v2, v4, v5
	s_waitcnt vmcnt(0)
	v_cvt_pk_f16_f32 v3, v6, v7
	v_pk_mul_f16 v2, v2, v0
	v_pk_mul_f16 v0, v3, v0
	ds_write2st64_b32 v1, v2, v0 offset1:1
.LBB31_310:
	s_or_b64 exec, exec, s[0:1]
	s_mul_hi_u32 s0, s40, s8
	s_mul_i32 s1, s40, s3
	s_add_i32 s0, s0, s1
	s_mul_i32 s1, s41, s8
	s_add_i32 s0, s0, s1
	s_mul_i32 s1, s40, s8
	s_add_u32 s1, s18, s1
	s_mul_i32 s6, s9, s53
	s_addc_u32 s0, s19, s0
	s_ashr_i32 s7, s6, 31
	s_add_u32 s12, s1, s6
	s_mul_i32 s5, s5, s10
	s_addc_u32 s13, s0, s7
	s_sub_i32 s0, s4, s5
	s_sub_i32 s1, s0, s10
	s_cmp_ge_u32 s0, s10
	s_cselect_b32 s0, s1, s0
	s_sub_i32 s1, s0, s10
	s_cmp_ge_u32 s0, s10
	s_cselect_b32 s0, s1, s0
	s_xor_b32 s0, s0, s3
	s_sub_i32 s0, s0, s3
	s_ashr_i32 s1, s0, 31
	s_mul_i32 s1, s50, s1
	s_mul_hi_u32 s4, s50, s0
	s_add_i32 s1, s4, s1
	s_mul_i32 s4, s51, s0
	s_add_i32 s1, s1, s4
	s_mul_i32 s0, s50, s0
	s_add_u32 s4, s22, s0
	s_addc_u32 s5, s23, s1
	s_mul_hi_u32 s0, s48, s8
	s_mul_i32 s1, s48, s3
	s_add_i32 s0, s0, s1
	s_mul_i32 s1, s49, s8
	s_add_i32 s0, s0, s1
	s_mul_i32 s1, s48, s8
	s_add_u32 s1, s20, s1
	s_mul_i32 s9, s9, s43
	s_addc_u32 s0, s21, s0
	s_ashr_i32 s6, s9, 31
	s_add_u32 s3, s1, s9
	v_lshrrev_b32_e32 v1, 3, v72
	s_addc_u32 s10, s0, s6
	v_and_b32_e32 v33, 0x1ff0, v215
	s_movk_i32 s0, 0x210
	v_and_b32_e32 v73, 15, v72
	v_and_b32_e32 v1, 0x7e, v1
	v_mad_u32_u24 v0, v33, s0, 0
	v_mul_u32_u24_e32 v81, 0x210, v73
	v_lshlrev_b32_e32 v74, 2, v1
	v_add3_u32 v0, v0, v81, v74
	s_waitcnt lgkmcnt(0)
	s_barrier
	ds_read2_b64 v[28:31], v0 offset1:4
	ds_read2_b64 v[24:27], v0 offset0:8 offset1:12
	ds_read2_b64 v[20:23], v0 offset0:16 offset1:20
	;; [unrolled: 1-line block ×7, first 2 shown]
	v_lshrrev_b32_e32 v32, 5, v72
	v_add_u32_e32 v85, -1, v180
	v_lshl_add_u32 v82, v83, 1, v32
	v_cmp_ge_i32_e32 vcc, s72, v85
	v_mul_lo_u32 v34, s38, v82
	v_mul_lo_u32 v32, s34, v82
	s_and_b64 vcc, exec, vcc
	v_cmp_gt_u32_e64 s[0:1], 4, v82
	v_ashrrev_i32_e32 v35, 31, v34
	v_lshrrev_b32_e32 v77, 2, v72
	v_and_or_b32 v79, v72, 8, v33
	v_mbcnt_lo_u32_b32 v78, -1, 0
	v_ashrrev_i32_e32 v33, 31, v32
	v_and_b32_e32 v76, 8, v215
	v_lshlrev_b32_e32 v75, 1, v73
	s_waitcnt lgkmcnt(0)
	s_barrier
	s_cbranch_vccnz .LBB31_317
; %bb.311:
	v_add_u32_e32 v36, s11, v82
	v_mul_hi_u32 v37, s44, v36
	v_add_u32_e32 v37, v36, v37
	v_lshrrev_b32_e32 v37, s45, v37
	v_and_b32_e32 v54, 16, v214
	v_and_b32_e32 v70, 0xfc, v77
	v_mul_lo_u32 v37, v37, s36
	s_movk_i32 s8, 0x90
	v_mul_u32_u24_e32 v69, 0x210, v54
	v_add_u32_e32 v55, v70, v54
	v_lshrrev_b32_e32 v56, 3, v79
	v_add_u16_e32 v54, v70, v54
	v_sub_u32_e32 v37, v36, v37
	v_lshlrev_b32_e32 v36, 2, v72
	v_mad_u32_u24 v56, v56, s8, 0
	v_lshrrev_b16_e32 v54, 1, v54
	v_and_b32_e32 v36, 0x7c, v36
	v_mad_i64_i32 v[38:39], s[6:7], v37, s46, 0
	v_lshl_add_u32 v71, v54, 2, v56
	v_lshl_add_u32 v54, v55, 1, v56
	v_mad_u32_u24 v40, v82, s8, 0
	v_mul_u32_u24_e32 v41, 0x180, v82
	v_lshlrev_b32_e32 v42, 2, v36
	s_lshl_b32 s6, s38, 3
	v_add_u32_e32 v95, 64, v54
	v_add_u32_e32 v96, 0x44, v54
	v_mbcnt_hi_u32_b32 v54, -1, v78
	v_add_u32_e32 v86, v40, v36
	v_add3_u32 v87, v40, v41, v42
	v_add_u32_e32 v40, s6, v34
	v_and_b32_e32 v55, 64, v54
	v_add_u32_e32 v42, s6, v40
	v_add_u32_e32 v55, 64, v55
	v_xor_b32_e32 v56, 32, v54
	v_add_u32_e32 v44, s6, v42
	v_cmp_lt_i32_e32 vcc, v56, v55
	v_add_u32_e32 v46, s6, v44
	v_add_u32_e32 v48, s6, v46
	v_cndmask_b32_e32 v56, v54, v56, vcc
	v_lshlrev_b32_e32 v97, 2, v56
	v_xor_b32_e32 v56, 16, v54
	v_add_u32_e32 v50, s6, v48
	v_cmp_lt_i32_e32 vcc, v56, v55
	v_add_u32_e32 v52, s6, v50
	s_lshl_b32 s6, s34, 3
	v_cndmask_b32_e32 v54, v54, v56, vcc
	v_lshlrev_b32_e32 v98, 2, v54
	v_add_u32_e32 v54, s6, v32
	v_add_u32_e32 v56, s6, v54
	;; [unrolled: 1-line block ×7, first 2 shown]
	v_or_b32_e32 v80, 3, v77
	s_movk_i32 s6, 0x420
	v_lshl_add_u64 v[38:39], v[38:39], 1, s[4:5]
	v_mov_b32_e32 v37, 0
	v_add3_u32 v68, 0, v81, v74
	v_mul_u32_u24_e32 v70, 0x210, v70
	v_mul_u32_u24_e32 v80, 0x210, v80
	v_mad_u32_u24 v84, v76, s6, 0
	v_lshl_add_u64 v[38:39], v[38:39], 0, v[36:37]
	v_add_u32_e32 v88, 0x1080, v87
	v_ashrrev_i32_e32 v41, 31, v40
	v_add_u32_e32 v89, 0x2100, v87
	v_ashrrev_i32_e32 v43, 31, v42
	;; [unrolled: 2-line block ×7, first 2 shown]
	v_ashrrev_i32_e32 v55, 31, v54
	v_ashrrev_i32_e32 v57, 31, v56
	;; [unrolled: 1-line block ×7, first 2 shown]
	v_add3_u32 v99, v84, v70, v75
	v_add3_u32 v100, v84, v80, v75
	s_lshl_b32 s6, s72, 6
	v_mov_b32_e32 v84, 0xfeffffff
	v_lshlrev_b32_e32 v36, 2, v36
	v_add_u32_e32 v101, v68, v69
	v_add_u32_e32 v102, 0x8400, v71
	s_mov_b32 s14, 0x3fb8aa3b
	s_mov_b32 s15, 0xc2ce8ed0
	;; [unrolled: 1-line block ×5, first 2 shown]
	v_mov_b32_e32 v103, 0x7f800000
	v_mov_b32_e32 v134, v37
	;; [unrolled: 1-line block ×34, first 2 shown]
	s_ashr_i32 s7, s6, 31
	s_and_saveexec_b64 s[8:9], s[0:1]
	s_cbranch_execz .LBB31_313
.LBB31_312:
	v_lshl_add_u64 v[132:133], s[6:7], 1, v[38:39]
	global_load_dword v80, v[132:133], off
	s_waitcnt vmcnt(0)
	ds_write_b32 v86, v80 offset:33792
.LBB31_313:                             ; =>This Inner Loop Header: Depth=1
	s_or_b64 exec, exec, s[8:9]
	s_mul_hi_i32 s9, s6, s38
	s_mul_i32 s8, s6, s38
	s_lshl_b64 s[8:9], s[8:9], 2
	s_add_u32 s8, s12, s8
	s_addc_u32 s9, s13, s9
	v_lshl_add_u64 v[136:137], v[40:41], 2, s[8:9]
	v_lshl_add_u64 v[140:141], v[136:137], 0, v[36:37]
	;; [unrolled: 1-line block ×16, first 2 shown]
	global_load_dwordx4 v[136:139], v[132:133], off
	s_nop 0
	global_load_dwordx4 v[140:143], v[140:141], off
	s_nop 0
	;; [unrolled: 2-line block ×7, first 2 shown]
	global_load_dwordx4 v[164:167], v[164:165], off
	v_add_u32_e32 v80, 0x4000, v101
	s_mul_hi_i32 s9, s6, s34
	s_mul_i32 s8, s6, s34
	s_lshl_b64 s[8:9], s[8:9], 2
	s_add_u32 s8, s3, s8
	s_addc_u32 s9, s10, s9
	s_add_i32 s72, s72, 1
	s_add_i32 s6, s6, 64
	s_waitcnt vmcnt(7)
	ds_write_b128 v87, v[136:139]
	s_waitcnt vmcnt(6)
	ds_write_b128 v88, v[140:143]
	;; [unrolled: 2-line block ×8, first 2 shown]
	s_waitcnt lgkmcnt(0)
	s_barrier
	ds_read2_b64 v[136:139], v101 offset1:4
	ds_read2_b64 v[140:143], v80 offset0:64 offset1:68
	s_waitcnt lgkmcnt(1)
	v_mfma_f32_16x16x16_f16 a[0:3], v[136:137], v[28:29], 0
	ds_read2_b64 v[144:147], v101 offset0:56 offset1:60
	v_mfma_f32_16x16x16_f16 a[0:3], v[138:139], v[30:31], a[0:3]
	ds_read2_b64 v[136:139], v101 offset0:8 offset1:12
	s_waitcnt lgkmcnt(2)
	v_mfma_f32_16x16x16_f16 a[4:7], v[140:141], v[28:29], 0
	v_mfma_f32_16x16x16_f16 a[4:7], v[142:143], v[30:31], a[4:7]
	ds_read2_b64 v[140:143], v80 offset0:72 offset1:76
	s_waitcnt lgkmcnt(1)
	v_mfma_f32_16x16x16_f16 a[0:3], v[136:137], v[24:25], a[0:3]
	;; [unrolled: 4-line block ×12, first 2 shown]
	v_mfma_f32_16x16x16_f16 a[0:3], v[138:139], v[6:7], a[0:3]
	ds_read2_b64 v[136:139], v80 offset0:120 offset1:124
	s_waitcnt lgkmcnt(0)
	s_barrier
	v_mfma_f32_16x16x16_f16 a[4:7], v[140:141], v[4:5], a[4:7]
	ds_read2_b32 v[132:133], v102 offset1:1
	ds_read_b32 v80, v95 offset:33792
	ds_read_b32 v135, v96 offset:33792
	v_mfma_f32_16x16x16_f16 a[4:7], v[142:143], v[6:7], a[4:7]
	s_waitcnt lgkmcnt(2)
	v_cvt_f32_f16_e32 v140, v132
	v_mfma_f32_16x16x16_f16 a[0:3], v[144:145], v[0:1], a[0:3]
	v_cvt_f32_f16_sdwa v132, v132 dst_sel:DWORD dst_unused:UNUSED_PAD src0_sel:WORD_1
	s_waitcnt lgkmcnt(0)
	v_cvt_f32_f16_e32 v141, v135
	v_cvt_f32_f16_sdwa v135, v135 dst_sel:DWORD dst_unused:UNUSED_PAD src0_sel:WORD_1
	v_mfma_f32_16x16x16_f16 a[4:7], v[136:137], v[0:1], a[4:7]
	v_cvt_f32_f16_e32 v136, v133
	v_cvt_f32_f16_sdwa v133, v133 dst_sel:DWORD dst_unused:UNUSED_PAD src0_sel:WORD_1
	v_cvt_f32_f16_e32 v137, v80
	v_mfma_f32_16x16x16_f16 a[0:3], v[146:147], v[2:3], a[0:3]
	v_cvt_f32_f16_sdwa v80, v80 dst_sel:DWORD dst_unused:UNUSED_PAD src0_sel:WORD_1
	v_mfma_f32_16x16x16_f16 a[4:7], v[138:139], v[2:3], a[4:7]
	s_nop 5
	v_accvgpr_read_b32 v138, a0
	v_accvgpr_read_b32 v139, a1
	;; [unrolled: 1-line block ×6, first 2 shown]
	v_add_f32_e32 v138, v138, v140
	v_add_f32_e32 v132, v139, v132
	v_accvgpr_read_b32 v144, a4
	v_accvgpr_read_b32 v146, a6
	v_add_f32_e32 v136, v142, v136
	v_add_f32_e32 v133, v143, v133
	;; [unrolled: 1-line block ×10, first 2 shown]
	v_max3_f32 v80, v84, v80, v135
	v_add_f32_e32 v143, 0x40051340, v137
	v_add_f32_e32 v144, 0x40051340, v139
	v_max3_f32 v80, v80, v141, v142
	v_add_f32_e32 v145, 0x40051340, v140
	v_add_f32_e32 v146, 0x40051340, v178
	v_max3_f32 v80, v80, v143, v144
	v_max3_f32 v80, v80, v145, v146
	ds_bpermute_b32 v135, v97, v80
	s_waitcnt lgkmcnt(0)
	v_max_f32_e32 v135, v135, v135
	v_max_f32_e32 v80, v80, v135
	ds_bpermute_b32 v135, v98, v80
	s_waitcnt lgkmcnt(0)
	v_max_f32_e32 v135, v135, v135
	v_max_f32_e32 v80, v80, v135
	v_sub_f32_e32 v135, v138, v80
	v_sub_f32_e32 v132, v132, v80
	;; [unrolled: 1-line block ×3, first 2 shown]
	v_mul_f32_e32 v136, 0x3fb8aa3b, v135
	v_sub_f32_e32 v141, v137, v80
	v_mul_f32_e32 v137, 0x3fb8aa3b, v132
	v_fma_f32 v144, v135, s14, -v136
	v_rndne_f32_e32 v145, v136
	v_sub_f32_e32 v133, v133, v80
	v_mul_f32_e32 v142, 0x3fb8aa3b, v138
	v_fma_f32 v146, v132, s14, -v137
	v_rndne_f32_e32 v147, v137
	v_fmac_f32_e32 v144, 0x32a5705f, v135
	v_sub_f32_e32 v136, v136, v145
	v_mul_f32_e32 v143, 0x3fb8aa3b, v133
	v_fma_f32 v148, v138, s14, -v142
	v_rndne_f32_e32 v149, v142
	v_fmac_f32_e32 v146, 0x32a5705f, v132
	v_sub_f32_e32 v137, v137, v147
	v_add_f32_e32 v136, v136, v144
	v_fma_f32 v150, v133, s14, -v143
	v_rndne_f32_e32 v151, v143
	v_cvt_i32_f32_e32 v145, v145
	v_fmac_f32_e32 v148, 0x32a5705f, v138
	v_sub_f32_e32 v142, v142, v149
	v_add_f32_e32 v137, v137, v146
	v_exp_f32_e32 v136, v136
	v_cvt_i32_f32_e32 v147, v147
	v_fmac_f32_e32 v150, 0x32a5705f, v133
	v_sub_f32_e32 v143, v143, v151
	v_add_f32_e32 v142, v142, v148
	v_exp_f32_e32 v137, v137
	v_cvt_i32_f32_e32 v149, v149
	v_add_f32_e32 v143, v143, v150
	v_exp_f32_e32 v142, v142
	v_cvt_i32_f32_e32 v151, v151
	v_exp_f32_e32 v143, v143
	v_ldexp_f32 v136, v136, v145
	v_cmp_ngt_f32_e32 vcc, s15, v135
	v_ldexp_f32 v137, v137, v147
	v_ldexp_f32 v142, v142, v149
	v_cndmask_b32_e32 v136, 0, v136, vcc
	v_cmp_ngt_f32_e32 vcc, s15, v132
	v_ldexp_f32 v143, v143, v151
	v_sub_f32_e32 v139, v139, v80
	v_cndmask_b32_e32 v137, 0, v137, vcc
	v_cmp_ngt_f32_e32 vcc, s15, v138
	v_sub_f32_e32 v84, v84, v80
	s_nop 0
	v_cndmask_b32_e32 v142, 0, v142, vcc
	v_cmp_ngt_f32_e32 vcc, s15, v133
	s_nop 1
	v_cndmask_b32_e32 v143, 0, v143, vcc
	v_cmp_nlt_f32_e32 vcc, s16, v135
	s_nop 1
	v_cndmask_b32_e32 v135, v103, v136, vcc
	v_cmp_nlt_f32_e32 vcc, s16, v132
	;; [unrolled: 3-line block ×3, first 2 shown]
	v_mul_f32_e32 v138, 0x3fb8aa3b, v141
	v_rndne_f32_e32 v144, v138
	v_cndmask_b32_e32 v137, v103, v142, vcc
	v_fma_f32 v142, v141, s14, -v138
	v_fmac_f32_e32 v142, 0x32a5705f, v141
	v_sub_f32_e32 v138, v138, v144
	v_add_f32_e32 v138, v138, v142
	v_exp_f32_e32 v142, v138
	v_cvt_i32_f32_e32 v144, v144
	v_add_f32_e32 v132, v135, v136
	v_cmp_nlt_f32_e32 vcc, s16, v133
	v_add_f32_e32 v132, v137, v132
	s_nop 0
	v_cndmask_b32_e32 v138, v103, v143, vcc
	v_add_f32_e32 v133, v138, v132
	v_ldexp_f32 v132, v142, v144
	v_mul_f32_e32 v142, 0x3fb8aa3b, v139
	v_fma_f32 v143, v139, s14, -v142
	v_rndne_f32_e32 v144, v142
	v_fmac_f32_e32 v143, 0x32a5705f, v139
	v_sub_f32_e32 v142, v142, v144
	v_add_f32_e32 v142, v142, v143
	v_exp_f32_e32 v142, v142
	v_cvt_i32_f32_e32 v143, v144
	v_cmp_ngt_f32_e32 vcc, s15, v141
	s_nop 1
	v_cndmask_b32_e32 v132, 0, v132, vcc
	v_cmp_nlt_f32_e32 vcc, s16, v141
	s_nop 1
	v_cndmask_b32_e32 v132, v103, v132, vcc
	v_add_f32_e32 v141, v132, v133
	v_ldexp_f32 v133, v142, v143
	v_cmp_ngt_f32_e32 vcc, s15, v139
	s_nop 1
	v_cndmask_b32_e32 v133, 0, v133, vcc
	v_cmp_nlt_f32_e32 vcc, s16, v139
	v_sub_f32_e32 v139, v140, v80
	v_mul_f32_e32 v140, 0x3fb8aa3b, v139
	v_cndmask_b32_e32 v133, v103, v133, vcc
	v_rndne_f32_e32 v142, v140
	v_add_f32_e32 v179, v133, v141
	v_fma_f32 v141, v139, s14, -v140
	v_sub_f32_e32 v140, v140, v142
	v_cvt_i32_f32_e32 v181, v142
	v_lshl_add_u64 v[142:143], v[54:55], 2, s[8:9]
	v_lshl_add_u64 v[144:145], v[142:143], 0, v[36:37]
	;; [unrolled: 1-line block ×7, first 2 shown]
	v_fmac_f32_e32 v141, 0x32a5705f, v139
	v_lshl_add_u64 v[162:163], v[142:143], 0, v[36:37]
	v_lshl_add_u64 v[142:143], v[62:63], 2, s[8:9]
	v_add_f32_e32 v140, v140, v141
	v_lshl_add_u64 v[166:167], v[142:143], 0, v[36:37]
	v_lshl_add_u64 v[142:143], v[64:65], 2, s[8:9]
	v_exp_f32_e32 v180, v140
	v_lshl_add_u64 v[140:141], v[32:33], 2, s[8:9]
	v_lshl_add_u64 v[170:171], v[142:143], 0, v[36:37]
	v_lshl_add_u64 v[142:143], v[66:67], 2, s[8:9]
	v_lshl_add_u64 v[140:141], v[140:141], 0, v[36:37]
	v_lshl_add_u64 v[174:175], v[142:143], 0, v[36:37]
	global_load_dwordx4 v[140:143], v[140:141], off
	s_nop 0
	global_load_dwordx4 v[150:153], v[144:145], off
	global_load_dwordx4 v[154:157], v[146:147], off
	;; [unrolled: 1-line block ×3, first 2 shown]
	s_nop 0
	global_load_dwordx4 v[162:165], v[162:163], off
	s_nop 0
	global_load_dwordx4 v[166:169], v[166:167], off
	;; [unrolled: 2-line block ×4, first 2 shown]
	v_sub_f32_e32 v145, v178, v80
	v_mul_f32_e32 v146, 0x3fb8aa3b, v145
	v_fma_f32 v147, v145, s14, -v146
	v_rndne_f32_e32 v148, v146
	v_fmac_f32_e32 v147, 0x32a5705f, v145
	v_sub_f32_e32 v146, v146, v148
	v_add_f32_e32 v146, v146, v147
	v_cvt_i32_f32_e32 v147, v148
	v_mul_f32_e32 v148, 0x3fb8aa3b, v84
	v_fma_f32 v149, v84, s14, -v148
	v_rndne_f32_e32 v178, v148
	v_fmac_f32_e32 v149, 0x32a5705f, v84
	v_sub_f32_e32 v148, v148, v178
	v_exp_f32_e32 v146, v146
	v_add_f32_e32 v148, v148, v149
	v_exp_f32_e32 v148, v148
	v_cvt_i32_f32_e32 v149, v178
	v_ldexp_f32 v144, v180, v181
	v_cmp_ngt_f32_e32 vcc, s15, v139
	v_ldexp_f32 v146, v146, v147
	v_ldexp_f32 v147, v148, v149
	v_cndmask_b32_e32 v144, 0, v144, vcc
	v_cmp_nlt_f32_e32 vcc, s16, v139
	s_waitcnt vmcnt(7)
	ds_write_b128 v87, v[140:143]
	s_waitcnt vmcnt(6)
	ds_write_b128 v88, v[150:153]
	;; [unrolled: 2-line block ×8, first 2 shown]
	v_cndmask_b32_e32 v139, v103, v144, vcc
	v_cmp_ngt_f32_e32 vcc, s15, v145
	v_add_f32_e32 v144, v139, v179
	s_waitcnt lgkmcnt(0)
	v_cndmask_b32_e32 v146, 0, v146, vcc
	v_cmp_ngt_f32_e32 vcc, s15, v84
	s_barrier
	s_nop 0
	v_cndmask_b32_e32 v147, 0, v147, vcc
	v_cmp_nlt_f32_e32 vcc, s16, v84
	s_nop 1
	v_cndmask_b32_e32 v147, v103, v147, vcc
	v_cmp_le_f32_e32 vcc, s17, v84
	s_nop 1
	v_cndmask_b32_e32 v147, 0, v147, vcc
	v_cvt_f16_f32_e32 v148, v147
	v_cmp_nlt_f32_e32 vcc, s16, v145
	s_nop 1
	v_cndmask_b32_e32 v145, v103, v146, vcc
	v_add_f32_e32 v84, v145, v144
	v_fmac_f32_e32 v84, v134, v147
	v_mul_u32_u24_e32 v134, 0x10001, v148
	v_pk_mul_f16 v131, v131, v134
	v_pk_mul_f16 v130, v130, v134
	;; [unrolled: 1-line block ×32, first 2 shown]
	ds_read_u16 v68, v99 offset:1056
	ds_read_u16 v134, v99 offset:1088
	;; [unrolled: 1-line block ×8, first 2 shown]
	ds_read_u16 v69, v100
	ds_read_u16 v152, v100 offset:32
	ds_read_u16 v153, v100 offset:64
	;; [unrolled: 1-line block ×7, first 2 shown]
	v_cvt_f32_f16_e32 v128, v131
	v_cvt_f32_f16_sdwa v129, v131 dst_sel:DWORD dst_unused:UNUSED_PAD src0_sel:WORD_1
	v_cvt_f32_f16_e32 v131, v130
	v_cvt_f32_f16_sdwa v130, v130 dst_sel:DWORD dst_unused:UNUSED_PAD src0_sel:WORD_1
	s_waitcnt lgkmcnt(7)
	v_perm_b32 v71, v69, v68, s18
	ds_read_u16 v68, v99
	ds_read_u16 v159, v99 offset:32
	ds_read_u16 v160, v99 offset:64
	;; [unrolled: 1-line block ×15, first 2 shown]
	s_waitcnt lgkmcnt(7)
	v_perm_b32 v70, v69, v68, s18
	v_cvt_pk_f16_f32 v69, v137, v138
	v_cvt_pk_f16_f32 v68, v135, v136
	v_accvgpr_write_b32 a0, v128
	v_accvgpr_write_b32 a1, v129
	;; [unrolled: 1-line block ×4, first 2 shown]
	v_cvt_f32_f16_sdwa v213, v116 dst_sel:DWORD dst_unused:UNUSED_PAD src0_sel:WORD_1
	v_cmp_lt_i32_e32 vcc, s72, v85
	v_mfma_f32_16x16x16_f16 a[0:3], v[70:71], v[68:69], a[0:3]
	s_and_b64 vcc, exec, vcc
	s_nop 6
	v_accvgpr_read_b32 v70, a0
	v_accvgpr_read_b32 v71, a1
	v_cvt_f16_f32_e32 v70, v70
	v_cvt_f16_f32_e32 v71, v71
	v_accvgpr_read_b32 v128, a2
	v_accvgpr_read_b32 v129, a3
	v_cvt_f16_f32_e32 v128, v128
	v_cvt_f16_f32_e32 v129, v129
	v_cvt_f32_f16_e32 v130, v70
	v_cvt_f32_f16_e32 v131, v71
	ds_read_u16 v70, v99 offset:17952
	ds_read_u16 v137, v99 offset:17984
	;; [unrolled: 1-line block ×16, first 2 shown]
	v_cvt_f32_f16_e32 v135, v128
	v_cvt_f32_f16_e32 v136, v129
	s_waitcnt lgkmcnt(7)
	v_perm_b32 v129, v71, v70, s18
	ds_read_u16 v70, v99 offset:16896
	ds_read_u16 v186, v99 offset:16928
	;; [unrolled: 1-line block ×16, first 2 shown]
	s_waitcnt lgkmcnt(7)
	v_perm_b32 v128, v71, v70, s18
	v_cvt_pk_f16_f32 v71, v139, v145
	v_cvt_pk_f16_f32 v70, v132, v133
	v_accvgpr_write_b32 a0, v130
	v_accvgpr_write_b32 a1, v131
	;; [unrolled: 1-line block ×4, first 2 shown]
	v_cvt_f32_f16_e32 v135, v144
	v_cvt_f32_f16_sdwa v136, v144 dst_sel:DWORD dst_unused:UNUSED_PAD src0_sel:WORD_1
	v_mfma_f32_16x16x16_f16 a[0:3], v[128:129], v[70:71], a[0:3]
	v_cvt_f32_f16_e32 v139, v178
	v_cvt_f32_f16_sdwa v144, v178 dst_sel:DWORD dst_unused:UNUSED_PAD src0_sel:WORD_1
	v_perm_b32 v129, v152, v134, s18
	v_perm_b32 v128, v166, v159, s18
	v_cvt_f32_f16_sdwa v145, v122 dst_sel:DWORD dst_unused:UNUSED_PAD src0_sel:WORD_1
	v_cvt_f32_f16_sdwa v152, v120 dst_sel:DWORD dst_unused:UNUSED_PAD src0_sel:WORD_1
	s_nop 1
	v_accvgpr_read_b32 v130, a0
	v_accvgpr_read_b32 v131, a1
	;; [unrolled: 1-line block ×4, first 2 shown]
	v_accvgpr_write_b32 a0, v135
	v_accvgpr_write_b32 a1, v136
	;; [unrolled: 1-line block ×4, first 2 shown]
	v_cvt_f32_f16_sdwa v144, v126 dst_sel:DWORD dst_unused:UNUSED_PAD src0_sel:WORD_1
	v_cvt_pk_f16_f32 v131, v130, v131
	v_mfma_f32_16x16x16_f16 a[0:3], v[128:129], v[68:69], a[0:3]
	v_cvt_pk_f16_f32 v130, v132, v133
	s_nop 6
	v_accvgpr_read_b32 v128, a0
	v_accvgpr_read_b32 v129, a1
	;; [unrolled: 1-line block ×4, first 2 shown]
	v_cvt_f16_f32_e32 v128, v128
	v_cvt_f16_f32_e32 v129, v129
	;; [unrolled: 1-line block ×4, first 2 shown]
	v_cvt_f32_f16_e32 v136, v128
	v_cvt_f32_f16_e32 v139, v129
	v_cvt_f32_f16_e32 v134, v134
	v_cvt_f32_f16_e32 v135, v135
	v_perm_b32 v129, v179, v137, s18
	s_waitcnt lgkmcnt(6)
	v_perm_b32 v128, v193, v186, s18
	v_accvgpr_write_b32 a0, v136
	v_accvgpr_write_b32 a1, v139
	v_accvgpr_write_b32 a2, v134
	v_accvgpr_write_b32 a3, v135
	v_cvt_f32_f16_e32 v136, v127
	v_cvt_f32_f16_sdwa v137, v127 dst_sel:DWORD dst_unused:UNUSED_PAD src0_sel:WORD_1
	v_mfma_f32_16x16x16_f16 a[0:3], v[128:129], v[70:71], a[0:3]
	v_cvt_f32_f16_e32 v139, v126
	v_perm_b32 v127, v153, v140, s18
	v_perm_b32 v126, v167, v160, s18
	v_cvt_f32_f16_sdwa v153, v118 dst_sel:DWORD dst_unused:UNUSED_PAD src0_sel:WORD_1
	s_nop 3
	v_accvgpr_read_b32 v128, a0
	v_accvgpr_read_b32 v129, a1
	;; [unrolled: 1-line block ×4, first 2 shown]
	v_accvgpr_write_b32 a0, v136
	v_accvgpr_write_b32 a1, v137
	;; [unrolled: 1-line block ×4, first 2 shown]
	v_cvt_f32_f16_sdwa v144, v124 dst_sel:DWORD dst_unused:UNUSED_PAD src0_sel:WORD_1
	v_cvt_pk_f16_f32 v129, v128, v129
	v_mfma_f32_16x16x16_f16 a[0:3], v[126:127], v[68:69], a[0:3]
	v_cvt_pk_f16_f32 v128, v134, v135
	s_nop 6
	v_accvgpr_read_b32 v126, a0
	v_accvgpr_read_b32 v127, a1
	;; [unrolled: 1-line block ×4, first 2 shown]
	v_cvt_f16_f32_e32 v126, v126
	v_cvt_f16_f32_e32 v127, v127
	v_cvt_f16_f32_e32 v136, v136
	v_cvt_f16_f32_e32 v137, v137
	v_cvt_f32_f16_e32 v139, v126
	v_cvt_f32_f16_e32 v140, v127
	v_cvt_f32_f16_e32 v136, v136
	v_cvt_f32_f16_e32 v137, v137
	v_perm_b32 v127, v180, v138, s18
	s_waitcnt lgkmcnt(5)
	v_perm_b32 v126, v194, v187, s18
	v_accvgpr_write_b32 a0, v139
	v_accvgpr_write_b32 a1, v140
	v_accvgpr_write_b32 a2, v136
	v_accvgpr_write_b32 a3, v137
	v_cvt_f32_f16_e32 v138, v125
	v_cvt_f32_f16_sdwa v139, v125 dst_sel:DWORD dst_unused:UNUSED_PAD src0_sel:WORD_1
	v_mfma_f32_16x16x16_f16 a[0:3], v[126:127], v[70:71], a[0:3]
	v_cvt_f32_f16_e32 v140, v124
	v_perm_b32 v125, v154, v141, s18
	v_perm_b32 v124, v168, v161, s18
	v_cvt_f32_f16_sdwa v154, v148 dst_sel:DWORD dst_unused:UNUSED_PAD src0_sel:WORD_1
	s_nop 3
	v_accvgpr_read_b32 v126, a0
	v_accvgpr_read_b32 v127, a1
	;; [unrolled: 1-line block ×4, first 2 shown]
	v_accvgpr_write_b32 a0, v138
	v_accvgpr_write_b32 a1, v139
	;; [unrolled: 1-line block ×4, first 2 shown]
	v_cvt_f32_f16_e32 v144, v122
	v_perm_b32 v122, v169, v162, s18
	v_mfma_f32_16x16x16_f16 a[0:3], v[124:125], v[68:69], a[0:3]
	v_cvt_pk_f16_f32 v127, v126, v127
	v_cvt_pk_f16_f32 v126, v136, v137
	s_nop 5
	v_accvgpr_read_b32 v124, a0
	v_accvgpr_read_b32 v125, a1
	;; [unrolled: 1-line block ×4, first 2 shown]
	v_cvt_f16_f32_e32 v124, v124
	v_cvt_f16_f32_e32 v125, v125
	;; [unrolled: 1-line block ×4, first 2 shown]
	v_cvt_f32_f16_e32 v140, v124
	v_cvt_f32_f16_e32 v141, v125
	;; [unrolled: 1-line block ×4, first 2 shown]
	v_perm_b32 v125, v181, v173, s18
	s_waitcnt lgkmcnt(4)
	v_perm_b32 v124, v195, v188, s18
	v_accvgpr_write_b32 a0, v140
	v_accvgpr_write_b32 a1, v141
	;; [unrolled: 1-line block ×4, first 2 shown]
	v_cvt_f32_f16_e32 v140, v123
	v_cvt_f32_f16_sdwa v141, v123 dst_sel:DWORD dst_unused:UNUSED_PAD src0_sel:WORD_1
	v_mfma_f32_16x16x16_f16 a[0:3], v[124:125], v[70:71], a[0:3]
	v_perm_b32 v123, v155, v142, s18
	v_cvt_f32_f16_sdwa v155, v146 dst_sel:DWORD dst_unused:UNUSED_PAD src0_sel:WORD_1
	s_nop 5
	v_accvgpr_read_b32 v124, a0
	v_accvgpr_read_b32 v125, a1
	v_accvgpr_read_b32 v138, a2
	v_accvgpr_read_b32 v139, a3
	v_accvgpr_write_b32 a0, v140
	v_accvgpr_write_b32 a1, v141
	v_accvgpr_write_b32 a2, v144
	v_accvgpr_write_b32 a3, v145
	v_cvt_f32_f16_e32 v145, v120
	v_perm_b32 v120, v170, v163, s18
	v_mfma_f32_16x16x16_f16 a[0:3], v[122:123], v[68:69], a[0:3]
	v_cvt_pk_f16_f32 v125, v124, v125
	v_cvt_pk_f16_f32 v124, v138, v139
	s_nop 5
	v_accvgpr_read_b32 v122, a0
	v_accvgpr_read_b32 v123, a1
	v_accvgpr_read_b32 v140, a2
	v_accvgpr_read_b32 v141, a3
	v_cvt_f16_f32_e32 v122, v122
	v_cvt_f16_f32_e32 v123, v123
	v_cvt_f16_f32_e32 v140, v140
	v_cvt_f16_f32_e32 v141, v141
	v_cvt_f32_f16_e32 v142, v122
	v_cvt_f32_f16_e32 v144, v123
	v_cvt_f32_f16_e32 v140, v140
	v_cvt_f32_f16_e32 v141, v141
	v_perm_b32 v123, v182, v174, s18
	s_waitcnt lgkmcnt(3)
	v_perm_b32 v122, v196, v189, s18
	v_accvgpr_write_b32 a0, v142
	v_accvgpr_write_b32 a1, v144
	v_accvgpr_write_b32 a2, v140
	v_accvgpr_write_b32 a3, v141
	v_cvt_f32_f16_e32 v142, v121
	v_cvt_f32_f16_sdwa v144, v121 dst_sel:DWORD dst_unused:UNUSED_PAD src0_sel:WORD_1
	v_mfma_f32_16x16x16_f16 a[0:3], v[122:123], v[70:71], a[0:3]
	v_perm_b32 v121, v156, v143, s18
	s_nop 6
	v_accvgpr_read_b32 v122, a0
	v_accvgpr_read_b32 v123, a1
	v_accvgpr_read_b32 v140, a2
	v_accvgpr_read_b32 v141, a3
	v_accvgpr_write_b32 a0, v142
	v_accvgpr_write_b32 a1, v144
	v_accvgpr_write_b32 a2, v145
	v_accvgpr_write_b32 a3, v152
	v_cvt_f32_f16_e32 v152, v118
	v_perm_b32 v118, v171, v164, s18
	v_mfma_f32_16x16x16_f16 a[0:3], v[120:121], v[68:69], a[0:3]
	v_cvt_pk_f16_f32 v123, v122, v123
	v_cvt_pk_f16_f32 v122, v140, v141
	s_nop 5
	v_accvgpr_read_b32 v120, a0
	v_accvgpr_read_b32 v121, a1
	v_accvgpr_read_b32 v142, a2
	v_accvgpr_read_b32 v143, a3
	v_cvt_f16_f32_e32 v120, v120
	v_cvt_f16_f32_e32 v121, v121
	v_cvt_f16_f32_e32 v142, v142
	v_cvt_f16_f32_e32 v143, v143
	v_cvt_f32_f16_e32 v144, v120
	v_cvt_f32_f16_e32 v145, v121
	v_cvt_f32_f16_e32 v142, v142
	v_cvt_f32_f16_e32 v143, v143
	v_perm_b32 v121, v183, v175, s18
	s_waitcnt lgkmcnt(2)
	v_perm_b32 v120, v197, v190, s18
	v_accvgpr_write_b32 a0, v144
	v_accvgpr_write_b32 a1, v145
	v_accvgpr_write_b32 a2, v142
	v_accvgpr_write_b32 a3, v143
	v_cvt_f32_f16_e32 v144, v119
	v_cvt_f32_f16_sdwa v145, v119 dst_sel:DWORD dst_unused:UNUSED_PAD src0_sel:WORD_1
	v_mfma_f32_16x16x16_f16 a[0:3], v[120:121], v[70:71], a[0:3]
	v_perm_b32 v119, v157, v150, s18
	;; [unrolled: 38-line block ×3, first 2 shown]
	s_nop 6
	v_accvgpr_read_b32 v118, a0
	v_accvgpr_read_b32 v119, a1
	;; [unrolled: 1-line block ×4, first 2 shown]
	v_accvgpr_write_b32 a0, v150
	v_accvgpr_write_b32 a1, v152
	;; [unrolled: 1-line block ×4, first 2 shown]
	v_cvt_f32_f16_e32 v154, v146
	v_cvt_pk_f16_f32 v119, v118, v119
	v_mfma_f32_16x16x16_f16 a[0:3], v[148:149], v[68:69], a[0:3]
	v_cvt_pk_f16_f32 v118, v144, v145
	s_nop 6
	v_accvgpr_read_b32 v148, a0
	v_accvgpr_read_b32 v149, a1
	v_cvt_f16_f32_e32 v148, v148
	v_cvt_f16_f32_e32 v149, v149
	v_accvgpr_read_b32 v150, a2
	v_accvgpr_read_b32 v151, a3
	v_cvt_f16_f32_e32 v150, v150
	v_cvt_f16_f32_e32 v151, v151
	v_cvt_f32_f16_e32 v152, v148
	v_cvt_f32_f16_e32 v153, v149
	;; [unrolled: 1-line block ×4, first 2 shown]
	v_perm_b32 v149, v185, v177, s18
	s_waitcnt lgkmcnt(0)
	v_perm_b32 v148, v199, v192, s18
	v_accvgpr_write_b32 a0, v152
	v_accvgpr_write_b32 a1, v153
	v_cvt_f32_f16_e32 v152, v147
	v_cvt_f32_f16_sdwa v153, v147 dst_sel:DWORD dst_unused:UNUSED_PAD src0_sel:WORD_1
	ds_read_u16 v146, v99 offset:1312
	ds_read_u16 v156, v99 offset:1344
	;; [unrolled: 1-line block ×16, first 2 shown]
	v_accvgpr_write_b32 a2, v150
	v_accvgpr_write_b32 a3, v151
	s_waitcnt lgkmcnt(7)
	v_perm_b32 v147, v147, v146, s18
	ds_read_u16 v146, v99 offset:256
	ds_read_u16 v170, v99 offset:288
	;; [unrolled: 1-line block ×16, first 2 shown]
	v_mfma_f32_16x16x16_f16 a[0:3], v[148:149], v[70:71], a[0:3]
	s_waitcnt lgkmcnt(7)
	v_perm_b32 v146, v177, v146, s18
	s_nop 5
	v_accvgpr_read_b32 v148, a0
	v_accvgpr_read_b32 v149, a1
	;; [unrolled: 1-line block ×4, first 2 shown]
	v_accvgpr_write_b32 a0, v152
	v_accvgpr_write_b32 a1, v153
	;; [unrolled: 1-line block ×4, first 2 shown]
	s_nop 1
	v_mfma_f32_16x16x16_f16 a[0:3], v[146:147], v[68:69], a[0:3]
	s_nop 7
	v_accvgpr_read_b32 v146, a0
	v_accvgpr_read_b32 v147, a1
	v_cvt_f16_f32_e32 v146, v146
	v_cvt_f16_f32_e32 v147, v147
	v_accvgpr_read_b32 v152, a2
	v_accvgpr_read_b32 v153, a3
	v_cvt_f16_f32_e32 v152, v152
	v_cvt_f16_f32_e32 v153, v153
	v_cvt_f32_f16_e32 v154, v146
	v_cvt_f32_f16_e32 v155, v147
	ds_read_u16 v146, v99 offset:18208
	ds_read_u16 v177, v99 offset:18240
	;; [unrolled: 1-line block ×16, first 2 shown]
	s_waitcnt lgkmcnt(7)
	v_perm_b32 v147, v147, v146, s18
	ds_read_u16 v146, v99 offset:17152
	ds_read_u16 v198, v99 offset:17184
	;; [unrolled: 1-line block ×16, first 2 shown]
	v_cvt_f32_f16_e32 v152, v152
	v_cvt_f32_f16_e32 v153, v153
	s_waitcnt lgkmcnt(7)
	v_perm_b32 v146, v205, v146, s18
	v_accvgpr_write_b32 a0, v154
	v_accvgpr_write_b32 a1, v155
	;; [unrolled: 1-line block ×4, first 2 shown]
	v_cvt_f32_f16_e32 v154, v117
	v_cvt_f32_f16_sdwa v155, v117 dst_sel:DWORD dst_unused:UNUSED_PAD src0_sel:WORD_1
	v_mfma_f32_16x16x16_f16 a[0:3], v[146:147], v[70:71], a[0:3]
	v_cvt_f32_f16_e32 v205, v116
	v_perm_b32 v117, v163, v156, s18
	v_perm_b32 v116, v178, v170, s18
	v_cvt_f32_f16_e32 v170, v114
	s_waitcnt lgkmcnt(0)
	s_barrier
	s_nop 1
	v_accvgpr_read_b32 v146, a0
	v_accvgpr_read_b32 v147, a1
	;; [unrolled: 1-line block ×4, first 2 shown]
	v_accvgpr_write_b32 a0, v154
	v_accvgpr_write_b32 a1, v155
	;; [unrolled: 1-line block ×4, first 2 shown]
	s_nop 1
	v_mfma_f32_16x16x16_f16 a[0:3], v[116:117], v[68:69], a[0:3]
	s_nop 7
	v_accvgpr_read_b32 v116, a0
	v_accvgpr_read_b32 v117, a1
	;; [unrolled: 1-line block ×4, first 2 shown]
	v_cvt_f16_f32_e32 v116, v116
	v_cvt_f16_f32_e32 v117, v117
	;; [unrolled: 1-line block ×4, first 2 shown]
	v_cvt_f32_f16_e32 v156, v116
	v_cvt_f32_f16_e32 v163, v117
	;; [unrolled: 1-line block ×4, first 2 shown]
	v_perm_b32 v117, v191, v177, s18
	v_perm_b32 v116, v206, v198, s18
	v_accvgpr_write_b32 a0, v156
	v_accvgpr_write_b32 a1, v163
	;; [unrolled: 1-line block ×4, first 2 shown]
	v_cvt_f32_f16_e32 v156, v115
	v_cvt_f32_f16_sdwa v163, v115 dst_sel:DWORD dst_unused:UNUSED_PAD src0_sel:WORD_1
	v_mfma_f32_16x16x16_f16 a[0:3], v[116:117], v[70:71], a[0:3]
	v_cvt_f32_f16_sdwa v177, v114 dst_sel:DWORD dst_unused:UNUSED_PAD src0_sel:WORD_1
	v_perm_b32 v115, v164, v157, s18
	v_perm_b32 v114, v179, v171, s18
	v_cvt_f32_f16_sdwa v171, v112 dst_sel:DWORD dst_unused:UNUSED_PAD src0_sel:WORD_1
	s_nop 3
	v_accvgpr_read_b32 v116, a0
	v_accvgpr_read_b32 v117, a1
	;; [unrolled: 1-line block ×4, first 2 shown]
	v_accvgpr_write_b32 a0, v156
	v_accvgpr_write_b32 a1, v163
	v_accvgpr_write_b32 a2, v170
	v_accvgpr_write_b32 a3, v177
	v_cvt_f32_f16_e32 v170, v112
	v_perm_b32 v112, v180, v172, s18
	v_mfma_f32_16x16x16_f16 a[0:3], v[114:115], v[68:69], a[0:3]
	s_nop 7
	v_accvgpr_read_b32 v114, a0
	v_accvgpr_read_b32 v115, a1
	v_accvgpr_read_b32 v156, a2
	v_accvgpr_read_b32 v157, a3
	v_cvt_f16_f32_e32 v114, v114
	v_cvt_f16_f32_e32 v115, v115
	v_cvt_f16_f32_e32 v156, v156
	v_cvt_f16_f32_e32 v157, v157
	v_cvt_f32_f16_e32 v163, v114
	v_cvt_f32_f16_e32 v164, v115
	v_cvt_f32_f16_e32 v156, v156
	v_cvt_f32_f16_e32 v157, v157
	v_perm_b32 v115, v192, v185, s18
	v_perm_b32 v114, v207, v199, s18
	v_accvgpr_write_b32 a0, v163
	v_accvgpr_write_b32 a1, v164
	v_accvgpr_write_b32 a2, v156
	v_accvgpr_write_b32 a3, v157
	v_cvt_f32_f16_e32 v163, v113
	v_cvt_f32_f16_sdwa v164, v113 dst_sel:DWORD dst_unused:UNUSED_PAD src0_sel:WORD_1
	v_mfma_f32_16x16x16_f16 a[0:3], v[114:115], v[70:71], a[0:3]
	v_perm_b32 v113, v165, v158, s18
	s_nop 6
	v_accvgpr_read_b32 v114, a0
	v_accvgpr_read_b32 v115, a1
	v_accvgpr_read_b32 v156, a2
	v_accvgpr_read_b32 v157, a3
	v_accvgpr_write_b32 a0, v163
	v_accvgpr_write_b32 a1, v164
	v_accvgpr_write_b32 a2, v170
	v_accvgpr_write_b32 a3, v171
	v_cvt_f32_f16_e32 v170, v110
	v_cvt_f32_f16_sdwa v171, v110 dst_sel:DWORD dst_unused:UNUSED_PAD src0_sel:WORD_1
	v_mfma_f32_16x16x16_f16 a[0:3], v[112:113], v[68:69], a[0:3]
	v_perm_b32 v110, v181, v173, s18
	s_nop 6
	v_accvgpr_read_b32 v112, a0
	v_accvgpr_read_b32 v113, a1
	v_accvgpr_read_b32 v158, a2
	v_accvgpr_read_b32 v163, a3
	v_cvt_f16_f32_e32 v112, v112
	v_cvt_f16_f32_e32 v113, v113
	v_cvt_f16_f32_e32 v158, v158
	v_cvt_f16_f32_e32 v163, v163
	v_cvt_f32_f16_e32 v164, v112
	v_cvt_f32_f16_e32 v165, v113
	v_cvt_f32_f16_e32 v158, v158
	v_cvt_f32_f16_e32 v163, v163
	v_perm_b32 v113, v193, v186, s18
	v_perm_b32 v112, v208, v200, s18
	v_accvgpr_write_b32 a0, v164
	v_accvgpr_write_b32 a1, v165
	v_accvgpr_write_b32 a2, v158
	v_accvgpr_write_b32 a3, v163
	v_cvt_f32_f16_e32 v164, v111
	v_cvt_f32_f16_sdwa v165, v111 dst_sel:DWORD dst_unused:UNUSED_PAD src0_sel:WORD_1
	v_mfma_f32_16x16x16_f16 a[0:3], v[112:113], v[70:71], a[0:3]
	v_perm_b32 v111, v166, v159, s18
	s_nop 6
	v_accvgpr_read_b32 v112, a0
	v_accvgpr_read_b32 v113, a1
	v_accvgpr_read_b32 v158, a2
	v_accvgpr_read_b32 v163, a3
	v_accvgpr_write_b32 a0, v164
	v_accvgpr_write_b32 a1, v165
	v_accvgpr_write_b32 a2, v170
	v_accvgpr_write_b32 a3, v171
	v_cvt_f32_f16_e32 v170, v108
	v_cvt_f32_f16_sdwa v171, v108 dst_sel:DWORD dst_unused:UNUSED_PAD src0_sel:WORD_1
	v_mfma_f32_16x16x16_f16 a[0:3], v[110:111], v[68:69], a[0:3]
	v_perm_b32 v108, v182, v174, s18
	;; [unrolled: 36-line block ×4, first 2 shown]
	s_nop 6
	v_accvgpr_read_b32 v106, a0
	v_accvgpr_read_b32 v107, a1
	;; [unrolled: 1-line block ×4, first 2 shown]
	v_cvt_f16_f32_e32 v106, v106
	v_cvt_f16_f32_e32 v107, v107
	;; [unrolled: 1-line block ×4, first 2 shown]
	v_cvt_f32_f16_e32 v167, v106
	v_cvt_f32_f16_e32 v168, v107
	;; [unrolled: 1-line block ×4, first 2 shown]
	v_perm_b32 v107, v196, v189, s18
	v_perm_b32 v106, v211, v203, s18
	v_accvgpr_write_b32 a0, v167
	v_accvgpr_write_b32 a1, v168
	;; [unrolled: 1-line block ×4, first 2 shown]
	v_cvt_f32_f16_e32 v167, v105
	v_cvt_f32_f16_sdwa v168, v105 dst_sel:DWORD dst_unused:UNUSED_PAD src0_sel:WORD_1
	v_mfma_f32_16x16x16_f16 a[0:3], v[106:107], v[70:71], a[0:3]
	v_perm_b32 v105, v169, v162, s18
	s_nop 6
	v_accvgpr_read_b32 v106, a0
	v_accvgpr_read_b32 v107, a1
	;; [unrolled: 1-line block ×4, first 2 shown]
	v_accvgpr_write_b32 a0, v167
	v_accvgpr_write_b32 a1, v168
	;; [unrolled: 1-line block ×4, first 2 shown]
	s_nop 1
	v_mfma_f32_16x16x16_f16 a[0:3], v[104:105], v[68:69], a[0:3]
	s_nop 7
	v_accvgpr_read_b32 v68, a0
	v_accvgpr_read_b32 v69, a1
	;; [unrolled: 1-line block ×4, first 2 shown]
	v_cvt_f16_f32_e32 v68, v68
	v_cvt_f16_f32_e32 v69, v69
	;; [unrolled: 1-line block ×4, first 2 shown]
	v_cvt_f32_f16_e32 v162, v68
	v_cvt_f32_f16_e32 v167, v69
	;; [unrolled: 1-line block ×4, first 2 shown]
	v_perm_b32 v69, v197, v190, s18
	v_perm_b32 v68, v212, v204, s18
	v_accvgpr_write_b32 a0, v162
	v_accvgpr_write_b32 a1, v167
	;; [unrolled: 1-line block ×4, first 2 shown]
	v_cvt_pk_f16_f32 v105, v108, v109
	v_cvt_pk_f16_f32 v104, v160, v165
	v_mfma_f32_16x16x16_f16 a[0:3], v[68:69], v[70:71], a[0:3]
	v_cvt_pk_f16_f32 v109, v112, v113
	v_cvt_pk_f16_f32 v108, v158, v163
	;; [unrolled: 1-line block ×6, first 2 shown]
	s_nop 1
	v_accvgpr_read_b32 v68, a0
	v_accvgpr_read_b32 v69, a1
	;; [unrolled: 1-line block ×4, first 2 shown]
	v_cvt_pk_f16_f32 v69, v68, v69
	v_cvt_pk_f16_f32 v68, v70, v71
	;; [unrolled: 1-line block ×10, first 2 shown]
	s_cbranch_vccz .LBB31_318
; %bb.314:                              ;   in Loop: Header=BB31_313 Depth=1
	v_mov_b32_e32 v134, v84
	v_mov_b32_e32 v84, v80
	s_ashr_i32 s7, s6, 31
	s_and_saveexec_b64 s[8:9], s[0:1]
	s_cbranch_execnz .LBB31_312
	s_branch .LBB31_313
.LBB31_315:
                                        ; implicit-def: $sgpr56_sgpr57
	s_load_dwordx2 s[54:55], s[0:1], 0x74
	v_cvt_f32_u32_e32 v1, s33
	s_branch .LBB31_2
.LBB31_316:
                                        ; implicit-def: $sgpr6_sgpr7
	s_load_dwordx2 s[44:45], s[0:1], 0x5c
	v_mov_b64_e32 v[38:39], s[6:7]
	s_branch .LBB31_5
.LBB31_317:
	v_mov_b32_e32 v80, 0xfeffffff
	v_mov_b32_e32 v84, 0
	v_mov_b32_e32 v130, 0
	v_mov_b32_e32 v131, 0
	v_mov_b32_e32 v128, 0
	v_mov_b32_e32 v129, 0
	v_mov_b32_e32 v126, 0
	v_mov_b32_e32 v127, 0
	v_mov_b32_e32 v124, 0
	v_mov_b32_e32 v125, 0
	v_mov_b32_e32 v122, 0
	v_mov_b32_e32 v123, 0
	v_mov_b32_e32 v120, 0
	v_mov_b32_e32 v121, 0
	v_mov_b32_e32 v118, 0
	v_mov_b32_e32 v119, 0
	v_mov_b32_e32 v116, 0
	v_mov_b32_e32 v117, 0
	v_mov_b32_e32 v114, 0
	v_mov_b32_e32 v115, 0
	v_mov_b32_e32 v112, 0
	v_mov_b32_e32 v113, 0
	v_mov_b32_e32 v110, 0
	v_mov_b32_e32 v111, 0
	v_mov_b32_e32 v108, 0
	v_mov_b32_e32 v109, 0
	v_mov_b32_e32 v106, 0
	v_mov_b32_e32 v107, 0
	v_mov_b32_e32 v104, 0
	v_mov_b32_e32 v105, 0
	v_mov_b32_e32 v70, 0
	v_mov_b32_e32 v71, 0
	v_mov_b32_e32 v68, 0
	v_mov_b32_e32 v69, 0
.LBB31_318:
	s_lshl_b32 s0, s72, 6
	s_ashr_i32 s1, s0, 31
	v_cmp_gt_u32_e32 vcc, 4, v82
	s_and_saveexec_b64 s[6:7], vcc
	s_cbranch_execz .LBB31_320
; %bb.319:
	v_or_b32_e32 v36, s11, v82
	v_mul_hi_u32 v37, s44, v36
	v_add_u32_e32 v37, v36, v37
	v_lshrrev_b32_e32 v37, s45, v37
	s_lshl_b64 s[8:9], s[0:1], 1
	v_mul_lo_u32 v37, v37, s36
	s_add_u32 s4, s4, s8
	v_sub_u32_e32 v37, v36, v37
	s_addc_u32 s5, s5, s9
	v_lshlrev_b32_e32 v36, 2, v72
	v_mad_i64_i32 v[38:39], s[8:9], v37, s46, 0
	v_and_b32_e32 v36, 0x7c, v36
	v_lshl_add_u64 v[38:39], v[38:39], 1, s[4:5]
	v_mov_b32_e32 v37, 0
	v_lshl_add_u64 v[38:39], v[38:39], 0, v[36:37]
	global_load_dword v37, v[38:39], off
	v_mul_u32_u24_e32 v38, 0x90, v82
	v_add3_u32 v36, 0, v38, v36
	s_waitcnt vmcnt(0)
	ds_write_b32 v36, v37 offset:33792
.LBB31_320:
	s_or_b64 exec, exec, s[6:7]
	s_mul_hi_i32 s5, s0, s38
	s_mul_i32 s4, s0, s38
	s_lshl_b64 s[4:5], s[4:5], 2
	s_add_u32 s4, s12, s4
	s_addc_u32 s5, s13, s5
	s_lshl_b32 s1, s38, 3
	v_lshlrev_b32_e32 v36, 4, v72
	v_lshl_add_u64 v[38:39], v[34:35], 2, s[4:5]
	v_add_u32_e32 v34, s1, v34
	v_and_b32_e32 v36, 0x1f0, v36
	v_mov_b32_e32 v37, 0
	v_ashrrev_i32_e32 v35, 31, v34
	v_lshl_add_u64 v[66:67], v[38:39], 0, v[36:37]
	v_lshl_add_u64 v[38:39], v[34:35], 2, s[4:5]
	v_add_u32_e32 v34, s1, v34
	v_ashrrev_i32_e32 v35, 31, v34
	v_lshl_add_u64 v[86:87], v[38:39], 0, v[36:37]
	v_lshl_add_u64 v[38:39], v[34:35], 2, s[4:5]
	v_add_u32_e32 v34, s1, v34
	;; [unrolled: 4-line block ×6, first 2 shown]
	v_ashrrev_i32_e32 v35, 31, v34
	v_lshl_add_u64 v[34:35], v[34:35], 2, s[4:5]
	v_lshl_add_u64 v[96:97], v[38:39], 0, v[36:37]
	;; [unrolled: 1-line block ×3, first 2 shown]
	global_load_dwordx4 v[38:41], v[66:67], off
	global_load_dwordx4 v[42:45], v[86:87], off
	;; [unrolled: 1-line block ×7, first 2 shown]
                                        ; kill: killed $vgpr94_vgpr95
                                        ; kill: killed $vgpr92_vgpr93
                                        ; kill: killed $vgpr90_vgpr91
                                        ; kill: killed $vgpr88_vgpr89
                                        ; kill: killed $vgpr86_vgpr87
                                        ; kill: killed $vgpr66_vgpr67
                                        ; kill: killed $vgpr96_vgpr97
	s_nop 0
	global_load_dwordx4 v[86:89], v[34:35], off
	v_and_b32_e32 v35, 16, v214
	v_mul_u32_u24_e32 v34, 0x210, v82
	v_add_u32_e32 v66, 0, v81
	v_mul_u32_u24_e32 v67, 0x210, v35
	v_add3_u32 v34, 0, v34, v36
	v_add3_u32 v66, v66, v74, v67
	s_movk_i32 s1, 0x90
	s_mov_b32 s4, 0x8400
	s_mov_b32 s5, 0xc2ce8ed0
	s_mul_hi_i32 s9, s0, s34
	s_mul_i32 s8, s0, s34
	s_lshl_b64 s[8:9], s[8:9], 2
	s_add_u32 s8, s3, s8
	s_addc_u32 s9, s10, s9
	s_lshl_b32 s0, s34, 3
	s_movk_i32 s6, 0x210
	s_waitcnt vmcnt(7)
	ds_write_b128 v34, v[38:41]
	s_waitcnt vmcnt(6)
	ds_write_b128 v34, v[42:45] offset:4224
	s_waitcnt vmcnt(5)
	ds_write_b128 v34, v[46:49] offset:8448
	;; [unrolled: 2-line block ×7, first 2 shown]
	v_add_u32_e32 v46, 0x4000, v66
	s_waitcnt lgkmcnt(0)
	s_barrier
	ds_read2_b64 v[38:41], v66 offset1:4
	ds_read2_b64 v[42:45], v46 offset0:64 offset1:68
	s_waitcnt lgkmcnt(1)
	v_mfma_f32_16x16x16_f16 a[0:3], v[38:39], v[28:29], 0
	s_waitcnt lgkmcnt(0)
	v_mfma_f32_16x16x16_f16 a[4:7], v[42:43], v[28:29], 0
	v_mfma_f32_16x16x16_f16 a[0:3], v[40:41], v[30:31], a[0:3]
	ds_read2_b64 v[38:41], v46 offset0:72 offset1:76
	v_mfma_f32_16x16x16_f16 a[4:7], v[44:45], v[30:31], a[4:7]
	ds_read2_b64 v[28:31], v66 offset0:8 offset1:12
	s_waitcnt lgkmcnt(0)
	v_mfma_f32_16x16x16_f16 a[0:3], v[28:29], v[24:25], a[0:3]
	v_mfma_f32_16x16x16_f16 a[4:7], v[38:39], v[24:25], a[4:7]
	v_and_b32_e32 v39, 0xfc, v77
	v_mfma_f32_16x16x16_f16 a[0:3], v[30:31], v[26:27], a[0:3]
	ds_read2_b64 v[28:31], v46 offset0:80 offset1:84
	v_mfma_f32_16x16x16_f16 a[4:7], v[40:41], v[26:27], a[4:7]
	ds_read2_b64 v[24:27], v66 offset0:16 offset1:20
	s_waitcnt lgkmcnt(0)
	v_mfma_f32_16x16x16_f16 a[0:3], v[24:25], v[20:21], a[0:3]
	v_mfma_f32_16x16x16_f16 a[4:7], v[28:29], v[20:21], a[4:7]
	v_mbcnt_hi_u32_b32 v28, -1, v78
	v_mfma_f32_16x16x16_f16 a[0:3], v[26:27], v[22:23], a[0:3]
	ds_read2_b64 v[24:27], v46 offset0:88 offset1:92
	v_mfma_f32_16x16x16_f16 a[4:7], v[30:31], v[22:23], a[4:7]
	ds_read2_b64 v[20:23], v66 offset0:24 offset1:28
	s_waitcnt lgkmcnt(0)
	v_mfma_f32_16x16x16_f16 a[0:3], v[20:21], v[16:17], a[0:3]
	v_mfma_f32_16x16x16_f16 a[4:7], v[24:25], v[16:17], a[4:7]
	;; [unrolled: 1-line block ×3, first 2 shown]
	ds_read2_b64 v[20:23], v46 offset0:96 offset1:100
	v_mfma_f32_16x16x16_f16 a[4:7], v[26:27], v[18:19], a[4:7]
	ds_read2_b64 v[16:19], v66 offset0:32 offset1:36
	s_waitcnt lgkmcnt(0)
	v_mfma_f32_16x16x16_f16 a[0:3], v[16:17], v[12:13], a[0:3]
	v_mfma_f32_16x16x16_f16 a[4:7], v[20:21], v[12:13], a[4:7]
	v_lshrrev_b32_e32 v12, 3, v79
	v_add_u32_e32 v20, v39, v35
	v_and_b32_e32 v21, 64, v28
	v_mfma_f32_16x16x16_f16 a[0:3], v[18:19], v[14:15], a[0:3]
	ds_read2_b64 v[16:19], v66 offset0:40 offset1:44
	ds_read2_b64 v[24:27], v46 offset0:104 offset1:108
	v_mfma_f32_16x16x16_f16 a[4:7], v[22:23], v[14:15], a[4:7]
	s_waitcnt lgkmcnt(1)
	v_mfma_f32_16x16x16_f16 a[0:3], v[16:17], v[8:9], a[0:3]
	s_waitcnt lgkmcnt(0)
	v_mfma_f32_16x16x16_f16 a[4:7], v[24:25], v[8:9], a[4:7]
	v_mad_u32_u24 v8, v12, s1, 0
	ds_read2_b64 v[12:15], v66 offset0:48 offset1:52
	v_add_u16_e32 v9, v39, v35
	v_mfma_f32_16x16x16_f16 a[0:3], v[18:19], v[10:11], a[0:3]
	ds_read2_b64 v[16:19], v46 offset0:112 offset1:116
	v_lshrrev_b16_e32 v9, 1, v9
	v_lshlrev_b32_e32 v9, 2, v9
	v_mfma_f32_16x16x16_f16 a[4:7], v[26:27], v[10:11], a[4:7]
	v_lshl_add_u32 v10, v20, 1, v8
	v_add_u32_e32 v25, 64, v21
	v_add_u32_e32 v26, 0x8400, v10
	s_waitcnt lgkmcnt(1)
	v_mfma_f32_16x16x16_f16 a[0:3], v[12:13], v[4:5], a[0:3]
	v_add3_u32 v12, v8, v9, s4
	ds_read2_b64 v[8:11], v66 offset0:56 offset1:60
	ds_read2_b64 v[20:23], v46 offset0:120 offset1:124
	s_waitcnt lgkmcnt(0)
	v_mfma_f32_16x16x16_f16 a[4:7], v[16:17], v[4:5], a[4:7]
	s_barrier
	ds_read2_b32 v[12:13], v12 offset1:1
	v_mfma_f32_16x16x16_f16 a[0:3], v[14:15], v[6:7], a[0:3]
	v_xor_b32_e32 v24, 32, v28
	v_cmp_lt_i32_e32 vcc, v24, v25
	s_mov_b32 s1, 0x3fb8aa3b
	v_mfma_f32_16x16x16_f16 a[4:7], v[18:19], v[6:7], a[4:7]
	ds_read2_b32 v[6:7], v26 offset0:16 offset1:17
	v_cndmask_b32_e32 v4, v28, v24, vcc
	v_lshlrev_b32_e32 v5, 2, v4
	v_mfma_f32_16x16x16_f16 a[0:3], v[8:9], v[0:1], a[0:3]
	s_waitcnt lgkmcnt(1)
	v_cvt_f32_f16_e32 v4, v12
	v_cvt_f32_f16_sdwa v8, v12 dst_sel:DWORD dst_unused:UNUSED_PAD src0_sel:WORD_1
	s_waitcnt lgkmcnt(0)
	v_cvt_f32_f16_e32 v9, v6
	v_mfma_f32_16x16x16_f16 a[4:7], v[20:21], v[0:1], a[4:7]
	v_cvt_f32_f16_e32 v0, v13
	v_cvt_f32_f16_sdwa v1, v13 dst_sel:DWORD dst_unused:UNUSED_PAD src0_sel:WORD_1
	v_cvt_f32_f16_sdwa v6, v6 dst_sel:DWORD dst_unused:UNUSED_PAD src0_sel:WORD_1
	v_mfma_f32_16x16x16_f16 a[0:3], v[10:11], v[2:3], a[0:3]
	v_cvt_f32_f16_e32 v10, v7
	v_cvt_f32_f16_sdwa v7, v7 dst_sel:DWORD dst_unused:UNUSED_PAD src0_sel:WORD_1
	s_mov_b32 s4, 0x42b17218
	v_mfma_f32_16x16x16_f16 a[4:7], v[22:23], v[2:3], a[4:7]
	v_mov_b32_e32 v24, 0x7f800000
	s_nop 2
	v_accvgpr_read_b32 v2, a0
	v_accvgpr_read_b32 v3, a1
	;; [unrolled: 1-line block ×4, first 2 shown]
	v_add_f32_e32 v2, v2, v4
	v_add_f32_e32 v3, v3, v8
	v_accvgpr_read_b32 v13, a4
	v_accvgpr_read_b32 v14, a5
	v_add_f32_e32 v8, v11, v0
	v_add_f32_e32 v1, v12, v1
	;; [unrolled: 1-line block ×4, first 2 shown]
	v_accvgpr_read_b32 v15, a6
	v_accvgpr_read_b32 v16, a7
	v_add_f32_e32 v9, v13, v9
	v_add_f32_e32 v11, v14, v6
	;; [unrolled: 1-line block ×4, first 2 shown]
	v_max3_f32 v0, v80, v0, v4
	v_add_f32_e32 v10, v15, v10
	v_add_f32_e32 v7, v16, v7
	;; [unrolled: 1-line block ×4, first 2 shown]
	v_max3_f32 v0, v0, v6, v12
	v_add_f32_e32 v15, 0x40051340, v10
	v_add_f32_e32 v16, 0x40051340, v7
	v_max3_f32 v0, v0, v13, v14
	v_max3_f32 v0, v0, v15, v16
	ds_bpermute_b32 v6, v5, v0
	v_xor_b32_e32 v4, 16, v28
	v_cmp_lt_i32_e32 vcc, v4, v25
	s_waitcnt lgkmcnt(0)
	v_max_f32_e32 v6, v6, v6
	v_cndmask_b32_e32 v4, v28, v4, vcc
	v_lshlrev_b32_e32 v4, 2, v4
	v_max_f32_e32 v0, v0, v6
	ds_bpermute_b32 v6, v4, v0
	s_waitcnt lgkmcnt(0)
	v_max_f32_e32 v6, v6, v6
	v_max_f32_e32 v6, v0, v6
	v_sub_f32_e32 v0, v2, v6
	v_mul_f32_e32 v2, 0x3fb8aa3b, v0
	v_fma_f32 v12, v0, s1, -v2
	v_rndne_f32_e32 v13, v2
	v_fmac_f32_e32 v12, 0x32a5705f, v0
	v_sub_f32_e32 v2, v2, v13
	v_add_f32_e32 v2, v2, v12
	v_cvt_i32_f32_e32 v13, v13
	v_exp_f32_e32 v2, v2
	v_sub_f32_e32 v3, v3, v6
	v_mul_f32_e32 v12, 0x3fb8aa3b, v3
	v_rndne_f32_e32 v14, v12
	v_ldexp_f32 v2, v2, v13
	v_fma_f32 v13, v3, s1, -v12
	v_fmac_f32_e32 v13, 0x32a5705f, v3
	v_sub_f32_e32 v12, v12, v14
	v_add_f32_e32 v12, v12, v13
	v_exp_f32_e32 v12, v12
	v_cvt_i32_f32_e32 v13, v14
	v_cmp_ngt_f32_e32 vcc, s5, v0
	v_sub_f32_e32 v8, v8, v6
	v_sub_f32_e32 v9, v9, v6
	v_cndmask_b32_e32 v2, 0, v2, vcc
	v_cmp_nlt_f32_e32 vcc, s4, v0
	v_sub_f32_e32 v11, v11, v6
	v_sub_f32_e32 v25, v10, v6
	v_cndmask_b32_e32 v0, v24, v2, vcc
	v_ldexp_f32 v2, v12, v13
	v_mul_f32_e32 v12, 0x3fb8aa3b, v8
	v_fma_f32 v13, v8, s1, -v12
	v_rndne_f32_e32 v14, v12
	v_fmac_f32_e32 v13, 0x32a5705f, v8
	v_sub_f32_e32 v12, v12, v14
	v_add_f32_e32 v12, v12, v13
	v_exp_f32_e32 v12, v12
	v_cvt_i32_f32_e32 v13, v14
	v_cmp_ngt_f32_e32 vcc, s5, v3
	v_mul_f32_e32 v10, 0x3fb8aa3b, v25
	v_sub_f32_e32 v7, v7, v6
	v_ldexp_f32 v12, v12, v13
	v_sub_f32_e32 v13, v1, v6
	v_mul_f32_e32 v1, 0x3fb8aa3b, v13
	v_fma_f32 v14, v13, s1, -v1
	v_rndne_f32_e32 v15, v1
	v_fmac_f32_e32 v14, 0x32a5705f, v13
	v_sub_f32_e32 v1, v1, v15
	v_add_f32_e32 v1, v1, v14
	v_cndmask_b32_e32 v2, 0, v2, vcc
	v_cmp_nlt_f32_e32 vcc, s4, v3
	v_exp_f32_e32 v14, v1
	v_cvt_i32_f32_e32 v15, v15
	v_cndmask_b32_e32 v3, v24, v2, vcc
	v_cmp_ngt_f32_e32 vcc, s5, v8
	v_add_f32_e32 v2, v0, v3
	v_cvt_pk_f16_f32 v0, v0, v3
	v_cndmask_b32_e32 v12, 0, v12, vcc
	v_cmp_nlt_f32_e32 vcc, s4, v8
	v_ldexp_f32 v8, v14, v15
	s_nop 0
	v_cndmask_b32_e32 v1, v24, v12, vcc
	v_mul_f32_e32 v12, 0x3fb8aa3b, v9
	v_fma_f32 v14, v9, s1, -v12
	v_rndne_f32_e32 v15, v12
	v_fmac_f32_e32 v14, 0x32a5705f, v9
	v_sub_f32_e32 v12, v12, v15
	v_add_f32_e32 v12, v12, v14
	v_exp_f32_e32 v12, v12
	v_cvt_i32_f32_e32 v14, v15
	v_cmp_ngt_f32_e32 vcc, s5, v13
	v_add_f32_e32 v2, v1, v2
	s_nop 0
	v_cndmask_b32_e32 v8, 0, v8, vcc
	v_cmp_nlt_f32_e32 vcc, s4, v13
	s_nop 1
	v_cndmask_b32_e32 v29, v24, v8, vcc
	v_add_f32_e32 v8, v29, v2
	v_ldexp_f32 v2, v12, v14
	v_mul_f32_e32 v12, 0x3fb8aa3b, v11
	v_fma_f32 v13, v11, s1, -v12
	v_rndne_f32_e32 v14, v12
	v_fmac_f32_e32 v13, 0x32a5705f, v11
	v_sub_f32_e32 v12, v12, v14
	v_add_f32_e32 v12, v12, v13
	v_exp_f32_e32 v12, v12
	v_cvt_i32_f32_e32 v13, v14
	v_cmp_ngt_f32_e32 vcc, s5, v9
	v_cvt_pk_f16_f32 v1, v1, v29
	s_nop 0
	v_cndmask_b32_e32 v2, 0, v2, vcc
	v_cmp_nlt_f32_e32 vcc, s4, v9
	v_ldexp_f32 v9, v12, v13
	v_fma_f32 v12, v25, s1, -v10
	v_rndne_f32_e32 v13, v10
	v_fmac_f32_e32 v12, 0x32a5705f, v25
	v_sub_f32_e32 v10, v10, v13
	v_add_f32_e32 v10, v10, v12
	v_exp_f32_e32 v10, v10
	v_cvt_i32_f32_e32 v12, v13
	v_cndmask_b32_e32 v2, v24, v2, vcc
	v_cmp_ngt_f32_e32 vcc, s5, v11
	v_add_f32_e32 v8, v2, v8
	s_nop 0
	v_cndmask_b32_e32 v9, 0, v9, vcc
	v_cmp_nlt_f32_e32 vcc, s4, v11
	s_nop 1
	v_cndmask_b32_e32 v26, v24, v9, vcc
	v_add_f32_e32 v27, v26, v8
	v_ldexp_f32 v8, v10, v12
	v_add_u32_e32 v10, s0, v32
	v_ashrrev_i32_e32 v11, 31, v10
	v_lshl_add_u64 v[12:13], v[10:11], 2, s[8:9]
	v_add_u32_e32 v10, s0, v10
	v_ashrrev_i32_e32 v11, 31, v10
	v_lshl_add_u64 v[14:15], v[10:11], 2, s[8:9]
	v_add_u32_e32 v10, s0, v10
	v_ashrrev_i32_e32 v11, 31, v10
	v_lshl_add_u64 v[16:17], v[10:11], 2, s[8:9]
	v_add_u32_e32 v10, s0, v10
	v_ashrrev_i32_e32 v11, 31, v10
	v_lshl_add_u64 v[18:19], v[10:11], 2, s[8:9]
	v_add_u32_e32 v10, s0, v10
	v_ashrrev_i32_e32 v11, 31, v10
	v_lshl_add_u64 v[20:21], v[10:11], 2, s[8:9]
	v_add_u32_e32 v10, s0, v10
	v_ashrrev_i32_e32 v11, 31, v10
	v_cmp_ngt_f32_e32 vcc, s5, v25
	v_lshl_add_u64 v[22:23], v[10:11], 2, s[8:9]
	v_add_u32_e32 v10, s0, v10
	v_cndmask_b32_e32 v28, 0, v8, vcc
	v_lshl_add_u64 v[8:9], v[32:33], 2, s[8:9]
	v_ashrrev_i32_e32 v11, 31, v10
	v_lshl_add_u64 v[8:9], v[8:9], 0, v[36:37]
	v_lshl_add_u64 v[10:11], v[10:11], 2, s[8:9]
	;; [unrolled: 1-line block ×9, first 2 shown]
	global_load_dwordx4 v[40:43], v[8:9], off
	global_load_dwordx4 v[44:47], v[12:13], off
	;; [unrolled: 1-line block ×8, first 2 shown]
	v_mul_f32_e32 v9, 0x3fb8aa3b, v7
	v_fma_f32 v10, v7, s1, -v9
	v_rndne_f32_e32 v11, v9
	v_fmac_f32_e32 v10, 0x32a5705f, v7
	v_sub_f32_e32 v9, v9, v11
	v_add_f32_e32 v9, v9, v10
	v_cvt_i32_f32_e32 v10, v11
	v_sub_f32_e32 v11, v80, v6
	v_mul_f32_e32 v12, 0x3fb8aa3b, v11
	v_fma_f32 v13, v11, s1, -v12
	v_rndne_f32_e32 v14, v12
	v_fmac_f32_e32 v13, 0x32a5705f, v11
	v_sub_f32_e32 v12, v12, v14
	v_exp_f32_e32 v9, v9
	v_add_f32_e32 v12, v12, v13
	v_exp_f32_e32 v12, v12
	v_cvt_i32_f32_e32 v13, v14
	v_cmp_nlt_f32_e32 vcc, s4, v25
	v_ldexp_f32 v9, v9, v10
	s_mov_b32 s0, 0xc1a00000
	v_cndmask_b32_e32 v78, v24, v28, vcc
	v_cmp_ngt_f32_e32 vcc, s5, v7
	v_ldexp_f32 v10, v12, v13
	v_mul_u32_u24_e32 v22, 0x210, v39
	v_cndmask_b32_e32 v9, 0, v9, vcc
	v_cmp_ngt_f32_e32 vcc, s5, v11
	v_or_b32_e32 v23, 3, v77
	s_waitcnt vmcnt(7)
	ds_write_b128 v34, v[40:43]
	s_waitcnt vmcnt(6)
	ds_write_b128 v34, v[44:47] offset:4224
	s_waitcnt vmcnt(5)
	ds_write_b128 v34, v[48:51] offset:8448
	;; [unrolled: 2-line block ×7, first 2 shown]
	v_cndmask_b32_e32 v10, 0, v10, vcc
	v_cmp_nlt_f32_e32 vcc, s4, v11
	v_add_f32_e32 v8, v78, v27
	v_mul_u32_u24_e32 v23, 0x210, v23
	v_cndmask_b32_e32 v10, v24, v10, vcc
	v_cmp_le_f32_e32 vcc, s0, v11
	s_movk_i32 s0, 0x420
	v_mad_u32_u24 v34, v76, s0, 0
	v_cndmask_b32_e32 v10, 0, v10, vcc
	v_cvt_f16_f32_e32 v11, v10
	v_cmp_nlt_f32_e32 vcc, s4, v7
	v_add3_u32 v22, v34, v22, v75
	s_waitcnt lgkmcnt(0)
	v_cndmask_b32_e32 v79, v24, v9, vcc
	v_add_f32_e32 v7, v79, v8
	v_mul_u32_u24_e32 v8, 0x10001, v11
	s_barrier
	v_add3_u32 v23, v34, v23, v75
	s_mov_b32 s0, 0x5040100
	ds_read_u16 v40, v22 offset:1056
	ds_read_u16 v44, v22 offset:1088
	;; [unrolled: 1-line block ×8, first 2 shown]
	ds_read_u16 v41, v23
	ds_read_u16 v51, v23 offset:32
	ds_read_u16 v52, v23 offset:64
	;; [unrolled: 1-line block ×7, first 2 shown]
	v_fmac_f32_e32 v7, v84, v10
	v_pk_mul_f16 v80, v131, v8
	v_pk_mul_f16 v81, v130, v8
	;; [unrolled: 1-line block ×32, first 2 shown]
	s_waitcnt lgkmcnt(7)
	v_perm_b32 v41, v41, v40, s0
	ds_read_u16 v40, v22
	ds_read_u16 v58, v22 offset:32
	ds_read_u16 v59, v22 offset:64
	;; [unrolled: 1-line block ×15, first 2 shown]
	v_cvt_f32_f16_e32 v34, v80
	v_cvt_f32_f16_sdwa v39, v80 dst_sel:DWORD dst_unused:UNUSED_PAD src0_sel:WORD_1
	v_cvt_f32_f16_e32 v42, v81
	v_cvt_f32_f16_sdwa v43, v81 dst_sel:DWORD dst_unused:UNUSED_PAD src0_sel:WORD_1
	s_waitcnt lgkmcnt(7)
	v_perm_b32 v40, v65, v40, s0
	v_accvgpr_write_b32 a0, v34
	v_accvgpr_write_b32 a1, v39
	;; [unrolled: 1-line block ×4, first 2 shown]
	v_cvt_pk_f16_f32 v2, v2, v26
	v_cvt_f32_f16_e32 v26, v82
	v_mfma_f32_16x16x16_f16 a[0:3], v[40:41], v[0:1], a[0:3]
	ds_bpermute_b32 v5, v5, v7
	v_accvgpr_write_b32 a4, v26
	s_nop 5
	v_accvgpr_read_b32 v3, a0
	v_cvt_f16_f32_e32 v3, v3
	v_accvgpr_read_b32 v29, a1
	v_accvgpr_read_b32 v34, a2
	;; [unrolled: 1-line block ×3, first 2 shown]
	v_cvt_f16_f32_e32 v29, v29
	v_cvt_f16_f32_e32 v34, v34
	;; [unrolled: 1-line block ×3, first 2 shown]
	v_cvt_f32_f16_e32 v42, v3
	ds_read_u16 v3, v22 offset:17952
	ds_read_u16 v43, v22 offset:17984
	;; [unrolled: 1-line block ×16, first 2 shown]
	s_waitcnt lgkmcnt(7)
	v_perm_b32 v41, v40, v3, s0
	ds_read_u16 v3, v22 offset:16896
	ds_read_u16 v95, v22 offset:16928
	;; [unrolled: 1-line block ×16, first 2 shown]
	v_cvt_f32_f16_e32 v29, v29
	v_cvt_f32_f16_e32 v34, v34
	;; [unrolled: 1-line block ×3, first 2 shown]
	s_waitcnt lgkmcnt(7)
	v_perm_b32 v40, v40, v3, s0
	v_cvt_pk_f16_f32 v3, v78, v79
	v_accvgpr_write_b32 a0, v42
	v_accvgpr_write_b32 a1, v29
	;; [unrolled: 1-line block ×4, first 2 shown]
	v_cvt_f32_f16_sdwa v29, v82 dst_sel:DWORD dst_unused:UNUSED_PAD src0_sel:WORD_1
	v_cvt_f32_f16_e32 v34, v84
	v_mfma_f32_16x16x16_f16 a[0:3], v[40:41], v[2:3], a[0:3]
	v_cvt_f32_f16_sdwa v39, v84 dst_sel:DWORD dst_unused:UNUSED_PAD src0_sel:WORD_1
	v_perm_b32 v41, v51, v44, s0
	v_perm_b32 v40, v66, v58, s0
	v_accvgpr_write_b32 a5, v29
	v_accvgpr_write_b32 a6, v34
	;; [unrolled: 1-line block ×3, first 2 shown]
	s_nop 1
	v_mfma_f32_16x16x16_f16 a[4:7], v[40:41], v[0:1], a[4:7]
	v_perm_b32 v41, v87, v43, s0
	s_waitcnt lgkmcnt(6)
	v_perm_b32 v40, v102, v95, s0
	s_nop 4
	v_accvgpr_read_b32 v26, a4
	v_accvgpr_read_b32 v29, a5
	;; [unrolled: 1-line block ×4, first 2 shown]
	v_cvt_f16_f32_e32 v26, v26
	v_cvt_f16_f32_e32 v29, v29
	;; [unrolled: 1-line block ×4, first 2 shown]
	v_cvt_f32_f16_e32 v26, v26
	v_cvt_f32_f16_e32 v29, v29
	;; [unrolled: 1-line block ×4, first 2 shown]
	v_accvgpr_write_b32 a4, v26
	v_accvgpr_write_b32 a5, v29
	v_accvgpr_write_b32 a6, v34
	v_accvgpr_write_b32 a7, v39
	v_cvt_f32_f16_e32 v26, v85
	v_cvt_f32_f16_sdwa v29, v85 dst_sel:DWORD dst_unused:UNUSED_PAD src0_sel:WORD_1
	v_mfma_f32_16x16x16_f16 a[4:7], v[40:41], v[2:3], a[4:7]
	v_cvt_f32_f16_e32 v34, v90
	v_cvt_f32_f16_sdwa v39, v90 dst_sel:DWORD dst_unused:UNUSED_PAD src0_sel:WORD_1
	v_perm_b32 v41, v52, v45, s0
	v_perm_b32 v40, v67, v59, s0
	v_accvgpr_write_b32 a8, v26
	v_accvgpr_write_b32 a9, v29
	;; [unrolled: 1-line block ×4, first 2 shown]
	s_nop 1
	v_mfma_f32_16x16x16_f16 a[8:11], v[40:41], v[0:1], a[8:11]
	v_perm_b32 v41, v88, v65, s0
	s_waitcnt lgkmcnt(5)
	v_perm_b32 v40, v103, v96, s0
	s_nop 4
	v_accvgpr_read_b32 v26, a8
	v_accvgpr_read_b32 v29, a9
	;; [unrolled: 1-line block ×4, first 2 shown]
	v_cvt_f16_f32_e32 v26, v26
	v_cvt_f16_f32_e32 v29, v29
	;; [unrolled: 1-line block ×4, first 2 shown]
	v_cvt_f32_f16_e32 v26, v26
	v_cvt_f32_f16_e32 v29, v29
	;; [unrolled: 1-line block ×4, first 2 shown]
	v_accvgpr_write_b32 a8, v26
	v_accvgpr_write_b32 a9, v29
	;; [unrolled: 1-line block ×4, first 2 shown]
	v_cvt_f32_f16_e32 v26, v38
	v_cvt_f32_f16_sdwa v29, v38 dst_sel:DWORD dst_unused:UNUSED_PAD src0_sel:WORD_1
	v_cvt_f32_f16_e32 v34, v37
	v_cvt_f32_f16_sdwa v37, v37 dst_sel:DWORD dst_unused:UNUSED_PAD src0_sel:WORD_1
	v_perm_b32 v39, v53, v46, s0
	v_perm_b32 v38, v68, v60, s0
	v_accvgpr_write_b32 a12, v26
	v_accvgpr_write_b32 a13, v29
	;; [unrolled: 1-line block ×4, first 2 shown]
	v_mfma_f32_16x16x16_f16 a[8:11], v[40:41], v[2:3], a[8:11]
	s_nop 0
	v_mfma_f32_16x16x16_f16 a[12:15], v[38:39], v[0:1], a[12:15]
	v_perm_b32 v39, v89, v76, s0
	s_waitcnt lgkmcnt(4)
	v_perm_b32 v38, v104, v97, s0
	s_nop 4
	v_accvgpr_read_b32 v26, a12
	v_accvgpr_read_b32 v29, a13
	;; [unrolled: 1-line block ×4, first 2 shown]
	v_cvt_f16_f32_e32 v26, v26
	v_cvt_f16_f32_e32 v29, v29
	;; [unrolled: 1-line block ×4, first 2 shown]
	v_cvt_f32_f16_e32 v26, v26
	v_cvt_f32_f16_e32 v29, v29
	;; [unrolled: 1-line block ×4, first 2 shown]
	v_accvgpr_write_b32 a12, v26
	v_accvgpr_write_b32 a13, v29
	;; [unrolled: 1-line block ×4, first 2 shown]
	v_cvt_f32_f16_e32 v26, v36
	v_cvt_f32_f16_sdwa v29, v36 dst_sel:DWORD dst_unused:UNUSED_PAD src0_sel:WORD_1
	v_cvt_f32_f16_e32 v36, v35
	v_cvt_f32_f16_sdwa v37, v35 dst_sel:DWORD dst_unused:UNUSED_PAD src0_sel:WORD_1
	v_perm_b32 v35, v54, v47, s0
	v_perm_b32 v34, v69, v61, s0
	v_accvgpr_write_b32 a16, v26
	v_accvgpr_write_b32 a17, v29
	;; [unrolled: 1-line block ×4, first 2 shown]
	v_mfma_f32_16x16x16_f16 a[12:15], v[38:39], v[2:3], a[12:15]
	s_nop 0
	v_mfma_f32_16x16x16_f16 a[16:19], v[34:35], v[0:1], a[16:19]
	s_nop 7
	v_accvgpr_read_b32 v26, a16
	v_accvgpr_read_b32 v29, a17
	v_accvgpr_read_b32 v34, a18
	v_accvgpr_read_b32 v35, a19
	v_cvt_f16_f32_e32 v26, v26
	v_cvt_f16_f32_e32 v29, v29
	v_cvt_f16_f32_e32 v34, v34
	v_cvt_f16_f32_e32 v35, v35
	v_cvt_f32_f16_e32 v26, v26
	v_cvt_f32_f16_e32 v29, v29
	v_cvt_f32_f16_e32 v36, v34
	v_cvt_f32_f16_e32 v37, v35
	v_perm_b32 v35, v91, v77, s0
	s_waitcnt lgkmcnt(3)
	v_perm_b32 v34, v105, v98, s0
	v_accvgpr_write_b32 a16, v26
	v_accvgpr_write_b32 a17, v29
	v_accvgpr_write_b32 a18, v36
	v_accvgpr_write_b32 a19, v37
	v_cvt_f32_f16_e32 v26, v33
	v_cvt_f32_f16_sdwa v29, v33 dst_sel:DWORD dst_unused:UNUSED_PAD src0_sel:WORD_1
	v_mfma_f32_16x16x16_f16 a[16:19], v[34:35], v[2:3], a[16:19]
	v_cvt_f32_f16_e32 v34, v32
	v_cvt_f32_f16_sdwa v35, v32 dst_sel:DWORD dst_unused:UNUSED_PAD src0_sel:WORD_1
	v_perm_b32 v33, v55, v48, s0
	v_perm_b32 v32, v70, v62, s0
	v_accvgpr_write_b32 a20, v26
	v_accvgpr_write_b32 a21, v29
	v_accvgpr_write_b32 a22, v34
	v_accvgpr_write_b32 a23, v35
	s_nop 1
	v_mfma_f32_16x16x16_f16 a[20:23], v[32:33], v[0:1], a[20:23]
	s_nop 7
	v_accvgpr_read_b32 v26, a20
	v_accvgpr_read_b32 v29, a21
	v_accvgpr_read_b32 v32, a22
	v_accvgpr_read_b32 v33, a23
	v_cvt_f16_f32_e32 v26, v26
	v_cvt_f16_f32_e32 v29, v29
	v_cvt_f16_f32_e32 v32, v32
	v_cvt_f16_f32_e32 v33, v33
	v_cvt_f32_f16_e32 v26, v26
	v_cvt_f32_f16_e32 v29, v29
	v_cvt_f32_f16_e32 v34, v32
	v_cvt_f32_f16_e32 v35, v33
	v_perm_b32 v33, v92, v80, s0
	s_waitcnt lgkmcnt(2)
	v_perm_b32 v32, v106, v99, s0
	v_accvgpr_write_b32 a20, v26
	v_accvgpr_write_b32 a21, v29
	v_accvgpr_write_b32 a22, v34
	v_accvgpr_write_b32 a23, v35
	v_cvt_f32_f16_e32 v26, v31
	v_cvt_f32_f16_sdwa v29, v31 dst_sel:DWORD dst_unused:UNUSED_PAD src0_sel:WORD_1
	v_mfma_f32_16x16x16_f16 a[20:23], v[32:33], v[2:3], a[20:23]
	v_cvt_f32_f16_e32 v32, v30
	v_cvt_f32_f16_sdwa v33, v30 dst_sel:DWORD dst_unused:UNUSED_PAD src0_sel:WORD_1
	v_perm_b32 v31, v56, v49, s0
	v_perm_b32 v30, v71, v63, s0
	v_accvgpr_write_b32 a24, v26
	v_accvgpr_write_b32 a25, v29
	v_accvgpr_write_b32 a26, v32
	v_accvgpr_write_b32 a27, v33
	;; [unrolled: 33-line block ×3, first 2 shown]
	s_nop 1
	v_mfma_f32_16x16x16_f16 a[28:31], v[26:27], v[0:1], a[28:31]
	s_nop 7
	v_accvgpr_read_b32 v26, a28
	v_accvgpr_read_b32 v27, a29
	;; [unrolled: 1-line block ×4, first 2 shown]
	v_cvt_f16_f32_e32 v26, v26
	v_cvt_f16_f32_e32 v27, v27
	;; [unrolled: 1-line block ×4, first 2 shown]
	v_cvt_f32_f16_e32 v30, v26
	v_cvt_f32_f16_e32 v31, v27
	;; [unrolled: 1-line block ×4, first 2 shown]
	v_perm_b32 v27, v94, v86, s0
	s_waitcnt lgkmcnt(0)
	v_perm_b32 v26, v108, v101, s0
	v_accvgpr_write_b32 a28, v30
	v_accvgpr_write_b32 a29, v31
	;; [unrolled: 1-line block ×4, first 2 shown]
	v_cvt_f32_f16_e32 v28, v24
	v_cvt_f32_f16_sdwa v29, v24 dst_sel:DWORD dst_unused:UNUSED_PAD src0_sel:WORD_1
	v_mfma_f32_16x16x16_f16 a[28:31], v[26:27], v[2:3], a[28:31]
	v_cvt_f32_f16_e32 v26, v25
	v_cvt_f32_f16_sdwa v27, v25 dst_sel:DWORD dst_unused:UNUSED_PAD src0_sel:WORD_1
	ds_read_u16 v24, v22 offset:1312
	ds_read_u16 v30, v22 offset:1344
	ds_read_u16 v31, v22 offset:1376
	ds_read_u16 v32, v22 offset:1408
	ds_read_u16 v33, v22 offset:1440
	ds_read_u16 v34, v22 offset:1472
	ds_read_u16 v35, v22 offset:1504
	ds_read_u16 v36, v22 offset:1536
	ds_read_u16 v25, v23 offset:256
	ds_read_u16 v37, v23 offset:288
	ds_read_u16 v38, v23 offset:320
	ds_read_u16 v39, v23 offset:352
	ds_read_u16 v40, v23 offset:384
	ds_read_u16 v41, v23 offset:416
	ds_read_u16 v42, v23 offset:448
	ds_read_u16 v43, v23 offset:480
	s_waitcnt lgkmcnt(7)
	v_perm_b32 v25, v25, v24, s0
	ds_read_u16 v24, v22 offset:256
	ds_read_u16 v44, v22 offset:288
	;; [unrolled: 1-line block ×16, first 2 shown]
	s_waitcnt lgkmcnt(7)
	v_perm_b32 v24, v51, v24, s0
	v_accvgpr_write_b32 a32, v26
	v_accvgpr_write_b32 a33, v27
	;; [unrolled: 1-line block ×4, first 2 shown]
	ds_read_u16 v28, v22 offset:18208
	ds_read_u16 v29, v22 offset:18240
	;; [unrolled: 1-line block ×16, first 2 shown]
	v_mfma_f32_16x16x16_f16 a[32:35], v[24:25], v[0:1], a[32:35]
	s_waitcnt lgkmcnt(7)
	v_perm_b32 v23, v64, v28, s0
	ds_read_u16 v28, v22 offset:17152
	ds_read_u16 v64, v22 offset:17184
	;; [unrolled: 1-line block ×16, first 2 shown]
	s_waitcnt lgkmcnt(7)
	v_perm_b32 v22, v81, v28, s0
	v_accvgpr_read_b32 v24, a32
	v_accvgpr_read_b32 v25, a33
	;; [unrolled: 1-line block ×4, first 2 shown]
	v_cvt_f16_f32_e32 v24, v24
	v_cvt_f16_f32_e32 v25, v25
	;; [unrolled: 1-line block ×4, first 2 shown]
	v_cvt_f32_f16_e32 v24, v24
	v_cvt_f32_f16_e32 v25, v25
	v_cvt_f32_f16_e32 v26, v26
	v_cvt_f32_f16_e32 v27, v27
	v_accvgpr_write_b32 a32, v24
	v_accvgpr_write_b32 a33, v25
	;; [unrolled: 1-line block ×4, first 2 shown]
	v_cvt_f32_f16_e32 v24, v20
	v_cvt_f32_f16_sdwa v25, v20 dst_sel:DWORD dst_unused:UNUSED_PAD src0_sel:WORD_1
	v_mfma_f32_16x16x16_f16 a[32:35], v[22:23], v[2:3], a[32:35]
	v_cvt_f32_f16_e32 v22, v21
	v_cvt_f32_f16_sdwa v23, v21 dst_sel:DWORD dst_unused:UNUSED_PAD src0_sel:WORD_1
	v_perm_b32 v21, v37, v30, s0
	v_perm_b32 v20, v52, v44, s0
	v_accvgpr_write_b32 a36, v22
	v_accvgpr_write_b32 a37, v23
	;; [unrolled: 1-line block ×4, first 2 shown]
	s_waitcnt lgkmcnt(0)
	s_barrier
	v_mfma_f32_16x16x16_f16 a[36:39], v[20:21], v[0:1], a[36:39]
	s_nop 7
	v_accvgpr_read_b32 v20, a36
	v_accvgpr_read_b32 v21, a37
	v_accvgpr_read_b32 v22, a38
	v_accvgpr_read_b32 v23, a39
	v_cvt_f16_f32_e32 v20, v20
	v_cvt_f16_f32_e32 v21, v21
	v_cvt_f16_f32_e32 v22, v22
	v_cvt_f16_f32_e32 v23, v23
	v_cvt_f32_f16_e32 v24, v20
	v_cvt_f32_f16_e32 v25, v21
	v_cvt_f32_f16_e32 v22, v22
	v_cvt_f32_f16_e32 v23, v23
	v_perm_b32 v21, v65, v29, s0
	v_perm_b32 v20, v82, v64, s0
	v_accvgpr_write_b32 a36, v24
	v_accvgpr_write_b32 a37, v25
	v_accvgpr_write_b32 a38, v22
	v_accvgpr_write_b32 a39, v23
	v_cvt_f32_f16_e32 v22, v18
	v_cvt_f32_f16_sdwa v23, v18 dst_sel:DWORD dst_unused:UNUSED_PAD src0_sel:WORD_1
	v_mfma_f32_16x16x16_f16 a[36:39], v[20:21], v[2:3], a[36:39]
	v_cvt_f32_f16_e32 v20, v19
	v_cvt_f32_f16_sdwa v21, v19 dst_sel:DWORD dst_unused:UNUSED_PAD src0_sel:WORD_1
	v_perm_b32 v19, v38, v31, s0
	v_perm_b32 v18, v53, v45, s0
	v_accvgpr_write_b32 a40, v20
	v_accvgpr_write_b32 a41, v21
	v_accvgpr_write_b32 a42, v22
	v_accvgpr_write_b32 a43, v23
	s_nop 1
	v_mfma_f32_16x16x16_f16 a[40:43], v[18:19], v[0:1], a[40:43]
	s_nop 7
	v_accvgpr_read_b32 v18, a40
	v_accvgpr_read_b32 v19, a41
	v_accvgpr_read_b32 v20, a42
	v_accvgpr_read_b32 v21, a43
	v_cvt_f16_f32_e32 v18, v18
	v_cvt_f16_f32_e32 v19, v19
	v_cvt_f16_f32_e32 v20, v20
	v_cvt_f16_f32_e32 v21, v21
	v_cvt_f32_f16_e32 v22, v18
	v_cvt_f32_f16_e32 v23, v19
	v_cvt_f32_f16_e32 v20, v20
	v_cvt_f32_f16_e32 v21, v21
	v_perm_b32 v19, v66, v51, s0
	v_perm_b32 v18, v84, v75, s0
	v_accvgpr_write_b32 a40, v22
	v_accvgpr_write_b32 a41, v23
	v_accvgpr_write_b32 a42, v20
	v_accvgpr_write_b32 a43, v21
	v_cvt_f32_f16_e32 v20, v16
	v_cvt_f32_f16_sdwa v21, v16 dst_sel:DWORD dst_unused:UNUSED_PAD src0_sel:WORD_1
	v_mfma_f32_16x16x16_f16 a[40:43], v[18:19], v[2:3], a[40:43]
	v_cvt_f32_f16_e32 v18, v17
	v_cvt_f32_f16_sdwa v19, v17 dst_sel:DWORD dst_unused:UNUSED_PAD src0_sel:WORD_1
	v_perm_b32 v17, v39, v32, s0
	v_perm_b32 v16, v54, v46, s0
	v_accvgpr_write_b32 a44, v18
	v_accvgpr_write_b32 a45, v19
	v_accvgpr_write_b32 a46, v20
	v_accvgpr_write_b32 a47, v21
	s_nop 1
	;; [unrolled: 32-line block ×6, first 2 shown]
	v_mfma_f32_16x16x16_f16 a[60:63], v[8:9], v[0:1], a[60:63]
	s_nop 7
	v_accvgpr_read_b32 v0, a60
	v_accvgpr_read_b32 v1, a61
	;; [unrolled: 1-line block ×4, first 2 shown]
	v_cvt_f16_f32_e32 v0, v0
	v_cvt_f16_f32_e32 v1, v1
	;; [unrolled: 1-line block ×4, first 2 shown]
	v_cvt_f32_f16_e32 v10, v0
	v_cvt_f32_f16_e32 v11, v1
	;; [unrolled: 1-line block ×4, first 2 shown]
	v_perm_b32 v1, v71, v63, s0
	v_perm_b32 v0, v89, v80, s0
	v_accvgpr_write_b32 a60, v10
	v_accvgpr_write_b32 a61, v11
	;; [unrolled: 1-line block ×4, first 2 shown]
	v_cmp_gt_u32_e64 s[0:1], 16, v72
	s_nop 0
	v_mfma_f32_16x16x16_f16 a[60:63], v[0:1], v[2:3], a[60:63]
	v_add_f32_e32 v0, v7, v5
	ds_bpermute_b32 v1, v4, v0
	s_and_saveexec_b64 s[4:5], s[0:1]
	s_cbranch_execz .LBB31_322
; %bb.321:
	s_waitcnt lgkmcnt(0)
	v_add_f32_e32 v0, v0, v1
	v_or_b32_e32 v1, v214, v72
	v_mad_u32_u24 v1, v1, s6, 0
	ds_write2_b32 v1, v6, v0 offset0:128 offset1:129
.LBB31_322:
	s_or_b64 exec, exec, s[4:5]
	v_and_b32_e32 v0, 1, v83
	v_cmp_eq_u32_e32 vcc, 0, v0
	v_cmp_eq_u32_e64 s[4:5], 1, v0
	s_waitcnt lgkmcnt(0)
	s_barrier
	s_and_saveexec_b64 s[6:7], s[4:5]
	s_xor_b64 s[4:5], exec, s[6:7]
	s_cbranch_execz .LBB31_324
; %bb.323:
	s_barrier
                                        ; implicit-def: $vgpr215
                                        ; implicit-def: $vgpr4
.LBB31_324:
	s_andn2_saveexec_b64 s[6:7], s[4:5]
	s_cbranch_execz .LBB31_330
; %bb.325:
	v_and_or_b32 v1, v72, 31, v214
	s_movk_i32 s3, 0x210
	v_mad_u32_u24 v0, v1, s3, 0
	ds_read_b64 v[6:7], v0 offset:512
	s_mov_b32 s3, 0x3fb8aa3b
	s_mov_b32 s8, 0x42b17218
	s_waitcnt lgkmcnt(0)
	s_barrier
	ds_bpermute_b32 v0, v4, v6
	v_max_f32_e32 v2, v6, v6
	s_waitcnt lgkmcnt(0)
	v_max_f32_e32 v0, v0, v0
	v_max_f32_e32 v0, v2, v0
	v_sub_f32_e32 v2, v6, v0
	v_mul_f32_e32 v3, 0x3fb8aa3b, v2
	v_fma_f32 v5, v2, s3, -v3
	v_rndne_f32_e32 v6, v3
	v_fmamk_f32 v5, v2, 0x32a5705f, v5
	v_sub_f32_e32 v3, v3, v6
	v_add_f32_e32 v3, v3, v5
	v_cvt_i32_f32_e32 v6, v6
	v_exp_f32_e32 v3, v3
	s_mov_b32 s3, 0xc2ce8ed0
	v_cmp_ngt_f32_e64 s[4:5], s3, v2
	v_mov_b32_e32 v5, 0x7f800000
	v_ldexp_f32 v3, v3, v6
	v_cndmask_b32_e64 v3, 0, v3, s[4:5]
	v_cmp_nlt_f32_e64 s[4:5], s8, v2
	s_nop 1
	v_cndmask_b32_e64 v2, v5, v3, s[4:5]
	v_mul_f32_e32 v3, v7, v2
	ds_bpermute_b32 v3, v4, v3
	v_cmp_gt_u32_e64 s[4:5], 32, v72
	s_waitcnt lgkmcnt(0)
	v_fmac_f32_e32 v3, v7, v2
	s_and_saveexec_b64 s[8:9], s[4:5]
; %bb.326:
	v_mul_u32_u24_e32 v1, 0x210, v1
	v_add_u32_e32 v1, 0, v1
	ds_write_b64 v1, v[2:3] offset:512
; %bb.327:
	s_or_b64 exec, exec, s[8:9]
	s_and_saveexec_b64 s[4:5], s[0:1]
	s_cbranch_execz .LBB31_329
; %bb.328:
	s_add_i32 s0, s33, s2
	s_lshl_b32 s0, s0, 5
	s_mov_b32 s1, 0
	s_lshl_b64 s[0:1], s[0:1], 3
	s_add_u32 s0, s30, s0
	v_or_b32_e32 v1, v215, v72
	s_addc_u32 s1, s31, s1
	v_lshlrev_b32_e32 v2, 3, v1
	v_mov_b32_e32 v1, v3
	global_store_dwordx2 v2, v[0:1], s[0:1]
.LBB31_329:
	s_or_b64 exec, exec, s[4:5]
.LBB31_330:
	s_or_b64 exec, exec, s[6:7]
	v_accvgpr_read_b32 v0, a60
	v_accvgpr_read_b32 v1, a61
	;; [unrolled: 1-line block ×3, first 2 shown]
	v_cvt_pk_f16_f32 v0, v0, v1
	v_or_b32_e32 v1, v214, v73
	v_accvgpr_read_b32 v62, a2
	v_accvgpr_read_b32 v61, a1
	;; [unrolled: 1-line block ×17, first 2 shown]
	v_mul_u32_u24_e32 v1, 0x210, v1
	v_accvgpr_read_b32 v58, a6
	v_accvgpr_read_b32 v57, a5
	;; [unrolled: 1-line block ×44, first 2 shown]
	v_cvt_pk_f16_f32 v62, v62, v63
	v_cvt_pk_f16_f32 v60, v60, v61
	s_mov_b32 s3, 0
	s_movk_i32 s4, 0x210
	v_add3_u32 v1, 0, v74, v1
	v_cvt_pk_f16_f32 v58, v58, v59
	v_cvt_pk_f16_f32 v56, v56, v57
	;; [unrolled: 1-line block ×29, first 2 shown]
	ds_write2_b32 v1, v60, v62 offset1:1
	ds_write2_b32 v1, v56, v58 offset0:8 offset1:9
	ds_write2_b32 v1, v52, v54 offset0:16 offset1:17
	;; [unrolled: 1-line block ×15, first 2 shown]
	s_waitcnt lgkmcnt(0)
	s_barrier
	s_and_saveexec_b64 s[0:1], vcc
	s_cbranch_execz .LBB31_332
; %bb.331:
	s_lshl_b32 s2, s2, 12
	s_lshl_b64 s[6:7], s[2:3], 3
	s_add_u32 s5, s30, s6
	s_addc_u32 s6, s31, s7
	s_lshl_b32 s2, s33, 6
	s_lshl_b64 s[2:3], s[2:3], 3
	s_add_u32 s2, s5, s2
	v_bfe_u32 v14, v83, 1, 4
	s_movk_i32 s5, 0x3e0
	v_and_or_b32 v1, v83, s5, v14
	v_mad_u32_u24 v6, v1, s4, 0
	v_lshlrev_b32_e32 v1, 2, v72
	v_add_u32_e32 v4, v6, v1
	ds_read2st64_b32 v[2:3], v4 offset1:1
	ds_read2st64_b32 v[4:5], v4 offset0:33 offset1:34
	ds_read2st64_b32 v[6:7], v6 offset0:2 offset1:35
	v_lshrrev_b32_e32 v0, 1, v83
	v_lshlrev_b32_e32 v12, 6, v83
	s_waitcnt lgkmcnt(2)
	v_cvt_f32_f16_e32 v8, v2
	v_cvt_f32_f16_sdwa v9, v2 dst_sel:DWORD dst_unused:UNUSED_PAD src0_sel:WORD_1
	s_waitcnt lgkmcnt(1)
	v_cvt_f32_f16_e32 v10, v4
	v_cvt_f32_f16_sdwa v11, v4 dst_sel:DWORD dst_unused:UNUSED_PAD src0_sel:WORD_1
	s_waitcnt lgkmcnt(0)
	v_mov_b32_e32 v2, v7
	v_pk_fma_f32 v[8:9], v[6:7], v[8:9], 0 op_sel_hi:[0,1,0]
	s_addc_u32 s3, s6, s3
	v_add_lshl_u32 v12, v72, v12, 3
	v_pk_fma_f32 v[8:9], v[2:3], v[10:11], v[8:9] op_sel_hi:[0,1,1]
	v_add_u32_e32 v13, 2, v0
	global_store_dwordx2 v12, v[8:9], s[2:3]
	v_cvt_f32_f16_e32 v8, v3
	v_cvt_f32_f16_sdwa v9, v3 dst_sel:DWORD dst_unused:UNUSED_PAD src0_sel:WORD_1
	v_lshlrev_b32_e32 v3, 1, v13
	v_and_b32_e32 v7, 15, v13
	s_movk_i32 s5, 0x7e0
	v_and_or_b32 v3, v3, s5, v7
	v_mad_u32_u24 v15, v3, s4, 0
	v_add_u32_e32 v16, v15, v1
	v_cvt_f32_f16_e32 v4, v5
	v_cvt_f32_f16_sdwa v5, v5 dst_sel:DWORD dst_unused:UNUSED_PAD src0_sel:WORD_1
	ds_read2st64_b32 v[10:11], v16 offset1:1
	v_pk_fma_f32 v[6:7], v[6:7], v[8:9], 0 op_sel_hi:[0,1,0]
	v_pk_fma_f32 v[2:3], v[2:3], v[4:5], v[6:7] op_sel_hi:[0,1,1]
	ds_read2st64_b32 v[4:5], v15 offset0:2 offset1:35
	ds_read2st64_b32 v[6:7], v16 offset0:33 offset1:34
	s_waitcnt lgkmcnt(2)
	v_cvt_f32_f16_e32 v8, v10
	v_cvt_f32_f16_sdwa v9, v10 dst_sel:DWORD dst_unused:UNUSED_PAD src0_sel:WORD_1
	global_store_dwordx2 v12, v[2:3], s[2:3] offset:512
	v_lshlrev_b32_e32 v2, 7, v13
	v_add_lshl_u32 v15, v72, v2, 3
	s_waitcnt lgkmcnt(1)
	v_pk_fma_f32 v[2:3], v[4:5], v[8:9], 0 op_sel_hi:[0,1,0]
	s_waitcnt lgkmcnt(0)
	v_cvt_f32_f16_e32 v8, v6
	v_cvt_f32_f16_sdwa v9, v6 dst_sel:DWORD dst_unused:UNUSED_PAD src0_sel:WORD_1
	v_cvt_f32_f16_e32 v10, v11
	v_cvt_f32_f16_sdwa v11, v11 dst_sel:DWORD dst_unused:UNUSED_PAD src0_sel:WORD_1
	v_cvt_f32_f16_e32 v12, v7
	v_cvt_f32_f16_sdwa v13, v7 dst_sel:DWORD dst_unused:UNUSED_PAD src0_sel:WORD_1
	v_mov_b32_e32 v6, v5
	v_pk_fma_f32 v[2:3], v[6:7], v[8:9], v[2:3] op_sel_hi:[0,1,1]
	global_store_dwordx2 v15, v[2:3], s[2:3]
	v_pk_fma_f32 v[2:3], v[4:5], v[10:11], 0 op_sel_hi:[0,1,0]
	v_pk_fma_f32 v[2:3], v[6:7], v[12:13], v[2:3] op_sel_hi:[0,1,1]
	v_add_u32_e32 v6, 4, v0
	v_lshlrev_b32_e32 v4, 1, v6
	v_and_b32_e32 v5, 15, v6
	v_and_or_b32 v4, v4, s5, v5
	v_mad_u32_u24 v7, v4, s4, 0
	v_add_u32_e32 v8, v7, v1
	ds_read2st64_b32 v[4:5], v8 offset1:1
	global_store_dwordx2 v15, v[2:3], s[2:3] offset:512
	ds_read2st64_b32 v[2:3], v8 offset0:33 offset1:34
	v_lshlrev_b32_e32 v12, 7, v6
	ds_read2st64_b32 v[6:7], v7 offset0:2 offset1:35
	s_waitcnt lgkmcnt(2)
	v_cvt_f32_f16_e32 v8, v4
	v_cvt_f32_f16_sdwa v9, v4 dst_sel:DWORD dst_unused:UNUSED_PAD src0_sel:WORD_1
	s_waitcnt lgkmcnt(1)
	v_cvt_f32_f16_e32 v10, v2
	v_cvt_f32_f16_sdwa v11, v2 dst_sel:DWORD dst_unused:UNUSED_PAD src0_sel:WORD_1
	s_waitcnt lgkmcnt(0)
	v_mov_b32_e32 v2, v7
	v_pk_fma_f32 v[8:9], v[6:7], v[8:9], 0 op_sel_hi:[0,1,0]
	v_add_lshl_u32 v12, v72, v12, 3
	v_pk_fma_f32 v[8:9], v[2:3], v[10:11], v[8:9] op_sel_hi:[0,1,1]
	v_add_u32_e32 v13, 6, v0
	global_store_dwordx2 v12, v[8:9], s[2:3]
	v_cvt_f32_f16_e32 v8, v3
	v_cvt_f32_f16_sdwa v9, v3 dst_sel:DWORD dst_unused:UNUSED_PAD src0_sel:WORD_1
	v_lshlrev_b32_e32 v3, 1, v13
	v_and_b32_e32 v7, 15, v13
	v_and_or_b32 v3, v3, s5, v7
	v_mad_u32_u24 v7, v3, s4, 0
	v_cvt_f32_f16_e32 v4, v5
	v_cvt_f32_f16_sdwa v5, v5 dst_sel:DWORD dst_unused:UNUSED_PAD src0_sel:WORD_1
	v_add_u32_e32 v15, v7, v1
	ds_read2st64_b32 v[10:11], v15 offset1:1
	v_pk_fma_f32 v[4:5], v[6:7], v[4:5], 0 op_sel_hi:[0,1,0]
	v_pk_fma_f32 v[2:3], v[2:3], v[8:9], v[4:5] op_sel_hi:[0,1,1]
	ds_read2st64_b32 v[4:5], v7 offset0:2 offset1:35
	ds_read2st64_b32 v[6:7], v15 offset0:33 offset1:34
	s_waitcnt lgkmcnt(2)
	v_cvt_f32_f16_e32 v8, v10
	v_cvt_f32_f16_sdwa v9, v10 dst_sel:DWORD dst_unused:UNUSED_PAD src0_sel:WORD_1
	global_store_dwordx2 v12, v[2:3], s[2:3] offset:512
	v_lshlrev_b32_e32 v2, 7, v13
	v_add_lshl_u32 v15, v72, v2, 3
	s_waitcnt lgkmcnt(1)
	v_pk_fma_f32 v[2:3], v[4:5], v[8:9], 0 op_sel_hi:[0,1,0]
	s_waitcnt lgkmcnt(0)
	v_cvt_f32_f16_e32 v8, v6
	v_cvt_f32_f16_sdwa v9, v6 dst_sel:DWORD dst_unused:UNUSED_PAD src0_sel:WORD_1
	v_cvt_f32_f16_e32 v10, v11
	v_cvt_f32_f16_sdwa v11, v11 dst_sel:DWORD dst_unused:UNUSED_PAD src0_sel:WORD_1
	v_cvt_f32_f16_e32 v12, v7
	v_cvt_f32_f16_sdwa v13, v7 dst_sel:DWORD dst_unused:UNUSED_PAD src0_sel:WORD_1
	v_mov_b32_e32 v6, v5
	v_pk_fma_f32 v[2:3], v[6:7], v[8:9], v[2:3] op_sel_hi:[0,1,1]
	global_store_dwordx2 v15, v[2:3], s[2:3]
	v_pk_fma_f32 v[2:3], v[4:5], v[10:11], 0 op_sel_hi:[0,1,0]
	v_pk_fma_f32 v[2:3], v[6:7], v[12:13], v[2:3] op_sel_hi:[0,1,1]
	v_add_u32_e32 v6, 8, v0
	v_lshlrev_b32_e32 v4, 1, v6
	v_and_b32_e32 v5, 15, v6
	v_and_or_b32 v4, v4, s5, v5
	v_mad_u32_u24 v7, v4, s4, 0
	v_add_u32_e32 v8, v7, v1
	ds_read2st64_b32 v[4:5], v8 offset1:1
	global_store_dwordx2 v15, v[2:3], s[2:3] offset:512
	ds_read2st64_b32 v[2:3], v8 offset0:33 offset1:34
	v_lshlrev_b32_e32 v12, 7, v6
	ds_read2st64_b32 v[6:7], v7 offset0:2 offset1:35
	s_waitcnt lgkmcnt(2)
	v_cvt_f32_f16_e32 v8, v4
	v_cvt_f32_f16_sdwa v9, v4 dst_sel:DWORD dst_unused:UNUSED_PAD src0_sel:WORD_1
	s_waitcnt lgkmcnt(1)
	v_cvt_f32_f16_e32 v10, v2
	v_cvt_f32_f16_sdwa v11, v2 dst_sel:DWORD dst_unused:UNUSED_PAD src0_sel:WORD_1
	s_waitcnt lgkmcnt(0)
	v_mov_b32_e32 v2, v7
	v_pk_fma_f32 v[8:9], v[6:7], v[8:9], 0 op_sel_hi:[0,1,0]
	v_add_lshl_u32 v12, v72, v12, 3
	v_pk_fma_f32 v[8:9], v[2:3], v[10:11], v[8:9] op_sel_hi:[0,1,1]
	v_add_u32_e32 v13, 10, v0
	global_store_dwordx2 v12, v[8:9], s[2:3]
	v_cvt_f32_f16_e32 v8, v3
	v_cvt_f32_f16_sdwa v9, v3 dst_sel:DWORD dst_unused:UNUSED_PAD src0_sel:WORD_1
	v_lshlrev_b32_e32 v3, 1, v13
	v_and_b32_e32 v7, 15, v13
	v_and_or_b32 v3, v3, s5, v7
	v_mad_u32_u24 v7, v3, s4, 0
	v_cvt_f32_f16_e32 v4, v5
	v_cvt_f32_f16_sdwa v5, v5 dst_sel:DWORD dst_unused:UNUSED_PAD src0_sel:WORD_1
	v_add_u32_e32 v15, v7, v1
	;; [unrolled: 58-line block ×3, first 2 shown]
	ds_read2st64_b32 v[10:11], v15 offset1:1
	v_pk_fma_f32 v[4:5], v[6:7], v[4:5], 0 op_sel_hi:[0,1,0]
	v_pk_fma_f32 v[2:3], v[2:3], v[8:9], v[4:5] op_sel_hi:[0,1,1]
	ds_read2st64_b32 v[4:5], v7 offset0:2 offset1:35
	ds_read2st64_b32 v[6:7], v15 offset0:33 offset1:34
	s_waitcnt lgkmcnt(2)
	v_cvt_f32_f16_e32 v8, v10
	v_cvt_f32_f16_sdwa v9, v10 dst_sel:DWORD dst_unused:UNUSED_PAD src0_sel:WORD_1
	global_store_dwordx2 v12, v[2:3], s[2:3] offset:512
	v_lshlrev_b32_e32 v2, 7, v13
	v_add_lshl_u32 v15, v72, v2, 3
	s_waitcnt lgkmcnt(1)
	v_pk_fma_f32 v[2:3], v[4:5], v[8:9], 0 op_sel_hi:[0,1,0]
	s_waitcnt lgkmcnt(0)
	v_cvt_f32_f16_e32 v8, v6
	v_cvt_f32_f16_sdwa v9, v6 dst_sel:DWORD dst_unused:UNUSED_PAD src0_sel:WORD_1
	v_cvt_f32_f16_e32 v10, v11
	v_cvt_f32_f16_sdwa v11, v11 dst_sel:DWORD dst_unused:UNUSED_PAD src0_sel:WORD_1
	;; [unrolled: 2-line block ×3, first 2 shown]
	v_mov_b32_e32 v6, v5
	v_pk_fma_f32 v[2:3], v[6:7], v[8:9], v[2:3] op_sel_hi:[0,1,1]
	global_store_dwordx2 v15, v[2:3], s[2:3]
	v_pk_fma_f32 v[2:3], v[4:5], v[10:11], 0 op_sel_hi:[0,1,0]
	v_pk_fma_f32 v[2:3], v[6:7], v[12:13], v[2:3] op_sel_hi:[0,1,1]
	v_add_u32_e32 v6, 16, v0
	v_lshlrev_b32_e32 v4, 1, v6
	v_and_or_b32 v4, v4, s5, v14
	v_mad_u32_u24 v7, v4, s4, 0
	v_add_u32_e32 v8, v7, v1
	ds_read2st64_b32 v[4:5], v8 offset1:1
	global_store_dwordx2 v15, v[2:3], s[2:3] offset:512
	ds_read2st64_b32 v[2:3], v8 offset0:33 offset1:34
	v_lshlrev_b32_e32 v12, 7, v6
	ds_read2st64_b32 v[6:7], v7 offset0:2 offset1:35
	s_waitcnt lgkmcnt(2)
	v_cvt_f32_f16_e32 v8, v4
	v_cvt_f32_f16_sdwa v9, v4 dst_sel:DWORD dst_unused:UNUSED_PAD src0_sel:WORD_1
	s_waitcnt lgkmcnt(1)
	v_cvt_f32_f16_e32 v10, v2
	v_cvt_f32_f16_sdwa v11, v2 dst_sel:DWORD dst_unused:UNUSED_PAD src0_sel:WORD_1
	s_waitcnt lgkmcnt(0)
	v_mov_b32_e32 v2, v7
	v_pk_fma_f32 v[8:9], v[6:7], v[8:9], 0 op_sel_hi:[0,1,0]
	v_add_lshl_u32 v12, v72, v12, 3
	v_pk_fma_f32 v[8:9], v[2:3], v[10:11], v[8:9] op_sel_hi:[0,1,1]
	v_add_u32_e32 v13, 18, v0
	global_store_dwordx2 v12, v[8:9], s[2:3]
	v_cvt_f32_f16_e32 v8, v3
	v_cvt_f32_f16_sdwa v9, v3 dst_sel:DWORD dst_unused:UNUSED_PAD src0_sel:WORD_1
	v_lshlrev_b32_e32 v3, 1, v13
	v_and_b32_e32 v7, 15, v13
	v_and_or_b32 v3, v3, s5, v7
	v_mad_u32_u24 v7, v3, s4, 0
	v_cvt_f32_f16_e32 v4, v5
	v_cvt_f32_f16_sdwa v5, v5 dst_sel:DWORD dst_unused:UNUSED_PAD src0_sel:WORD_1
	v_add_u32_e32 v14, v7, v1
	ds_read2st64_b32 v[10:11], v14 offset1:1
	v_pk_fma_f32 v[4:5], v[6:7], v[4:5], 0 op_sel_hi:[0,1,0]
	v_pk_fma_f32 v[2:3], v[2:3], v[8:9], v[4:5] op_sel_hi:[0,1,1]
	ds_read2st64_b32 v[4:5], v7 offset0:2 offset1:35
	ds_read2st64_b32 v[6:7], v14 offset0:33 offset1:34
	s_waitcnt lgkmcnt(2)
	v_cvt_f32_f16_e32 v8, v10
	v_cvt_f32_f16_sdwa v9, v10 dst_sel:DWORD dst_unused:UNUSED_PAD src0_sel:WORD_1
	global_store_dwordx2 v12, v[2:3], s[2:3] offset:512
	v_lshlrev_b32_e32 v2, 7, v13
	v_add_lshl_u32 v14, v72, v2, 3
	s_waitcnt lgkmcnt(1)
	v_pk_fma_f32 v[2:3], v[4:5], v[8:9], 0 op_sel_hi:[0,1,0]
	s_waitcnt lgkmcnt(0)
	v_cvt_f32_f16_e32 v8, v6
	v_cvt_f32_f16_sdwa v9, v6 dst_sel:DWORD dst_unused:UNUSED_PAD src0_sel:WORD_1
	v_cvt_f32_f16_e32 v10, v11
	v_cvt_f32_f16_sdwa v11, v11 dst_sel:DWORD dst_unused:UNUSED_PAD src0_sel:WORD_1
	v_cvt_f32_f16_e32 v12, v7
	v_cvt_f32_f16_sdwa v13, v7 dst_sel:DWORD dst_unused:UNUSED_PAD src0_sel:WORD_1
	v_mov_b32_e32 v6, v5
	v_pk_fma_f32 v[2:3], v[6:7], v[8:9], v[2:3] op_sel_hi:[0,1,1]
	global_store_dwordx2 v14, v[2:3], s[2:3]
	v_pk_fma_f32 v[2:3], v[4:5], v[10:11], 0 op_sel_hi:[0,1,0]
	v_pk_fma_f32 v[2:3], v[6:7], v[12:13], v[2:3] op_sel_hi:[0,1,1]
	v_add_u32_e32 v6, 20, v0
	v_lshlrev_b32_e32 v4, 1, v6
	v_and_b32_e32 v5, 15, v6
	v_and_or_b32 v4, v4, s5, v5
	v_mad_u32_u24 v7, v4, s4, 0
	v_add_u32_e32 v8, v7, v1
	ds_read2st64_b32 v[4:5], v8 offset1:1
	global_store_dwordx2 v14, v[2:3], s[2:3] offset:512
	ds_read2st64_b32 v[2:3], v8 offset0:33 offset1:34
	v_lshlrev_b32_e32 v12, 7, v6
	ds_read2st64_b32 v[6:7], v7 offset0:2 offset1:35
	s_waitcnt lgkmcnt(2)
	v_cvt_f32_f16_e32 v8, v4
	v_cvt_f32_f16_sdwa v9, v4 dst_sel:DWORD dst_unused:UNUSED_PAD src0_sel:WORD_1
	s_waitcnt lgkmcnt(1)
	v_cvt_f32_f16_e32 v10, v2
	v_cvt_f32_f16_sdwa v11, v2 dst_sel:DWORD dst_unused:UNUSED_PAD src0_sel:WORD_1
	s_waitcnt lgkmcnt(0)
	v_mov_b32_e32 v2, v7
	v_pk_fma_f32 v[8:9], v[6:7], v[8:9], 0 op_sel_hi:[0,1,0]
	v_add_lshl_u32 v12, v72, v12, 3
	v_pk_fma_f32 v[8:9], v[2:3], v[10:11], v[8:9] op_sel_hi:[0,1,1]
	v_add_u32_e32 v13, 22, v0
	global_store_dwordx2 v12, v[8:9], s[2:3]
	v_cvt_f32_f16_e32 v8, v3
	v_cvt_f32_f16_sdwa v9, v3 dst_sel:DWORD dst_unused:UNUSED_PAD src0_sel:WORD_1
	v_lshlrev_b32_e32 v3, 1, v13
	v_and_b32_e32 v7, 15, v13
	v_and_or_b32 v3, v3, s5, v7
	v_mad_u32_u24 v7, v3, s4, 0
	v_cvt_f32_f16_e32 v4, v5
	v_cvt_f32_f16_sdwa v5, v5 dst_sel:DWORD dst_unused:UNUSED_PAD src0_sel:WORD_1
	v_add_u32_e32 v14, v7, v1
	ds_read2st64_b32 v[10:11], v14 offset1:1
	v_pk_fma_f32 v[4:5], v[6:7], v[4:5], 0 op_sel_hi:[0,1,0]
	v_pk_fma_f32 v[2:3], v[2:3], v[8:9], v[4:5] op_sel_hi:[0,1,1]
	ds_read2st64_b32 v[4:5], v7 offset0:2 offset1:35
	ds_read2st64_b32 v[6:7], v14 offset0:33 offset1:34
	s_waitcnt lgkmcnt(2)
	v_cvt_f32_f16_e32 v8, v10
	v_cvt_f32_f16_sdwa v9, v10 dst_sel:DWORD dst_unused:UNUSED_PAD src0_sel:WORD_1
	global_store_dwordx2 v12, v[2:3], s[2:3] offset:512
	v_lshlrev_b32_e32 v2, 7, v13
	v_add_lshl_u32 v14, v72, v2, 3
	s_waitcnt lgkmcnt(1)
	v_pk_fma_f32 v[2:3], v[4:5], v[8:9], 0 op_sel_hi:[0,1,0]
	s_waitcnt lgkmcnt(0)
	v_cvt_f32_f16_e32 v8, v6
	v_cvt_f32_f16_sdwa v9, v6 dst_sel:DWORD dst_unused:UNUSED_PAD src0_sel:WORD_1
	v_cvt_f32_f16_e32 v10, v11
	v_cvt_f32_f16_sdwa v11, v11 dst_sel:DWORD dst_unused:UNUSED_PAD src0_sel:WORD_1
	v_cvt_f32_f16_e32 v12, v7
	v_cvt_f32_f16_sdwa v13, v7 dst_sel:DWORD dst_unused:UNUSED_PAD src0_sel:WORD_1
	v_mov_b32_e32 v6, v5
	v_pk_fma_f32 v[2:3], v[6:7], v[8:9], v[2:3] op_sel_hi:[0,1,1]
	global_store_dwordx2 v14, v[2:3], s[2:3]
	v_pk_fma_f32 v[2:3], v[4:5], v[10:11], 0 op_sel_hi:[0,1,0]
	v_pk_fma_f32 v[2:3], v[6:7], v[12:13], v[2:3] op_sel_hi:[0,1,1]
	v_add_u32_e32 v6, 24, v0
	v_lshlrev_b32_e32 v4, 1, v6
	v_and_b32_e32 v5, 15, v6
	;; [unrolled: 58-line block ×3, first 2 shown]
	v_and_or_b32 v4, v4, s5, v5
	v_mad_u32_u24 v7, v4, s4, 0
	v_add_u32_e32 v8, v7, v1
	ds_read2st64_b32 v[4:5], v8 offset1:1
	global_store_dwordx2 v14, v[2:3], s[2:3] offset:512
	ds_read2st64_b32 v[2:3], v8 offset0:33 offset1:34
	v_lshlrev_b32_e32 v12, 7, v6
	ds_read2st64_b32 v[6:7], v7 offset0:2 offset1:35
	s_waitcnt lgkmcnt(2)
	v_cvt_f32_f16_e32 v8, v4
	v_cvt_f32_f16_sdwa v9, v4 dst_sel:DWORD dst_unused:UNUSED_PAD src0_sel:WORD_1
	s_waitcnt lgkmcnt(1)
	v_cvt_f32_f16_e32 v10, v2
	v_cvt_f32_f16_sdwa v11, v2 dst_sel:DWORD dst_unused:UNUSED_PAD src0_sel:WORD_1
	s_waitcnt lgkmcnt(0)
	v_mov_b32_e32 v2, v7
	v_pk_fma_f32 v[8:9], v[6:7], v[8:9], 0 op_sel_hi:[0,1,0]
	v_add_lshl_u32 v12, v72, v12, 3
	v_pk_fma_f32 v[8:9], v[2:3], v[10:11], v[8:9] op_sel_hi:[0,1,1]
	v_add_u32_e32 v10, 30, v0
	global_store_dwordx2 v12, v[8:9], s[2:3]
	v_cvt_f32_f16_e32 v8, v3
	v_cvt_f32_f16_sdwa v9, v3 dst_sel:DWORD dst_unused:UNUSED_PAD src0_sel:WORD_1
	v_lshlrev_b32_e32 v0, 1, v10
	v_and_b32_e32 v3, 15, v10
	v_and_or_b32 v0, v0, s5, v3
	v_mad_u32_u24 v7, v0, s4, 0
	v_cvt_f32_f16_e32 v4, v5
	v_cvt_f32_f16_sdwa v5, v5 dst_sel:DWORD dst_unused:UNUSED_PAD src0_sel:WORD_1
	v_add_u32_e32 v11, v7, v1
	ds_read2st64_b32 v[0:1], v11 offset1:1
	v_pk_fma_f32 v[4:5], v[6:7], v[4:5], 0 op_sel_hi:[0,1,0]
	v_pk_fma_f32 v[2:3], v[2:3], v[8:9], v[4:5] op_sel_hi:[0,1,1]
	ds_read2st64_b32 v[4:5], v7 offset0:2 offset1:35
	ds_read2st64_b32 v[6:7], v11 offset0:33 offset1:34
	s_waitcnt lgkmcnt(2)
	v_cvt_f32_f16_e32 v8, v0
	v_cvt_f32_f16_sdwa v9, v0 dst_sel:DWORD dst_unused:UNUSED_PAD src0_sel:WORD_1
	global_store_dwordx2 v12, v[2:3], s[2:3] offset:512
	v_lshlrev_b32_e32 v0, 7, v10
	v_cvt_f32_f16_e32 v10, v1
	s_waitcnt lgkmcnt(1)
	v_pk_fma_f32 v[2:3], v[4:5], v[8:9], 0 op_sel_hi:[0,1,0]
	s_waitcnt lgkmcnt(0)
	v_cvt_f32_f16_e32 v8, v6
	v_cvt_f32_f16_sdwa v9, v6 dst_sel:DWORD dst_unused:UNUSED_PAD src0_sel:WORD_1
	v_cvt_f32_f16_sdwa v11, v1 dst_sel:DWORD dst_unused:UNUSED_PAD src0_sel:WORD_1
	v_cvt_f32_f16_e32 v6, v7
	v_cvt_f32_f16_sdwa v7, v7 dst_sel:DWORD dst_unused:UNUSED_PAD src0_sel:WORD_1
	v_add_lshl_u32 v12, v72, v0, 3
	v_mov_b32_e32 v0, v5
	v_pk_fma_f32 v[2:3], v[0:1], v[8:9], v[2:3] op_sel_hi:[0,1,1]
	global_store_dwordx2 v12, v[2:3], s[2:3]
	v_pk_fma_f32 v[2:3], v[4:5], v[10:11], 0 op_sel_hi:[0,1,0]
	v_pk_fma_f32 v[0:1], v[0:1], v[6:7], v[2:3] op_sel_hi:[0,1,1]
	global_store_dwordx2 v12, v[0:1], s[2:3] offset:512
.LBB31_332:
	s_or_b64 exec, exec, s[0:1]
	s_barrier
	s_endpgm
	.section	.rodata,"a",@progbits
	.p2align	6, 0x0
	.amdhsa_kernel _ZL18flash_attn_ext_f16ILi256ELi256ELi4ELi8ELb0ELb0EEvPKcS1_S1_S1_S1_PKiPfP15HIP_vector_typeIfLj2EEffffjfiS5_IjLj3EEiiiiiiiiiiiliiliiiiil
		.amdhsa_group_segment_fixed_size 0
		.amdhsa_private_segment_fixed_size 0
		.amdhsa_kernarg_size 464
		.amdhsa_user_sgpr_count 2
		.amdhsa_user_sgpr_dispatch_ptr 0
		.amdhsa_user_sgpr_queue_ptr 0
		.amdhsa_user_sgpr_kernarg_segment_ptr 1
		.amdhsa_user_sgpr_dispatch_id 0
		.amdhsa_user_sgpr_kernarg_preload_length 0
		.amdhsa_user_sgpr_kernarg_preload_offset 0
		.amdhsa_user_sgpr_private_segment_size 0
		.amdhsa_uses_dynamic_stack 0
		.amdhsa_enable_private_segment 0
		.amdhsa_system_sgpr_workgroup_id_x 1
		.amdhsa_system_sgpr_workgroup_id_y 0
		.amdhsa_system_sgpr_workgroup_id_z 0
		.amdhsa_system_sgpr_workgroup_info 0
		.amdhsa_system_vgpr_workitem_id 1
		.amdhsa_next_free_vgpr 370
		.amdhsa_next_free_sgpr 95
		.amdhsa_accum_offset 256
		.amdhsa_reserve_vcc 1
		.amdhsa_float_round_mode_32 0
		.amdhsa_float_round_mode_16_64 0
		.amdhsa_float_denorm_mode_32 3
		.amdhsa_float_denorm_mode_16_64 3
		.amdhsa_dx10_clamp 1
		.amdhsa_ieee_mode 1
		.amdhsa_fp16_overflow 0
		.amdhsa_tg_split 0
		.amdhsa_exception_fp_ieee_invalid_op 0
		.amdhsa_exception_fp_denorm_src 0
		.amdhsa_exception_fp_ieee_div_zero 0
		.amdhsa_exception_fp_ieee_overflow 0
		.amdhsa_exception_fp_ieee_underflow 0
		.amdhsa_exception_fp_ieee_inexact 0
		.amdhsa_exception_int_div_zero 0
	.end_amdhsa_kernel
	.section	.text._ZL18flash_attn_ext_f16ILi256ELi256ELi4ELi8ELb0ELb0EEvPKcS1_S1_S1_S1_PKiPfP15HIP_vector_typeIfLj2EEffffjfiS5_IjLj3EEiiiiiiiiiiiliiliiiiil,"axG",@progbits,_ZL18flash_attn_ext_f16ILi256ELi256ELi4ELi8ELb0ELb0EEvPKcS1_S1_S1_S1_PKiPfP15HIP_vector_typeIfLj2EEffffjfiS5_IjLj3EEiiiiiiiiiiiliiliiiiil,comdat
.Lfunc_end31:
	.size	_ZL18flash_attn_ext_f16ILi256ELi256ELi4ELi8ELb0ELb0EEvPKcS1_S1_S1_S1_PKiPfP15HIP_vector_typeIfLj2EEffffjfiS5_IjLj3EEiiiiiiiiiiiliiliiiiil, .Lfunc_end31-_ZL18flash_attn_ext_f16ILi256ELi256ELi4ELi8ELb0ELb0EEvPKcS1_S1_S1_S1_PKiPfP15HIP_vector_typeIfLj2EEffffjfiS5_IjLj3EEiiiiiiiiiiiliiliiiiil
                                        ; -- End function
	.set _ZL18flash_attn_ext_f16ILi256ELi256ELi4ELi8ELb0ELb0EEvPKcS1_S1_S1_S1_PKiPfP15HIP_vector_typeIfLj2EEffffjfiS5_IjLj3EEiiiiiiiiiiiliiliiiiil.num_vgpr, 256
	.set _ZL18flash_attn_ext_f16ILi256ELi256ELi4ELi8ELb0ELb0EEvPKcS1_S1_S1_S1_PKiPfP15HIP_vector_typeIfLj2EEffffjfiS5_IjLj3EEiiiiiiiiiiiliiliiiiil.num_agpr, 114
	.set _ZL18flash_attn_ext_f16ILi256ELi256ELi4ELi8ELb0ELb0EEvPKcS1_S1_S1_S1_PKiPfP15HIP_vector_typeIfLj2EEffffjfiS5_IjLj3EEiiiiiiiiiiiliiliiiiil.numbered_sgpr, 95
	.set _ZL18flash_attn_ext_f16ILi256ELi256ELi4ELi8ELb0ELb0EEvPKcS1_S1_S1_S1_PKiPfP15HIP_vector_typeIfLj2EEffffjfiS5_IjLj3EEiiiiiiiiiiiliiliiiiil.num_named_barrier, 0
	.set _ZL18flash_attn_ext_f16ILi256ELi256ELi4ELi8ELb0ELb0EEvPKcS1_S1_S1_S1_PKiPfP15HIP_vector_typeIfLj2EEffffjfiS5_IjLj3EEiiiiiiiiiiiliiliiiiil.private_seg_size, 0
	.set _ZL18flash_attn_ext_f16ILi256ELi256ELi4ELi8ELb0ELb0EEvPKcS1_S1_S1_S1_PKiPfP15HIP_vector_typeIfLj2EEffffjfiS5_IjLj3EEiiiiiiiiiiiliiliiiiil.uses_vcc, 1
	.set _ZL18flash_attn_ext_f16ILi256ELi256ELi4ELi8ELb0ELb0EEvPKcS1_S1_S1_S1_PKiPfP15HIP_vector_typeIfLj2EEffffjfiS5_IjLj3EEiiiiiiiiiiiliiliiiiil.uses_flat_scratch, 0
	.set _ZL18flash_attn_ext_f16ILi256ELi256ELi4ELi8ELb0ELb0EEvPKcS1_S1_S1_S1_PKiPfP15HIP_vector_typeIfLj2EEffffjfiS5_IjLj3EEiiiiiiiiiiiliiliiiiil.has_dyn_sized_stack, 0
	.set _ZL18flash_attn_ext_f16ILi256ELi256ELi4ELi8ELb0ELb0EEvPKcS1_S1_S1_S1_PKiPfP15HIP_vector_typeIfLj2EEffffjfiS5_IjLj3EEiiiiiiiiiiiliiliiiiil.has_recursion, 0
	.set _ZL18flash_attn_ext_f16ILi256ELi256ELi4ELi8ELb0ELb0EEvPKcS1_S1_S1_S1_PKiPfP15HIP_vector_typeIfLj2EEffffjfiS5_IjLj3EEiiiiiiiiiiiliiliiiiil.has_indirect_call, 0
	.section	.AMDGPU.csdata,"",@progbits
; Kernel info:
; codeLenInByte = 79904
; TotalNumSgprs: 101
; NumVgprs: 256
; NumAgprs: 114
; TotalNumVgprs: 370
; ScratchSize: 0
; MemoryBound: 0
; FloatMode: 240
; IeeeMode: 1
; LDSByteSize: 0 bytes/workgroup (compile time only)
; SGPRBlocks: 12
; VGPRBlocks: 46
; NumSGPRsForWavesPerEU: 101
; NumVGPRsForWavesPerEU: 370
; AccumOffset: 256
; Occupancy: 1
; WaveLimiterHint : 1
; COMPUTE_PGM_RSRC2:SCRATCH_EN: 0
; COMPUTE_PGM_RSRC2:USER_SGPR: 2
; COMPUTE_PGM_RSRC2:TRAP_HANDLER: 0
; COMPUTE_PGM_RSRC2:TGID_X_EN: 1
; COMPUTE_PGM_RSRC2:TGID_Y_EN: 0
; COMPUTE_PGM_RSRC2:TGID_Z_EN: 0
; COMPUTE_PGM_RSRC2:TIDIG_COMP_CNT: 1
; COMPUTE_PGM_RSRC3_GFX90A:ACCUM_OFFSET: 63
; COMPUTE_PGM_RSRC3_GFX90A:TG_SPLIT: 0
	.section	.text._ZL18flash_attn_ext_f16ILi256ELi256ELi4ELi8ELb1ELb0EEvPKcS1_S1_S1_S1_PKiPfP15HIP_vector_typeIfLj2EEffffjfiS5_IjLj3EEiiiiiiiiiiiliiliiiiil,"axG",@progbits,_ZL18flash_attn_ext_f16ILi256ELi256ELi4ELi8ELb1ELb0EEvPKcS1_S1_S1_S1_PKiPfP15HIP_vector_typeIfLj2EEffffjfiS5_IjLj3EEiiiiiiiiiiiliiliiiiil,comdat
	.globl	_ZL18flash_attn_ext_f16ILi256ELi256ELi4ELi8ELb1ELb0EEvPKcS1_S1_S1_S1_PKiPfP15HIP_vector_typeIfLj2EEffffjfiS5_IjLj3EEiiiiiiiiiiiliiliiiiil ; -- Begin function _ZL18flash_attn_ext_f16ILi256ELi256ELi4ELi8ELb1ELb0EEvPKcS1_S1_S1_S1_PKiPfP15HIP_vector_typeIfLj2EEffffjfiS5_IjLj3EEiiiiiiiiiiiliiliiiiil
	.p2align	8
	.type	_ZL18flash_attn_ext_f16ILi256ELi256ELi4ELi8ELb1ELb0EEvPKcS1_S1_S1_S1_PKiPfP15HIP_vector_typeIfLj2EEffffjfiS5_IjLj3EEiiiiiiiiiiiliiliiiiil,@function
_ZL18flash_attn_ext_f16ILi256ELi256ELi4ELi8ELb1ELb0EEvPKcS1_S1_S1_S1_PKiPfP15HIP_vector_typeIfLj2EEffffjfiS5_IjLj3EEiiiiiiiiiiiliiliiiiil: ; @_ZL18flash_attn_ext_f16ILi256ELi256ELi4ELi8ELb1ELb0EEvPKcS1_S1_S1_S1_PKiPfP15HIP_vector_typeIfLj2EEffffjfiS5_IjLj3EEiiiiiiiiiiiliiliiiiil
; %bb.0:
	s_load_dwordx2 s[4:5], s[0:1], 0x80
	s_load_dwordx4 s[36:39], s[0:1], 0x64
	s_load_dword s33, s[0:1], 0xd0
	s_mov_b32 s6, 0
	s_waitcnt lgkmcnt(0)
	s_abs_i32 s3, s5
	v_cvt_f32_u32_e32 v1, s3
	s_sub_i32 s9, 0, s3
	s_abs_i32 s8, s37
	s_xor_b32 s7, s37, s5
	v_rcp_iflag_f32_e32 v1, v1
	s_ashr_i32 s7, s7, 31
	v_mul_f32_e32 v1, 0x4f7ffffe, v1
	v_cvt_u32_f32_e32 v1, v1
	s_nop 0
	v_readfirstlane_b32 s10, v1
	s_mul_i32 s9, s9, s10
	s_mul_hi_u32 s9, s10, s9
	s_add_i32 s10, s10, s9
	s_mul_hi_u32 s9, s8, s10
	s_mul_i32 s10, s9, s3
	s_sub_i32 s8, s8, s10
	s_add_i32 s11, s9, 1
	s_sub_i32 s10, s8, s3
	s_cmp_ge_u32 s8, s3
	s_cselect_b32 s9, s11, s9
	s_cselect_b32 s8, s10, s8
	s_add_i32 s10, s9, 1
	s_cmp_ge_u32 s8, s3
	s_cselect_b32 s3, s10, s9
	s_add_i32 s4, s4, 63
	s_xor_b32 s3, s3, s7
	s_ashr_i32 s8, s4, 31
	s_sub_i32 s76, s3, s7
	s_lshr_b32 s3, s8, 26
	s_add_i32 s4, s4, s3
	s_add_i32 s3, s36, 3
	s_lshr_b32 s78, s3, 2
	s_add_i32 s3, s76, 7
	s_ashr_i32 s82, s4, 6
	s_ashr_i32 s4, s3, 31
	s_lshr_b32 s4, s4, 29
	s_add_i32 s3, s3, s4
	s_ashr_i32 s3, s3, 3
	s_mul_i32 s79, s78, s82
	s_mul_i32 s80, s79, s3
	;; [unrolled: 1-line block ×4, first 2 shown]
	s_ashr_i32 s10, s3, 31
	s_mul_i32 s4, s10, s2
	s_mul_hi_u32 s5, s3, s2
	s_add_i32 s7, s5, s4
	s_cmp_lg_u64 s[6:7], 0
	s_mul_i32 s6, s3, s2
	s_cbranch_scc0 .LBB32_475
; %bb.1:
	s_add_u32 s4, s33, 0
	s_addc_u32 s5, 0, 0
	s_xor_b64 s[8:9], s[4:5], 0
	v_cvt_f32_u32_e32 v1, s8
	v_cvt_f32_u32_e32 v2, s9
	s_sub_u32 s11, 0, s8
	s_subb_u32 s14, 0, s9
	v_fmamk_f32 v1, v2, 0x4f800000, v1
	v_rcp_f32_e32 v1, v1
	s_nop 0
	v_mul_f32_e32 v1, 0x5f7ffffc, v1
	v_mul_f32_e32 v2, 0x2f800000, v1
	v_trunc_f32_e32 v2, v2
	v_fmamk_f32 v1, v2, 0xcf800000, v1
	v_cvt_u32_f32_e32 v2, v2
	v_cvt_u32_f32_e32 v1, v1
	v_readfirstlane_b32 s15, v2
	v_readfirstlane_b32 s12, v1
	s_mul_i32 s13, s11, s15
	s_mul_hi_u32 s17, s11, s12
	s_mul_i32 s16, s14, s12
	s_add_i32 s13, s17, s13
	s_add_i32 s13, s13, s16
	s_mul_i32 s18, s11, s12
	s_mul_i32 s17, s12, s13
	s_mul_hi_u32 s19, s12, s18
	s_mul_hi_u32 s16, s12, s13
	s_add_u32 s17, s19, s17
	s_addc_u32 s16, 0, s16
	s_mul_hi_u32 s20, s15, s18
	s_mul_i32 s18, s15, s18
	s_add_u32 s17, s17, s18
	s_mul_hi_u32 s19, s15, s13
	s_addc_u32 s16, s16, s20
	s_addc_u32 s17, s19, 0
	s_mul_i32 s13, s15, s13
	s_add_u32 s13, s16, s13
	s_addc_u32 s16, 0, s17
	s_add_u32 s17, s12, s13
	s_cselect_b64 s[12:13], -1, 0
	s_cmp_lg_u64 s[12:13], 0
	s_addc_u32 s15, s15, s16
	s_mul_i32 s12, s11, s15
	s_mul_hi_u32 s13, s11, s17
	s_add_i32 s12, s13, s12
	s_mul_i32 s14, s14, s17
	s_add_i32 s12, s12, s14
	s_mul_i32 s11, s11, s17
	s_mul_hi_u32 s14, s15, s11
	s_mul_i32 s16, s15, s11
	s_mul_i32 s19, s17, s12
	s_mul_hi_u32 s11, s17, s11
	s_mul_hi_u32 s18, s17, s12
	s_add_u32 s11, s11, s19
	s_addc_u32 s18, 0, s18
	s_add_u32 s11, s11, s16
	s_mul_hi_u32 s13, s15, s12
	s_addc_u32 s11, s18, s14
	s_addc_u32 s13, s13, 0
	s_mul_i32 s12, s15, s12
	s_add_u32 s11, s11, s12
	s_addc_u32 s14, 0, s13
	s_add_u32 s11, s17, s11
	s_cselect_b64 s[12:13], -1, 0
	s_cmp_lg_u64 s[12:13], 0
	s_addc_u32 s16, s15, s14
	s_ashr_i32 s12, s7, 31
	s_add_u32 s14, s6, s12
	s_mov_b32 s13, s12
	s_addc_u32 s15, s7, s12
	s_xor_b64 s[14:15], s[14:15], s[12:13]
	s_mul_i32 s17, s14, s16
	s_mul_hi_u32 s18, s14, s11
	s_mul_hi_u32 s7, s14, s16
	s_add_u32 s17, s18, s17
	s_addc_u32 s7, 0, s7
	s_mul_hi_u32 s19, s15, s11
	s_mul_i32 s11, s15, s11
	s_add_u32 s11, s17, s11
	s_mul_hi_u32 s18, s15, s16
	s_addc_u32 s7, s7, s19
	s_addc_u32 s11, s18, 0
	s_mul_i32 s16, s15, s16
	s_add_u32 s7, s7, s16
	s_addc_u32 s11, 0, s11
	s_mul_i32 s16, s8, s11
	s_mul_hi_u32 s17, s8, s7
	s_add_i32 s16, s17, s16
	s_mul_i32 s17, s9, s7
	s_add_i32 s20, s16, s17
	s_sub_i32 s18, s15, s20
	s_mul_i32 s16, s8, s7
	s_sub_u32 s14, s14, s16
	s_cselect_b64 s[16:17], -1, 0
	s_cmp_lg_u64 s[16:17], 0
	s_subb_u32 s21, s18, s9
	s_sub_u32 s22, s14, s8
	s_cselect_b64 s[18:19], -1, 0
	s_cmp_lg_u64 s[18:19], 0
	s_subb_u32 s18, s21, 0
	s_cmp_ge_u32 s18, s9
	s_cselect_b32 s19, -1, 0
	s_cmp_ge_u32 s22, s8
	s_cselect_b32 s21, -1, 0
	s_cmp_eq_u32 s18, s9
	s_cselect_b32 s18, s21, s19
	s_add_u32 s19, s7, 1
	s_addc_u32 s21, s11, 0
	s_add_u32 s22, s7, 2
	s_addc_u32 s23, s11, 0
	s_cmp_lg_u32 s18, 0
	s_cselect_b32 s18, s22, s19
	s_cselect_b32 s19, s23, s21
	s_cmp_lg_u64 s[16:17], 0
	s_subb_u32 s15, s15, s20
	s_cmp_ge_u32 s15, s9
	s_cselect_b32 s16, -1, 0
	s_cmp_ge_u32 s14, s8
	s_cselect_b32 s8, -1, 0
	s_cmp_eq_u32 s15, s9
	s_cselect_b32 s8, s8, s16
	s_cmp_lg_u32 s8, 0
	s_cselect_b32 s9, s19, s11
	s_cselect_b32 s8, s18, s7
	s_xor_b64 s[12:13], s[12:13], 0
	s_xor_b64 s[8:9], s[8:9], s[12:13]
	s_sub_u32 s56, s8, s12
	s_load_dwordx2 s[54:55], s[0:1], 0x74
	v_cvt_f32_u32_e32 v1, s33
	s_cbranch_execnz .LBB32_3
.LBB32_2:
	v_rcp_iflag_f32_e32 v2, v1
	s_sub_i32 s4, 0, s33
	v_mul_f32_e32 v2, 0x4f7ffffe, v2
	v_cvt_u32_f32_e32 v2, v2
	s_nop 0
	v_readfirstlane_b32 s5, v2
	s_mul_i32 s4, s4, s5
	s_mul_hi_u32 s4, s5, s4
	s_add_i32 s5, s5, s4
	s_mul_hi_u32 s4, s6, s5
	s_mul_i32 s7, s4, s33
	s_sub_i32 s6, s6, s7
	s_add_i32 s5, s4, 1
	s_sub_i32 s7, s6, s33
	s_cmp_ge_u32 s6, s33
	s_cselect_b32 s4, s5, s4
	s_cselect_b32 s6, s7, s6
	s_add_i32 s5, s4, 1
	s_cmp_ge_u32 s6, s33
	s_cselect_b32 s56, s5, s4
.LBB32_3:
	s_add_i32 s4, s2, 1
	s_mul_i32 s5, s10, s4
	s_mul_hi_u32 s6, s3, s4
	s_add_i32 s9, s6, s5
	s_mov_b32 s8, 0
	s_cmp_lg_u64 s[8:9], 0
	s_mul_i32 s3, s3, s4
	s_cbranch_scc0 .LBB32_476
; %bb.4:
	s_add_u32 s4, s33, 0
	s_addc_u32 s5, 0, 0
	s_xor_b64 s[6:7], s[4:5], 0
	v_cvt_f32_u32_e32 v2, s6
	v_cvt_f32_u32_e32 v3, s7
	s_sub_u32 s8, 0, s6
	s_subb_u32 s12, 0, s7
	v_fmamk_f32 v2, v3, 0x4f800000, v2
	v_rcp_f32_e32 v2, v2
	s_nop 0
	v_mul_f32_e32 v2, 0x5f7ffffc, v2
	v_mul_f32_e32 v3, 0x2f800000, v2
	v_trunc_f32_e32 v3, v3
	v_fmamk_f32 v2, v3, 0xcf800000, v2
	v_cvt_u32_f32_e32 v3, v3
	v_cvt_u32_f32_e32 v2, v2
	v_readfirstlane_b32 s13, v3
	v_readfirstlane_b32 s10, v2
	s_mul_i32 s11, s8, s13
	s_mul_hi_u32 s15, s8, s10
	s_mul_i32 s14, s12, s10
	s_add_i32 s11, s15, s11
	s_add_i32 s11, s11, s14
	s_mul_i32 s16, s8, s10
	s_mul_i32 s15, s10, s11
	s_mul_hi_u32 s17, s10, s16
	s_mul_hi_u32 s14, s10, s11
	s_add_u32 s15, s17, s15
	s_addc_u32 s14, 0, s14
	s_mul_hi_u32 s18, s13, s16
	s_mul_i32 s16, s13, s16
	s_add_u32 s15, s15, s16
	s_mul_hi_u32 s17, s13, s11
	s_addc_u32 s14, s14, s18
	s_addc_u32 s15, s17, 0
	s_mul_i32 s11, s13, s11
	s_add_u32 s11, s14, s11
	s_addc_u32 s14, 0, s15
	s_add_u32 s15, s10, s11
	s_cselect_b64 s[10:11], -1, 0
	s_cmp_lg_u64 s[10:11], 0
	s_addc_u32 s13, s13, s14
	s_mul_i32 s10, s8, s13
	s_mul_hi_u32 s11, s8, s15
	s_add_i32 s10, s11, s10
	s_mul_i32 s12, s12, s15
	s_add_i32 s10, s10, s12
	s_mul_i32 s8, s8, s15
	s_mul_hi_u32 s12, s13, s8
	s_mul_i32 s14, s13, s8
	s_mul_i32 s17, s15, s10
	s_mul_hi_u32 s8, s15, s8
	s_mul_hi_u32 s16, s15, s10
	s_add_u32 s8, s8, s17
	s_addc_u32 s16, 0, s16
	s_add_u32 s8, s8, s14
	s_mul_hi_u32 s11, s13, s10
	s_addc_u32 s8, s16, s12
	s_addc_u32 s11, s11, 0
	s_mul_i32 s10, s13, s10
	s_add_u32 s8, s8, s10
	s_addc_u32 s12, 0, s11
	s_add_u32 s14, s15, s8
	s_cselect_b64 s[10:11], -1, 0
	s_cmp_lg_u64 s[10:11], 0
	s_addc_u32 s12, s13, s12
	s_ashr_i32 s10, s9, 31
	s_add_u32 s8, s3, s10
	s_mov_b32 s11, s10
	s_addc_u32 s9, s9, s10
	s_xor_b64 s[8:9], s[8:9], s[10:11]
	s_mul_i32 s15, s8, s12
	s_mul_hi_u32 s16, s8, s14
	s_mul_hi_u32 s13, s8, s12
	s_add_u32 s15, s16, s15
	s_addc_u32 s13, 0, s13
	s_mul_hi_u32 s17, s9, s14
	s_mul_i32 s14, s9, s14
	s_add_u32 s14, s15, s14
	s_mul_hi_u32 s16, s9, s12
	s_addc_u32 s13, s13, s17
	s_addc_u32 s14, s16, 0
	s_mul_i32 s12, s9, s12
	s_add_u32 s16, s13, s12
	s_addc_u32 s17, 0, s14
	s_mul_i32 s12, s6, s17
	s_mul_hi_u32 s13, s6, s16
	s_add_i32 s12, s13, s12
	s_mul_i32 s13, s7, s16
	s_add_i32 s18, s12, s13
	s_sub_i32 s14, s9, s18
	s_mul_i32 s12, s6, s16
	s_sub_u32 s8, s8, s12
	s_cselect_b64 s[12:13], -1, 0
	s_cmp_lg_u64 s[12:13], 0
	s_subb_u32 s19, s14, s7
	s_sub_u32 s20, s8, s6
	s_cselect_b64 s[14:15], -1, 0
	s_cmp_lg_u64 s[14:15], 0
	s_subb_u32 s14, s19, 0
	s_cmp_ge_u32 s14, s7
	s_cselect_b32 s15, -1, 0
	s_cmp_ge_u32 s20, s6
	s_cselect_b32 s19, -1, 0
	s_cmp_eq_u32 s14, s7
	s_cselect_b32 s14, s19, s15
	s_add_u32 s15, s16, 1
	s_addc_u32 s19, s17, 0
	s_add_u32 s20, s16, 2
	s_addc_u32 s21, s17, 0
	s_cmp_lg_u32 s14, 0
	s_cselect_b32 s14, s20, s15
	s_cselect_b32 s15, s21, s19
	s_cmp_lg_u64 s[12:13], 0
	s_subb_u32 s9, s9, s18
	s_cmp_ge_u32 s9, s7
	s_cselect_b32 s12, -1, 0
	s_cmp_ge_u32 s8, s6
	s_cselect_b32 s6, -1, 0
	s_cmp_eq_u32 s9, s7
	s_cselect_b32 s6, s6, s12
	s_cmp_lg_u32 s6, 0
	s_cselect_b32 s7, s15, s17
	s_cselect_b32 s6, s14, s16
	s_xor_b64 s[8:9], s[10:11], 0
	s_xor_b64 s[6:7], s[6:7], s[8:9]
	s_sub_u32 s6, s6, s8
	s_subb_u32 s7, s7, s9
	s_load_dwordx2 s[44:45], s[0:1], 0x5c
	v_mov_b64_e32 v[42:43], s[6:7]
	s_cbranch_execnz .LBB32_6
.LBB32_5:
	v_rcp_iflag_f32_e32 v1, v1
	s_sub_i32 s4, 0, s33
	v_mul_f32_e32 v1, 0x4f7ffffe, v1
	v_cvt_u32_f32_e32 v1, v1
	v_mul_lo_u32 v2, s4, v1
	v_mul_hi_u32 v2, v1, v2
	v_add_u32_e32 v1, v1, v2
	v_mul_hi_u32 v1, s3, v1
	v_mul_lo_u32 v3, v1, s33
	v_sub_u32_e32 v3, s3, v3
	v_add_u32_e32 v2, 1, v1
	v_subrev_u32_e32 v4, s33, v3
	v_cmp_le_u32_e32 vcc, s33, v3
	s_nop 1
	v_cndmask_b32_e32 v3, v3, v4, vcc
	v_cndmask_b32_e32 v1, v1, v2, vcc
	v_add_u32_e32 v2, 1, v1
	v_cmp_le_u32_e32 vcc, s33, v3
	s_nop 1
	v_cndmask_b32_e32 v42, v1, v2, vcc
.LBB32_6:
	s_abs_i32 s83, s82
	v_cvt_f32_u32_e32 v1, s83
	s_load_dwordx16 s[16:31], s[0:1], 0x0
	s_load_dword s4, s[0:1], 0x40
	s_load_dword s3, s[0:1], 0x54
	s_load_dwordx2 s[52:53], s[0:1], 0x8c
	s_load_dwordx4 s[40:43], s[0:1], 0x98
	s_load_dwordx2 s[48:49], s[0:1], 0xa8
	s_load_dwordx2 s[58:59], s[0:1], 0xb8
	;; [unrolled: 1-line block ×3, first 2 shown]
	s_waitcnt lgkmcnt(0)
	s_ashr_i32 s38, s52, 2
	s_sub_i32 s6, 0, s83
	v_rcp_iflag_f32_e32 v1, v1
	s_abs_i32 s1, s56
	s_ashr_i32 s57, s39, 3
	s_ashr_i32 s77, s54, 3
	v_mul_f32_e32 v1, 0x4f7ffffe, v1
	v_cvt_u32_f32_e32 v1, v1
	s_ashr_i32 s46, s59, 1
	s_ashr_i32 s34, s42, 2
	;; [unrolled: 1-line block ×3, first 2 shown]
	v_readfirstlane_b32 s52, v1
	s_mul_i32 s6, s6, s52
	s_mul_hi_u32 s6, s52, s6
	s_add_i32 s52, s52, s6
	s_mul_hi_u32 s6, s1, s52
	s_mul_i32 s6, s6, s83
	s_sub_i32 s1, s1, s6
	s_ashr_i32 s42, s82, 31
	s_sub_i32 s6, s1, s83
	s_cmp_ge_u32 s1, s83
	s_cselect_b32 s1, s6, s1
	s_sub_i32 s6, s1, s83
	s_cmp_ge_u32 s1, s83
	s_cselect_b32 s1, s6, s1
	s_xor_b32 s1, s1, s0
	s_sub_i32 s72, s1, s0
	v_subrev_u32_e32 v1, s56, v42
	v_add_u32_e32 v1, s72, v1
	v_cvt_f16_f32_e32 v88, s4
	v_cmp_ge_i32_e32 vcc, s56, v42
	v_cmp_gt_i32_e64 s[0:1], s82, v1
	s_or_b64 s[0:1], s[0:1], vcc
	v_bfe_u32 v87, v0, 10, 10
	s_mov_b32 s5, 0
	v_min_i32_e32 v184, s82, v1
	v_cmp_lt_i32_e64 s[10:11], s56, v42
	s_and_b64 vcc, exec, s[0:1]
	v_bfe_u32 v45, v0, 10, 3
	v_lshlrev_b32_e32 v217, 3, v87
	v_lshlrev_b32_e32 v216, 4, v87
	v_lshrrev_b32_e32 v103, 10, v0
	v_add_u32_e32 v86, 4, v87
	v_add_u32_e32 v51, 8, v87
	;; [unrolled: 1-line block ×7, first 2 shown]
	s_cbranch_vccz .LBB32_9
; %bb.7:
	s_andn2_b64 vcc, exec, s[10:11]
	s_cbranch_vccz .LBB32_404
.LBB32_8:
	s_endpgm
.LBB32_9:
	v_and_b32_e32 v2, 0x7f0, v217
	s_movk_i32 s14, 0x210
	v_and_b32_e32 v4, 15, v0
	v_lshrrev_b32_e32 v6, 1, v0
	v_and_b32_e32 v44, 0x3ff, v0
	v_mad_u32_u24 v3, v2, s14, 0
	v_mul_u32_u24_e32 v5, 0x210, v4
	v_and_b32_e32 v6, 0x78, v6
	v_lshlrev_b32_e32 v1, 2, v44
	v_add3_u32 v105, v3, v5, v6
	v_bfe_u32 v3, v0, 5, 5
	v_lshl_add_u32 v107, v87, 1, v3
	s_movk_i32 s0, 0x90
	v_and_b32_e32 v46, 0x7c, v1
	v_mad_u32_u24 v3, v107, s0, 0
	v_mul_u32_u24_e32 v7, 0x180, v107
	v_lshlrev_b32_e32 v8, 2, v46
	v_add3_u32 v109, v3, v7, v8
	v_and_b32_e32 v7, 16, v216
	v_mul_u32_u24_e32 v8, 0x210, v7
	v_add_u32_e32 v111, 0, v6
	v_add3_u32 v115, v111, v5, v8
	v_bfe_u32 v5, v0, 2, 8
	v_and_b32_e32 v6, 60, v5
	v_and_or_b32 v2, v0, 8, v2
	v_add_u32_e32 v8, v6, v7
	v_lshrrev_b32_e32 v2, 3, v2
	v_add_u16_e32 v7, v6, v7
	v_mad_u32_u24 v2, v2, s0, 0
	v_lshrrev_b16_e32 v7, 1, v7
	v_lshl_add_u32 v204, v7, 2, v2
	v_and_b32_e32 v7, 8, v217
	v_or_b32_e32 v5, 3, v5
	s_movk_i32 s0, 0x420
	v_lshl_add_u32 v2, v8, 1, v2
	v_mul_u32_u24_e32 v5, 0x210, v5
	v_mad_u32_u24 v7, v7, s0, 0
	v_lshlrev_b32_e32 v8, 1, v4
	v_add3_u32 v206, v7, v5, v8
	v_bfe_u32 v5, v0, 10, 1
	v_cmp_eq_u32_e64 s[0:1], 0, v5
	v_and_b32_e32 v5, 0x400, v0
	v_mul_u32_u24_e32 v6, 0x210, v6
	v_cmp_ne_u32_e64 s[12:13], 0, v5
	v_bfe_u32 v5, v103, 1, 9
	v_add3_u32 v205, v7, v6, v8
	v_add_u32_e32 v6, 2, v5
	v_lshlrev_b32_e32 v7, 1, v6
	v_and_b32_e32 v8, 15, v6
	s_movk_i32 s15, 0x1e0
	v_and_or_b32 v7, v7, s15, v8
	v_add_u32_e32 v8, 4, v5
	v_lshlrev_b32_e32 v9, 1, v8
	v_and_b32_e32 v10, 15, v8
	v_and_or_b32 v9, v9, s15, v10
	v_add_u32_e32 v10, 6, v5
	v_lshlrev_b32_e32 v11, 1, v10
	v_and_b32_e32 v12, 15, v10
	;; [unrolled: 4-line block ×3, first 2 shown]
	v_and_or_b32 v13, v13, s15, v14
	v_add_u32_e32 v14, 10, v5
	s_cmp_eq_u64 s[24:25], 0
	v_lshlrev_b32_e32 v15, 1, v14
	v_and_b32_e32 v16, 15, v14
	s_cselect_b64 s[60:61], -1, 0
	s_cmp_lg_u64 s[26:27], 0
	v_and_or_b32 v15, v15, s15, v16
	v_add_u32_e32 v16, 12, v5
	s_cselect_b64 s[62:63], -1, 0
	s_lshl_b32 s4, s2, 5
	v_lshlrev_b32_e32 v17, 1, v16
	v_and_b32_e32 v18, 15, v16
	s_ashr_i32 s47, s46, 31
	s_ashr_i32 s39, s38, 31
	s_lshl_b32 s6, s38, 3
	s_ashr_i32 s35, s34, 31
	s_lshl_b32 s7, s34, 3
	s_lshl_b64 s[4:5], s[4:5], 3
	v_and_or_b32 v17, v17, s15, v18
	v_add_u32_e32 v18, 14, v5
	s_add_u32 s10, s30, s4
	v_lshlrev_b32_e32 v19, 1, v18
	v_and_b32_e32 v20, 15, v18
	s_addc_u32 s11, s31, s5
	v_and_or_b32 v19, v19, s15, v20
	v_add_u32_e32 v20, 18, v5
	s_abs_i32 s59, s81
	v_lshlrev_b32_e32 v21, 1, v20
	v_and_b32_e32 v22, 15, v20
	v_cvt_f32_u32_e32 v31, s59
	v_and_or_b32 v21, v21, s15, v22
	v_add_u32_e32 v22, 20, v5
	v_lshlrev_b32_e32 v23, 1, v22
	v_and_b32_e32 v24, 15, v22
	v_and_or_b32 v23, v23, s15, v24
	v_add_u32_e32 v24, 22, v5
	v_lshlrev_b32_e32 v25, 1, v24
	v_and_b32_e32 v26, 15, v24
	v_rcp_iflag_f32_e32 v31, v31
	v_and_or_b32 v25, v25, s15, v26
	v_add_u32_e32 v26, 24, v5
	v_lshlrev_b32_e32 v27, 1, v26
	v_and_b32_e32 v28, 15, v26
	v_and_or_b32 v27, v27, s15, v28
	v_add_u32_e32 v28, 26, v5
	v_lshlrev_b32_e32 v29, 1, v28
	v_and_b32_e32 v30, 15, v28
	v_mul_f32_e32 v31, 0x4f7ffffe, v31
	s_abs_i32 s84, s80
	v_and_or_b32 v29, v29, s15, v30
	v_add_u32_e32 v30, 28, v5
	v_cvt_f32_u32_e32 v36, s84
	v_cvt_u32_f32_e32 v31, v31
	v_lshlrev_b32_e32 v32, 1, v30
	v_and_b32_e32 v33, 15, v30
	v_and_or_b32 v32, v32, s15, v33
	v_add_u32_e32 v33, 30, v5
	v_lshlrev_b32_e32 v34, 1, v33
	v_and_b32_e32 v35, 15, v33
	s_sub_i32 s4, 0, s59
	v_and_or_b32 v34, v34, s15, v35
	v_rcp_iflag_f32_e32 v35, v36
	v_mul_lo_u32 v36, s4, v31
	v_mul_hi_u32 v36, v31, v36
	s_abs_i32 s86, s58
	v_add_u32_e32 v207, v31, v36
	v_cvt_f32_u32_e32 v36, s86
	v_mul_f32_e32 v31, 0x4f7ffffe, v35
	v_cvt_u32_f32_e32 v31, v31
	s_sub_i32 s4, 0, s84
	v_rcp_iflag_f32_e32 v36, v36
	v_add_u32_e32 v211, 64, v2
	v_mul_lo_u32 v37, s4, v31
	v_mul_hi_u32 v37, v31, v37
	v_mul_f32_e32 v36, 0x4f7ffffe, v36
	v_cvt_u32_f32_e32 v36, v36
	s_sub_i32 s4, 0, s86
	v_add_u32_e32 v208, v31, v37
	v_add_u32_e32 v212, 0x44, v2
	v_mul_lo_u32 v31, s4, v36
	v_mul_hi_u32 v31, v36, v31
	v_add_u32_e32 v209, v36, v31
	v_or_b32_e32 v31, v217, v44
	v_lshlrev_b32_e32 v48, 3, v31
	v_lshlrev_b32_e32 v31, 1, v44
	v_add_u32_e32 v2, v216, v44
	v_and_b32_e32 v50, 62, v31
	v_mul_u32_u24_e32 v213, 0x210, v2
	v_and_b32_e32 v2, 31, v0
	v_lshl_add_u32 v210, v50, 1, v3
	v_add_u32_e32 v3, v216, v2
	v_mul_u32_u24_e32 v214, 0x210, v3
	v_or_b32_e32 v3, v216, v4
	v_mul_u32_u24_e32 v215, 0x210, v3
	v_add_u32_e32 v3, 16, v5
	v_lshlrev_b32_e32 v84, 4, v2
	v_and_b32_e32 v2, 7, v8
	v_bfe_u32 v4, v87, 1, 4
	v_lshlrev_b32_e32 v5, 1, v3
	v_accvgpr_write_b32 a58, v2
	v_and_b32_e32 v2, 7, v10
	s_movk_i32 s65, 0xe0
	v_and_or_b32 v5, v5, s15, v4
	v_lshrrev_b32_e32 v3, 3, v3
	v_accvgpr_write_b32 a60, v2
	v_and_b32_e32 v2, 7, v14
	v_and_or_b32 v4, v103, s65, v4
	v_accvgpr_write_b32 a26, v3
	v_mad_u32_u24 v3, v5, s14, 0
	v_accvgpr_write_b32 a62, v2
	v_and_b32_e32 v2, 7, v16
	v_accvgpr_write_b32 a8, v216
	v_mad_u32_u24 v216, v4, s14, 0
	v_mad_u32_u24 v4, v7, s14, 0
	;; [unrolled: 1-line block ×4, first 2 shown]
	v_lshrrev_b32_e32 v11, 3, v12
	v_mad_u32_u24 v5, v21, s14, 0
	v_accvgpr_write_b32 a27, v3
	v_add_u32_e32 v3, v3, v1
	v_accvgpr_write_b32 a64, v2
	v_and_b32_e32 v2, 7, v18
	v_accvgpr_write_b32 a21, v11
	v_mad_u32_u24 v11, v13, s14, 0
	v_mad_u32_u24 v13, v17, s14, 0
	;; [unrolled: 1-line block ×3, first 2 shown]
	v_accvgpr_write_b32 a42, v3
	v_add_u32_e32 v3, v5, v1
	v_accvgpr_write_b32 a66, v2
	v_and_b32_e32 v2, 7, v20
	v_mad_u32_u24 v12, v15, s14, 0
	v_mad_u32_u24 v15, v19, s14, 0
	;; [unrolled: 1-line block ×3, first 2 shown]
	v_lshrrev_b32_e32 v21, 3, v26
	v_accvgpr_write_b32 a43, v3
	v_add_u32_e32 v3, v17, v1
	v_accvgpr_write_b32 a68, v2
	v_and_b32_e32 v2, 7, v22
	v_accvgpr_write_b32 a31, v21
	v_mad_u32_u24 v21, v27, s14, 0
	v_accvgpr_write_b32 a44, v3
	v_add_u32_e32 v3, v19, v1
	v_accvgpr_write_b32 a70, v2
	v_and_b32_e32 v2, 7, v24
	v_mad_u32_u24 v23, v29, s14, 0
	v_accvgpr_write_b32 a45, v3
	v_add_u32_e32 v3, v21, v1
	v_accvgpr_write_b32 a72, v2
	v_and_b32_e32 v2, 7, v28
	;; [unrolled: 5-line block ×3, first 2 shown]
	v_mov_b32_e32 v49, 0
	v_accvgpr_write_b32 a47, v3
	v_add_u32_e32 v3, v25, v1
	v_accvgpr_write_b32 a76, v2
	v_and_b32_e32 v2, 7, v33
	v_accvgpr_write_b32 a48, v3
	v_accvgpr_write_b32 a78, v2
	v_lshl_add_u64 v[2:3], s[10:11], 0, v[48:49]
	v_mov_b32_e32 v47, v49
	v_accvgpr_write_b32 a81, v3
	v_mul_lo_u32 v68, s34, v107
	v_accvgpr_write_b32 a80, v2
	v_lshl_add_u64 v[2:3], s[22:23], 0, v[46:47]
	v_ashrrev_i32_e32 v69, 31, v68
	v_accvgpr_write_b32 a83, v3
	v_add_u32_e32 v70, s7, v68
	v_accvgpr_write_b32 a82, v2
	v_lshl_add_u64 v[2:3], v[68:69], 2, s[20:21]
	v_ashrrev_i32_e32 v71, 31, v70
	v_accvgpr_write_b32 a85, v3
	v_add_u32_e32 v72, s7, v70
	;; [unrolled: 5-line block ×4, first 2 shown]
	v_accvgpr_write_b32 a18, v4
	v_add_u32_e32 v237, v4, v1
	v_add_u32_e32 v4, v7, v1
	v_accvgpr_write_b32 a88, v2
	v_lshl_add_u64 v[2:3], v[74:75], 2, s[20:21]
	v_ashrrev_i32_e32 v77, 31, v76
	v_accvgpr_write_b32 a36, v4
	v_add_u32_e32 v4, v9, v1
	v_accvgpr_write_b32 a91, v3
	v_add_u32_e32 v78, s7, v76
	;; [unrolled: 2-line block ×3, first 2 shown]
	v_accvgpr_write_b32 a90, v2
	v_lshl_add_u64 v[2:3], v[76:77], 2, s[20:21]
	v_ashrrev_i32_e32 v79, 31, v78
	v_accvgpr_write_b32 a38, v4
	v_add_u32_e32 v4, v12, v1
	v_accvgpr_write_b32 a93, v3
	v_add_u32_e32 v80, s7, v78
	v_mad_u32_u24 v26, v34, s14, 0
	v_accvgpr_write_b32 a39, v4
	v_add_u32_e32 v4, v13, v1
	v_accvgpr_write_b32 a92, v2
	v_lshl_add_u64 v[2:3], v[78:79], 2, s[20:21]
	v_ashrrev_i32_e32 v81, 31, v80
	v_add_u32_e32 v235, 0, v1
	v_add_u32_e32 v236, v216, v1
	v_accvgpr_write_b32 a40, v4
	v_add_u32_e32 v4, v15, v1
	v_add_u32_e32 v1, v26, v1
	v_accvgpr_write_b32 a95, v3
	v_add_u32_e32 v82, s7, v80
	v_accvgpr_write_b32 a49, v1
                                        ; implicit-def: $vgpr1
                                        ; implicit-def: $vgpr1
	;; [unrolled: 1-line block ×3, first 2 shown]
	v_accvgpr_write_b32 a94, v2
	v_lshl_add_u64 v[2:3], v[80:81], 2, s[20:21]
	v_ashrrev_i32_e32 v83, 31, v82
	v_mbcnt_lo_u32_b32 v1, -1, 0
	v_mad_u32_u24 v106, v87, s14, v235
	v_accvgpr_write_b32 a97, v3
	s_abs_i32 s85, s79
	v_mul_lo_u32 v52, s38, v107
	v_mbcnt_hi_u32_b32 v252, -1, v1
	v_add_u32_e32 v1, 0x840, v106
	v_accvgpr_write_b32 a96, v2
	v_lshl_add_u64 v[2:3], v[82:83], 2, s[20:21]
	v_cvt_f32_u32_e32 v35, s85
	v_ashrrev_i32_e32 v53, 31, v52
	v_accvgpr_write_b32 a50, v1
	v_add_u32_e32 v1, 0x1080, v106
	v_accvgpr_write_b32 a99, v3
	v_add_u32_e32 v54, s6, v52
	;; [unrolled: 2-line block ×3, first 2 shown]
	v_accvgpr_write_b32 a98, v2
	v_lshl_add_u64 v[2:3], v[52:53], 2, s[18:19]
	v_ashrrev_i32_e32 v55, 31, v54
	v_accvgpr_write_b32 a52, v1
	v_add_u32_e32 v1, 0x2100, v106
	v_accvgpr_write_b32 a101, v3
	v_add_u32_e32 v56, s6, v54
	;; [unrolled: 2-line block ×3, first 2 shown]
	v_accvgpr_write_b32 a100, v2
	v_lshl_add_u64 v[2:3], v[54:55], 2, s[18:19]
	v_rcp_iflag_f32_e32 v35, v35
	v_ashrrev_i32_e32 v57, 31, v56
	v_accvgpr_write_b32 a54, v1
	v_add_u32_e32 v1, 0x3180, v106
	v_accvgpr_write_b32 a103, v3
	v_add_u32_e32 v58, s6, v56
	v_accvgpr_write_b32 a55, v1
	v_add_u32_e32 v1, 0x39c0, v106
	v_accvgpr_write_b32 a102, v2
	v_lshl_add_u64 v[2:3], v[56:57], 2, s[18:19]
	v_ashrrev_i32_e32 v59, 31, v58
	v_accvgpr_write_b32 a56, v1
	v_lshrrev_b32_e32 v1, 3, v8
	v_accvgpr_write_b32 a105, v3
	v_add_u32_e32 v60, s6, v58
	v_accvgpr_write_b32 a57, v1
	v_lshrrev_b32_e32 v1, 3, v10
	v_accvgpr_write_b32 a104, v2
	v_lshl_add_u64 v[2:3], v[58:59], 2, s[18:19]
	v_mul_f32_e32 v35, 0x4f7ffffe, v35
	v_ashrrev_i32_e32 v61, 31, v60
	v_accvgpr_write_b32 a59, v1
	v_lshrrev_b32_e32 v1, 3, v14
	v_accvgpr_write_b32 a107, v3
	v_cvt_u32_f32_e32 v35, v35
	v_add_u32_e32 v62, s6, v60
	v_accvgpr_write_b32 a61, v1
	v_lshrrev_b32_e32 v1, 3, v16
	v_accvgpr_write_b32 a106, v2
	v_lshl_add_u64 v[2:3], v[60:61], 2, s[18:19]
	v_ashrrev_i32_e32 v63, 31, v62
	v_accvgpr_write_b32 a63, v1
	v_lshrrev_b32_e32 v1, 3, v18
	v_accvgpr_write_b32 a109, v3
	v_add_u32_e32 v64, s6, v62
	v_accvgpr_write_b32 a65, v1
	v_lshrrev_b32_e32 v1, 3, v20
	v_accvgpr_write_b32 a108, v2
	v_lshl_add_u64 v[2:3], v[62:63], 2, s[18:19]
	v_ashrrev_i32_e32 v65, 31, v64
	v_accvgpr_write_b32 a67, v1
	v_lshrrev_b32_e32 v1, 3, v22
	v_accvgpr_write_b32 a111, v3
	v_readfirstlane_b32 s64, v35
	v_add_u32_e32 v66, s6, v64
	s_sub_i32 s15, 0, s85
	v_accvgpr_write_b32 a69, v1
	v_lshrrev_b32_e32 v1, 3, v24
	v_accvgpr_write_b32 a110, v2
	v_lshl_add_u64 v[2:3], v[64:65], 2, s[18:19]
	v_ashrrev_i32_e32 v67, 31, v66
	s_mul_i32 s15, s15, s64
	v_accvgpr_write_b32 a71, v1
	v_lshrrev_b32_e32 v1, 3, v28
	v_accvgpr_write_b32 a113, v3
	s_mul_hi_u32 s15, s64, s15
	v_accvgpr_write_b32 a73, v1
	v_lshrrev_b32_e32 v1, 3, v30
	v_accvgpr_write_b32 a112, v2
	v_lshl_add_u64 v[2:3], v[66:67], 2, s[18:19]
	s_mov_b32 s73, 0x10001
	s_add_i32 s91, s64, s15
	s_lshl_b64 s[64:65], s[46:47], 1
	v_and_b32_e32 v247, 7, v86
	v_and_b32_e32 v98, 7, v43
	;; [unrolled: 1-line block ×4, first 2 shown]
	v_accvgpr_write_b32 a75, v1
	v_lshrrev_b32_e32 v1, 3, v33
	v_accvgpr_write_b32 a115, v3
	s_mul_i32 s87, s36, s37
	v_cmp_gt_u32_e64 s[4:5], 4, v107
	v_accvgpr_write_b32 a9, v217
	v_cmp_gt_u32_e64 s[6:7], 16, v44
	v_cmp_gt_u32_e64 s[8:9], 32, v44
	v_accvgpr_write_b32 a19, v7
	v_accvgpr_write_b32 a20, v9
	;; [unrolled: 1-line block ×14, first 2 shown]
	s_ashr_i32 s88, s81, 31
	s_ashr_i32 s89, s80, 31
	;; [unrolled: 1-line block ×3, first 2 shown]
	v_mov_b32_e32 v85, v49
	s_lshl_b64 s[66:67], s[34:35], 8
	s_lshl_b64 s[68:69], s[38:39], 8
	s_mov_b32 s47, 0x3f200000
	s_mov_b32 s65, 0x3fb8aa3b
	;; [unrolled: 1-line block ×4, first 2 shown]
	s_brev_b32 s94, -2
	s_mov_b32 s95, 0xc1a00000
	s_mov_b32 s96, 0x5040100
	s_movk_i32 s97, 0x47
	s_mov_b64 s[70:71], 0x80
	v_accvgpr_write_b32 a17, v88
	v_mul_lo_u32 v253, v88, s73
	v_add_u32_e32 v254, 0x1080, v109
	v_add_u32_e32 v255, 0x2100, v109
	;; [unrolled: 1-line block ×7, first 2 shown]
	v_mul_u32_u24_e32 v248, 0x210, v87
	v_lshrrev_b32_e32 v104, 3, v86
	v_accvgpr_write_b32 a16, v86
	v_accvgpr_write_b32 a15, v51
	v_lshrrev_b32_e32 v246, 3, v51
	v_lshrrev_b32_e32 v243, 3, v43
	v_accvgpr_write_b32 a14, v43
	v_accvgpr_write_b32 a13, v41
	v_lshrrev_b32_e32 v94, 3, v41
	;; [unrolled: 4-line block ×3, first 2 shown]
	v_lshrrev_b32_e32 v234, 3, v38
	v_accvgpr_write_b32 a10, v38
	v_bfe_u32 v231, v103, 4, 6
	v_lshrrev_b32_e32 v229, 3, v6
	v_and_b32_e32 v86, 7, v6
	v_accvgpr_write_b32 a77, v1
	v_mov_b32_e32 v226, 0x3ca908c9
	v_mov_b32_e32 v224, 0x7f800000
	v_and_b32_e32 v110, 7, v0
	v_bfe_u32 v114, v87, 1, 3
	v_mad_u64_u32 v[116:117], s[10:11], v45, s77, v[44:45]
	v_mad_u64_u32 v[118:119], s[10:11], v247, s77, v[44:45]
	v_mad_u64_u32 v[120:121], s[10:11], v98, s77, v[44:45]
	v_mad_u64_u32 v[122:123], s[10:11], v242, s77, v[44:45]
	v_mad_u64_u32 v[124:125], s[10:11], v233, s77, v[44:45]
	v_accvgpr_write_b32 a114, v2
	s_branch .LBB32_12
.LBB32_10:                              ;   in Loop: Header=BB32_12 Depth=1
	s_or_b64 exec, exec, s[72:73]
	s_barrier
.LBB32_11:                              ;   in Loop: Header=BB32_12 Depth=1
	s_add_i32 s10, s56, s82
	s_abs_i32 s14, s10
	s_mul_hi_u32 s15, s14, s52
	s_mul_i32 s15, s15, s83
	s_sub_i32 s14, s14, s15
	s_ashr_i32 s11, s10, 31
	s_sub_i32 s15, s14, s83
	s_cmp_ge_u32 s14, s83
	s_cselect_b32 s14, s15, s14
	s_sub_i32 s15, s14, s83
	s_cmp_ge_u32 s14, s83
	s_cselect_b32 s14, s15, s14
	s_xor_b32 s14, s14, s11
	s_sub_i32 s11, s11, s14
	s_add_i32 s56, s10, s11
	v_subrev_u32_e32 v1, s56, v42
	v_cmp_lt_i32_e64 s[10:11], s56, v42
	v_cmp_le_i32_e32 vcc, s82, v1
	s_and_b64 s[14:15], vcc, s[10:11]
	v_min_i32_e32 v184, s82, v1
	s_mov_b32 s72, 0
	s_and_b64 vcc, exec, s[14:15]
	s_cbranch_vccz .LBB32_403
.LBB32_12:                              ; =>This Loop Header: Depth=1
                                        ;     Child Loop BB32_246 Depth 2
                                        ;     Child Loop BB32_50 Depth 2
	s_abs_i32 s11, s56
	v_mul_hi_u32 v1, s11, v207
	v_mul_lo_u32 v2, v1, s59
	v_sub_u32_e32 v2, s11, v2
	v_add_u32_e32 v3, 1, v1
	v_subrev_u32_e32 v4, s59, v2
	v_cmp_le_u32_e32 vcc, s59, v2
	s_ashr_i32 s10, s56, 31
	s_xor_b32 s10, s10, s88
	v_cndmask_b32_e32 v1, v1, v3, vcc
	v_cndmask_b32_e32 v2, v2, v4, vcc
	v_add_u32_e32 v3, 1, v1
	v_cmp_le_u32_e32 vcc, s59, v2
	s_nop 1
	v_cndmask_b32_e32 v1, v1, v3, vcc
	v_xor_b32_e32 v1, s10, v1
	v_subrev_u32_e32 v1, s10, v1
	v_mul_lo_u32 v2, v1, s81
	v_sub_u32_e32 v3, s56, v2
	v_sub_u32_e32 v4, 0, v3
	v_max_i32_e32 v4, v3, v4
	v_mul_hi_u32 v5, v4, v208
	v_mul_lo_u32 v6, v5, s84
	v_sub_u32_e32 v4, v4, v6
	v_add_u32_e32 v6, 1, v5
	v_subrev_u32_e32 v7, s84, v4
	v_cmp_le_u32_e32 vcc, s84, v4
	v_ashrrev_i32_e32 v2, 31, v3
	v_xor_b32_e32 v2, s89, v2
	v_cndmask_b32_e32 v5, v5, v6, vcc
	v_cndmask_b32_e32 v4, v4, v7, vcc
	v_add_u32_e32 v6, 1, v5
	v_cmp_le_u32_e32 vcc, s84, v4
	s_nop 1
	v_cndmask_b32_e32 v4, v5, v6, vcc
	v_xor_b32_e32 v4, v4, v2
	v_sub_u32_e32 v2, v4, v2
	v_mul_lo_u32 v4, v2, s80
	v_sub_u32_e32 v3, v3, v4
	v_sub_u32_e32 v5, 0, v3
	v_max_i32_e32 v5, v3, v5
	v_mul_hi_u32 v6, v5, s91
	v_mul_lo_u32 v7, v6, s85
	v_sub_u32_e32 v5, v5, v7
	v_add_u32_e32 v7, 1, v6
	v_subrev_u32_e32 v8, s85, v5
	v_cmp_le_u32_e32 vcc, s85, v5
	v_ashrrev_i32_e32 v4, 31, v3
	v_xor_b32_e32 v4, s90, v4
	v_cndmask_b32_e32 v6, v6, v7, vcc
	v_cndmask_b32_e32 v5, v5, v8, vcc
	v_add_u32_e32 v7, 1, v6
	v_cmp_le_u32_e32 vcc, s85, v5
	s_nop 1
	v_cndmask_b32_e32 v5, v6, v7, vcc
	v_xor_b32_e32 v5, v5, v4
	v_sub_u32_e32 v4, v5, v4
	v_mul_lo_u32 v5, v4, s79
	v_sub_u32_e32 v3, v3, v5
	v_sub_u32_e32 v6, 0, v3
	v_ashrrev_i32_e32 v5, 31, v3
	v_max_i32_e32 v3, v3, v6
	v_mul_hi_u32 v6, v3, s52
	v_mul_lo_u32 v7, v6, s83
	v_sub_u32_e32 v3, v3, v7
	v_add_u32_e32 v7, 1, v6
	v_subrev_u32_e32 v8, s83, v3
	v_cmp_le_u32_e32 vcc, s83, v3
	v_xor_b32_e32 v5, s42, v5
	s_nop 0
	v_cndmask_b32_e32 v6, v6, v7, vcc
	v_cndmask_b32_e32 v3, v3, v8, vcc
	v_add_u32_e32 v7, 1, v6
	v_cmp_le_u32_e32 vcc, s83, v3
	s_nop 1
	v_cndmask_b32_e32 v3, v6, v7, vcc
	v_xor_b32_e32 v3, v3, v5
	s_andn2_b64 vcc, exec, s[62:63]
	v_sub_u32_e32 v3, v3, v5
	s_cbranch_vccnz .LBB32_14
; %bb.13:                               ;   in Loop: Header=BB32_12 Depth=1
	v_mul_lo_u32 v5, v1, s78
	v_add_u32_e32 v6, v3, v5
	v_ashrrev_i32_e32 v7, 31, v6
	v_lshlrev_b64 v[6:7], 2, v[6:7]
	v_lshl_add_u64 v[6:7], s[26:27], 0, v[6:7]
	global_load_dword v5, v[6:7], off
	s_waitcnt vmcnt(0)
	v_ashrrev_i32_e32 v6, 31, v5
	v_lshrrev_b32_e32 v6, 26, v6
	v_add_u32_e32 v5, v5, v6
	v_ashrrev_i32_e32 v5, 6, v5
	v_min_i32_e32 v184, v184, v5
.LBB32_14:                              ;   in Loop: Header=BB32_12 Depth=1
	v_mul_lo_u32 v5, v2, s76
	v_lshlrev_b32_e32 v47, 3, v4
	v_add_u32_e32 v4, v47, v5
	v_mul_lo_u32 v6, v1, s55
	v_ashrrev_i32_e32 v7, 31, v6
	v_mul_lo_u32 v8, v4, s54
	v_lshl_add_u64 v[6:7], s[16:17], 0, v[6:7]
	v_ashrrev_i32_e32 v9, 31, v8
	v_ashrrev_i32_e32 v5, 31, v1
	v_lshl_add_u64 v[180:181], v[6:7], 0, v[8:9]
	v_mul_hi_u32 v6, s40, v1
	v_mul_lo_u32 v7, s40, v5
	v_add_u32_e32 v6, v6, v7
	v_mul_lo_u32 v7, s41, v1
	v_add_u32_e32 v171, v6, v7
	v_mul_lo_u32 v170, s40, v1
	v_mul_lo_u32 v172, v2, s53
	v_lshl_add_u64 v[6:7], s[18:19], 0, v[170:171]
	v_ashrrev_i32_e32 v173, 31, v172
	v_lshl_add_u64 v[166:167], v[6:7], 0, v[172:173]
	v_sub_u32_e32 v6, 0, v1
	v_max_i32_e32 v6, v1, v6
	v_mul_hi_u32 v7, v6, v209
	v_mul_lo_u32 v7, v7, s86
	v_sub_u32_e32 v6, v6, v7
	v_subrev_u32_e32 v7, s86, v6
	v_cmp_le_u32_e32 vcc, s86, v6
	v_mul_lo_u32 v176, s48, v1
	v_mul_lo_u32 v178, v2, s43
	v_cndmask_b32_e32 v6, v6, v7, vcc
	v_subrev_u32_e32 v7, s86, v6
	v_cmp_le_u32_e32 vcc, s86, v6
	v_ashrrev_i32_e32 v179, 31, v178
	v_lshlrev_b32_e32 v117, 2, v3
	v_cndmask_b32_e32 v6, v6, v7, vcc
	v_xor_b32_e32 v6, v6, v5
	v_sub_u32_e32 v6, v6, v5
	v_ashrrev_i32_e32 v7, 31, v6
	v_mul_lo_u32 v7, s50, v7
	v_mul_hi_u32 v8, s50, v6
	v_add_u32_e32 v7, v8, v7
	v_mul_lo_u32 v8, s51, v6
	v_mul_lo_u32 v174, s50, v6
	;; [unrolled: 1-line block ×3, first 2 shown]
	v_add_u32_e32 v6, v4, v6
	v_lshlrev_b32_e32 v48, 7, v6
	v_add_u32_e32 v175, v7, v8
	v_lshlrev_b64 v[6:7], 3, v[48:49]
	v_lshl_add_u64 v[160:161], s[28:29], 0, v[6:7]
	v_mul_hi_u32 v6, s48, v1
	v_mul_lo_u32 v5, s48, v5
	v_add_u32_e32 v5, v6, v5
	v_mul_lo_u32 v6, s49, v1
	v_add_u32_e32 v177, v5, v6
	v_ashrrev_i32_e32 v5, 31, v4
	v_lshlrev_b64 v[4:5], 2, v[4:5]
	v_lshl_add_u64 v[6:7], s[20:21], 0, v[176:177]
	v_lshl_add_u64 v[4:5], s[24:25], 0, v[4:5]
	v_bfe_u32 v1, v103, 3, 7
	v_lshl_add_u64 v[168:169], s[22:23], 0, v[174:175]
	v_lshl_add_u64 v[164:165], v[6:7], 0, v[178:179]
	v_cndmask_b32_e64 v163, v5, 0, s[60:61]
	v_cndmask_b32_e64 v162, v4, 0, s[60:61]
	s_cmp_lg_u32 s72, 0
	v_add_u32_e32 v119, v1, v117
	v_or_b32_e32 v121, v45, v47
	s_cbranch_scc0 .LBB32_84
; %bb.15:                               ;   in Loop: Header=BB32_12 Depth=1
	v_cmp_le_i32_e64 s[10:11], s36, v119
	v_cmp_le_i32_e64 s[14:15], s76, v121
	v_cmp_gt_i32_e32 vcc, s76, v121
	s_or_b64 s[10:11], s[10:11], s[14:15]
	s_and_saveexec_b64 s[14:15], s[10:11]
	s_xor_b64 s[10:11], exec, s[14:15]
; %bb.16:                               ;   in Loop: Header=BB32_12 Depth=1
	v_add_u32_e32 v1, v235, v248
	ds_write2st64_b32 v1, v49, v49 offset1:1
; %bb.17:                               ;   in Loop: Header=BB32_12 Depth=1
	s_andn2_saveexec_b64 s[10:11], s[10:11]
	s_cbranch_execz .LBB32_19
; %bb.18:                               ;   in Loop: Header=BB32_12 Depth=1
	v_mad_u64_u32 v[2:3], s[14:15], v119, s57, v[116:117]
	v_ashrrev_i32_e32 v3, 31, v2
	v_lshl_add_u64 v[2:3], v[2:3], 3, v[180:181]
	global_load_dwordx2 v[4:5], v[2:3], off
	s_nop 0
	global_load_dwordx2 v[2:3], v[2:3], off offset:512
	s_waitcnt vmcnt(1)
	v_cvt_pk_f16_f32 v1, v4, v5
	s_waitcnt vmcnt(0)
	v_cvt_pk_f16_f32 v2, v2, v3
	v_pk_mul_f16 v1, v1, v253
	v_pk_mul_f16 v2, v2, v253
	ds_write2st64_b32 v106, v1, v2 offset1:1
.LBB32_19:                              ;   in Loop: Header=BB32_12 Depth=1
	s_or_b64 exec, exec, s[10:11]
	v_add_u32_e32 v1, v104, v117
	v_or_b32_e32 v2, v247, v47
	v_cmp_le_i32_e64 s[10:11], s36, v1
	v_cmp_le_i32_e64 s[14:15], s76, v2
	s_or_b64 s[10:11], s[10:11], s[14:15]
	s_and_saveexec_b64 s[14:15], s[10:11]
	s_xor_b64 s[10:11], exec, s[14:15]
; %bb.20:                               ;   in Loop: Header=BB32_12 Depth=1
	v_add_u32_e32 v1, v235, v248
	v_add_u32_e32 v1, 64, v1
	ds_write2st64_b32 v1, v49, v49 offset0:8 offset1:9
                                        ; implicit-def: $vgpr1
; %bb.21:                               ;   in Loop: Header=BB32_12 Depth=1
	s_andn2_saveexec_b64 s[10:11], s[10:11]
	s_cbranch_execz .LBB32_23
; %bb.22:                               ;   in Loop: Header=BB32_12 Depth=1
	v_mad_u64_u32 v[2:3], s[14:15], v1, s57, v[118:119]
	v_ashrrev_i32_e32 v3, 31, v2
	v_lshl_add_u64 v[2:3], v[2:3], 3, v[180:181]
	global_load_dwordx2 v[4:5], v[2:3], off
	s_nop 0
	global_load_dwordx2 v[2:3], v[2:3], off offset:512
	s_waitcnt vmcnt(1)
	v_cvt_pk_f16_f32 v1, v4, v5
	s_waitcnt vmcnt(0)
	v_cvt_pk_f16_f32 v2, v2, v3
	v_pk_mul_f16 v1, v1, v253
	v_pk_mul_f16 v2, v2, v253
	v_accvgpr_read_b32 v3, a50
	ds_write2st64_b32 v3, v1, v2 offset1:1
.LBB32_23:                              ;   in Loop: Header=BB32_12 Depth=1
	s_or_b64 exec, exec, s[10:11]
	v_add_u32_e32 v1, v246, v117
	v_cmp_le_i32_e64 s[10:11], s36, v1
	s_xor_b64 s[14:15], vcc, -1
	s_or_b64 s[10:11], s[10:11], s[14:15]
	s_and_saveexec_b64 s[74:75], s[10:11]
	s_xor_b64 s[10:11], exec, s[74:75]
; %bb.24:                               ;   in Loop: Header=BB32_12 Depth=1
	v_add_u32_e32 v1, v235, v248
	v_add_u32_e32 v1, 0x80, v1
	ds_write2st64_b32 v1, v49, v49 offset0:16 offset1:17
                                        ; implicit-def: $vgpr1
; %bb.25:                               ;   in Loop: Header=BB32_12 Depth=1
	s_andn2_saveexec_b64 s[10:11], s[10:11]
	s_cbranch_execz .LBB32_27
; %bb.26:                               ;   in Loop: Header=BB32_12 Depth=1
	v_mad_u64_u32 v[2:3], s[74:75], v1, s57, v[116:117]
	v_ashrrev_i32_e32 v3, 31, v2
	v_lshl_add_u64 v[2:3], v[2:3], 3, v[180:181]
	global_load_dwordx2 v[4:5], v[2:3], off
	s_nop 0
	global_load_dwordx2 v[2:3], v[2:3], off offset:512
	s_waitcnt vmcnt(1)
	v_cvt_pk_f16_f32 v1, v4, v5
	s_waitcnt vmcnt(0)
	v_cvt_pk_f16_f32 v2, v2, v3
	v_pk_mul_f16 v1, v1, v253
	v_pk_mul_f16 v2, v2, v253
	v_accvgpr_read_b32 v3, a51
	ds_write2st64_b32 v3, v1, v2 offset1:1
.LBB32_27:                              ;   in Loop: Header=BB32_12 Depth=1
	s_or_b64 exec, exec, s[10:11]
	v_add_u32_e32 v1, v243, v117
	v_or_b32_e32 v2, v98, v47
	v_cmp_le_i32_e32 vcc, s36, v1
	v_cmp_le_i32_e64 s[10:11], s76, v2
	s_or_b64 s[10:11], vcc, s[10:11]
	s_and_saveexec_b64 s[74:75], s[10:11]
	s_xor_b64 s[10:11], exec, s[74:75]
; %bb.28:                               ;   in Loop: Header=BB32_12 Depth=1
	v_add_u32_e32 v1, v235, v248
	v_add_u32_e32 v1, 0xc0, v1
	ds_write2st64_b32 v1, v49, v49 offset0:24 offset1:25
                                        ; implicit-def: $vgpr1
; %bb.29:                               ;   in Loop: Header=BB32_12 Depth=1
	s_andn2_saveexec_b64 s[10:11], s[10:11]
	s_cbranch_execz .LBB32_31
; %bb.30:                               ;   in Loop: Header=BB32_12 Depth=1
	v_mad_u64_u32 v[2:3], s[74:75], v1, s57, v[120:121]
	v_ashrrev_i32_e32 v3, 31, v2
	v_lshl_add_u64 v[2:3], v[2:3], 3, v[180:181]
	global_load_dwordx2 v[4:5], v[2:3], off
	s_nop 0
	global_load_dwordx2 v[2:3], v[2:3], off offset:512
	s_waitcnt vmcnt(1)
	v_cvt_pk_f16_f32 v1, v4, v5
	s_waitcnt vmcnt(0)
	v_cvt_pk_f16_f32 v2, v2, v3
	v_pk_mul_f16 v1, v1, v253
	v_pk_mul_f16 v2, v2, v253
	v_accvgpr_read_b32 v3, a52
	ds_write2st64_b32 v3, v1, v2 offset1:1
.LBB32_31:                              ;   in Loop: Header=BB32_12 Depth=1
	s_or_b64 exec, exec, s[10:11]
	v_add_u32_e32 v1, v94, v117
	v_cmp_le_i32_e32 vcc, s36, v1
	s_or_b64 s[10:11], vcc, s[14:15]
	s_and_saveexec_b64 s[74:75], s[10:11]
	s_xor_b64 s[10:11], exec, s[74:75]
; %bb.32:                               ;   in Loop: Header=BB32_12 Depth=1
	v_add_u32_e32 v1, v235, v248
	ds_write2st64_b32 v1, v49, v49 offset0:33 offset1:34
                                        ; implicit-def: $vgpr1
; %bb.33:                               ;   in Loop: Header=BB32_12 Depth=1
	s_andn2_saveexec_b64 s[10:11], s[10:11]
	s_cbranch_execz .LBB32_35
; %bb.34:                               ;   in Loop: Header=BB32_12 Depth=1
	v_mad_u64_u32 v[2:3], s[74:75], v1, s57, v[116:117]
	v_ashrrev_i32_e32 v3, 31, v2
	v_lshl_add_u64 v[2:3], v[2:3], 3, v[180:181]
	global_load_dwordx2 v[4:5], v[2:3], off
	s_nop 0
	global_load_dwordx2 v[2:3], v[2:3], off offset:512
	s_waitcnt vmcnt(1)
	v_cvt_pk_f16_f32 v1, v4, v5
	s_waitcnt vmcnt(0)
	v_cvt_pk_f16_f32 v2, v2, v3
	v_pk_mul_f16 v1, v1, v253
	v_pk_mul_f16 v2, v2, v253
	v_accvgpr_read_b32 v3, a53
	ds_write2st64_b32 v3, v1, v2 offset1:1
.LBB32_35:                              ;   in Loop: Header=BB32_12 Depth=1
	s_or_b64 exec, exec, s[10:11]
	v_add_u32_e32 v1, v96, v117
	v_or_b32_e32 v2, v242, v47
	v_cmp_le_i32_e32 vcc, s36, v1
	v_cmp_le_i32_e64 s[10:11], s76, v2
	s_or_b64 s[10:11], vcc, s[10:11]
	s_and_saveexec_b64 s[74:75], s[10:11]
	s_xor_b64 s[10:11], exec, s[74:75]
; %bb.36:                               ;   in Loop: Header=BB32_12 Depth=1
	v_add_u32_e32 v1, v235, v248
	v_add_u32_e32 v1, 64, v1
	ds_write2st64_b32 v1, v49, v49 offset0:41 offset1:42
                                        ; implicit-def: $vgpr1
; %bb.37:                               ;   in Loop: Header=BB32_12 Depth=1
	s_andn2_saveexec_b64 s[10:11], s[10:11]
	s_cbranch_execz .LBB32_39
; %bb.38:                               ;   in Loop: Header=BB32_12 Depth=1
	v_mad_u64_u32 v[2:3], s[74:75], v1, s57, v[122:123]
	v_ashrrev_i32_e32 v3, 31, v2
	v_lshl_add_u64 v[2:3], v[2:3], 3, v[180:181]
	global_load_dwordx2 v[4:5], v[2:3], off
	s_nop 0
	global_load_dwordx2 v[2:3], v[2:3], off offset:512
	s_waitcnt vmcnt(1)
	v_cvt_pk_f16_f32 v1, v4, v5
	s_waitcnt vmcnt(0)
	v_cvt_pk_f16_f32 v2, v2, v3
	v_pk_mul_f16 v1, v1, v253
	v_pk_mul_f16 v2, v2, v253
	v_accvgpr_read_b32 v3, a54
	ds_write2st64_b32 v3, v1, v2 offset1:1
.LBB32_39:                              ;   in Loop: Header=BB32_12 Depth=1
	s_or_b64 exec, exec, s[10:11]
	v_add_u32_e32 v1, v241, v117
	v_cmp_le_i32_e32 vcc, s36, v1
	s_or_b64 s[10:11], vcc, s[14:15]
	s_and_saveexec_b64 s[14:15], s[10:11]
	s_xor_b64 s[10:11], exec, s[14:15]
; %bb.40:                               ;   in Loop: Header=BB32_12 Depth=1
	v_add_u32_e32 v1, v235, v248
	v_add_u32_e32 v1, 0x80, v1
	ds_write2st64_b32 v1, v49, v49 offset0:49 offset1:50
                                        ; implicit-def: $vgpr1
; %bb.41:                               ;   in Loop: Header=BB32_12 Depth=1
	s_andn2_saveexec_b64 s[10:11], s[10:11]
	s_cbranch_execz .LBB32_43
; %bb.42:                               ;   in Loop: Header=BB32_12 Depth=1
	v_mad_u64_u32 v[2:3], s[14:15], v1, s57, v[116:117]
	v_ashrrev_i32_e32 v3, 31, v2
	v_lshl_add_u64 v[2:3], v[2:3], 3, v[180:181]
	global_load_dwordx2 v[4:5], v[2:3], off
	s_nop 0
	global_load_dwordx2 v[2:3], v[2:3], off offset:512
	s_waitcnt vmcnt(1)
	v_cvt_pk_f16_f32 v1, v4, v5
	s_waitcnt vmcnt(0)
	v_cvt_pk_f16_f32 v2, v2, v3
	v_pk_mul_f16 v1, v1, v253
	v_pk_mul_f16 v2, v2, v253
	v_accvgpr_read_b32 v3, a55
	ds_write2st64_b32 v3, v1, v2 offset1:1
.LBB32_43:                              ;   in Loop: Header=BB32_12 Depth=1
	s_or_b64 exec, exec, s[10:11]
	v_add_u32_e32 v1, v234, v117
	v_or_b32_e32 v2, v233, v47
	v_cmp_le_i32_e32 vcc, s36, v1
	v_cmp_le_i32_e64 s[10:11], s76, v2
	s_or_b64 s[10:11], vcc, s[10:11]
	s_and_saveexec_b64 s[14:15], s[10:11]
	s_xor_b64 s[10:11], exec, s[14:15]
; %bb.44:                               ;   in Loop: Header=BB32_12 Depth=1
	v_add_u32_e32 v1, v235, v248
	v_add_u32_e32 v1, 0xc0, v1
	ds_write2st64_b32 v1, v49, v49 offset0:57 offset1:58
                                        ; implicit-def: $vgpr1
; %bb.45:                               ;   in Loop: Header=BB32_12 Depth=1
	s_andn2_saveexec_b64 s[10:11], s[10:11]
	s_cbranch_execz .LBB32_47
; %bb.46:                               ;   in Loop: Header=BB32_12 Depth=1
	v_mad_u64_u32 v[2:3], s[14:15], v1, s57, v[124:125]
	v_ashrrev_i32_e32 v3, 31, v2
	v_lshl_add_u64 v[2:3], v[2:3], 3, v[180:181]
	global_load_dwordx2 v[4:5], v[2:3], off
	s_nop 0
	global_load_dwordx2 v[2:3], v[2:3], off offset:512
	s_waitcnt vmcnt(1)
	v_cvt_pk_f16_f32 v1, v4, v5
	s_waitcnt vmcnt(0)
	v_cvt_pk_f16_f32 v2, v2, v3
	v_pk_mul_f16 v1, v1, v253
	v_pk_mul_f16 v2, v2, v253
	v_accvgpr_read_b32 v3, a56
	ds_write2st64_b32 v3, v1, v2 offset1:1
.LBB32_47:                              ;   in Loop: Header=BB32_12 Depth=1
	s_or_b64 exec, exec, s[10:11]
	s_waitcnt lgkmcnt(0)
	s_barrier
	ds_read2_b64 v[30:33], v105 offset1:4
	ds_read2_b64 v[26:29], v105 offset0:8 offset1:12
	ds_read2_b64 v[22:25], v105 offset0:16 offset1:20
	;; [unrolled: 1-line block ×7, first 2 shown]
	v_add_u32_e32 v123, -1, v184
	v_cmp_ge_i32_e32 vcc, s72, v123
	s_waitcnt lgkmcnt(0)
	s_barrier
	s_cbranch_vccnz .LBB32_85
; %bb.48:                               ;   in Loop: Header=BB32_12 Depth=1
	v_add_u32_e32 v1, v117, v107
	v_mul_hi_u32 v34, s44, v1
	v_add_u32_e32 v34, v1, v34
	v_lshrrev_b32_e32 v34, s45, v34
	v_mul_lo_u32 v34, v34, s36
	v_sub_u32_e32 v1, v1, v34
	v_mad_i64_i32 v[34:35], s[10:11], v1, s46, 0
	v_lshl_add_u64 v[34:35], v[34:35], 1, v[168:169]
	v_lshlrev_b32_e32 v48, 1, v50
	v_and_b32_e32 v1, 64, v252
	v_lshl_add_u64 v[182:183], v[34:35], 0, v[48:49]
	v_add_u32_e32 v1, 64, v1
	v_xor_b32_e32 v34, 32, v252
	v_cmp_lt_i32_e32 vcc, v34, v1
	s_lshl_b32 s10, s72, 6
	v_mov_b32_e32 v138, 0
	v_cndmask_b32_e32 v34, v252, v34, vcc
	v_lshlrev_b32_e32 v125, 2, v34
	v_xor_b32_e32 v34, 16, v252
	v_cmp_lt_i32_e32 vcc, v34, v1
	v_mov_b32_e32 v145, 0xfeffffff
	v_mov_b32_e32 v144, 0
	v_cndmask_b32_e32 v1, v252, v34, vcc
	v_lshlrev_b32_e32 v185, 2, v1
	v_mov_b32_e32 v139, 0
	v_mov_b32_e32 v141, 0
	;; [unrolled: 1-line block ×31, first 2 shown]
	s_ashr_i32 s11, s10, 31
	s_and_saveexec_b64 s[14:15], s[4:5]
	s_cbranch_execz .LBB32_50
.LBB32_49:                              ;   in Loop: Header=BB32_12 Depth=1
	v_lshl_add_u64 v[34:35], s[10:11], 1, v[182:183]
	global_load_dword v34, v[34:35], off
	s_waitcnt vmcnt(0)
	ds_write_b32 v210, v34 offset:33792
.LBB32_50:                              ;   Parent Loop BB32_12 Depth=1
                                        ; =>  This Inner Loop Header: Depth=2
	s_or_b64 exec, exec, s[14:15]
	s_mul_hi_i32 s15, s10, s38
	s_mul_i32 s14, s10, s38
	s_lshl_b64 s[14:15], s[14:15], 2
	v_lshl_add_u64 v[34:35], v[166:167], 0, s[14:15]
	v_lshl_add_u64 v[36:37], v[52:53], 2, v[34:35]
	v_lshlrev_b32_e32 v48, 2, v46
	v_lshl_add_u64 v[36:37], v[36:37], 0, v[48:49]
	v_lshl_add_u64 v[38:39], v[54:55], 2, v[34:35]
	v_lshl_add_u64 v[40:41], v[56:57], 2, v[34:35]
	v_lshl_add_u64 v[146:147], v[58:59], 2, v[34:35]
	v_lshl_add_u64 v[148:149], v[60:61], 2, v[34:35]
	v_lshl_add_u64 v[150:151], v[62:63], 2, v[34:35]
	v_lshl_add_u64 v[152:153], v[64:65], 2, v[34:35]
	v_lshl_add_u64 v[34:35], v[66:67], 2, v[34:35]
	v_lshl_add_u64 v[154:155], v[34:35], 0, v[48:49]
	global_load_dwordx4 v[34:37], v[36:37], off
	v_lshl_add_u64 v[38:39], v[38:39], 0, v[48:49]
	v_lshl_add_u64 v[40:41], v[40:41], 0, v[48:49]
	;; [unrolled: 1-line block ×6, first 2 shown]
                                        ; implicit-def: $vgpr102
	s_waitcnt vmcnt(0)
	ds_write_b128 v109, v[34:37]
	global_load_dwordx4 v[34:37], v[38:39], off
	v_add_u32_e32 v38, 0x4000, v115
	s_waitcnt vmcnt(0)
	ds_write_b128 v254, v[34:37]
	global_load_dwordx4 v[34:37], v[40:41], off
	s_waitcnt vmcnt(0)
	ds_write_b128 v255, v[34:37]
	global_load_dwordx4 v[34:37], v[146:147], off
	;; [unrolled: 3-line block ×6, first 2 shown]
	s_waitcnt vmcnt(0)
	ds_write_b128 v108, v[34:37]
	s_waitcnt lgkmcnt(0)
	s_barrier
	ds_read2_b64 v[34:37], v115 offset1:4
	s_waitcnt lgkmcnt(0)
	v_mfma_f32_16x16x16_f16 a[0:3], v[34:35], v[30:31], 0
	v_mfma_f32_16x16x16_f16 a[0:3], v[36:37], v[32:33], a[0:3]
	ds_read2_b64 v[34:37], v115 offset0:8 offset1:12
	s_waitcnt lgkmcnt(0)
	v_mfma_f32_16x16x16_f16 a[0:3], v[34:35], v[26:27], a[0:3]
	v_mfma_f32_16x16x16_f16 a[0:3], v[36:37], v[28:29], a[0:3]
	ds_read2_b64 v[34:37], v115 offset0:16 offset1:20
	;; [unrolled: 4-line block ×8, first 2 shown]
	s_waitcnt lgkmcnt(0)
	v_mfma_f32_16x16x16_f16 a[4:7], v[34:35], v[30:31], 0
	s_nop 4
	v_accvgpr_read_b32 v100, a0
	v_cmp_nlt_f32_e64 s[14:15], |v100|, s47
	v_mfma_f32_16x16x16_f16 a[4:7], v[36:37], v[32:33], a[4:7]
	ds_read2_b64 v[34:37], v38 offset0:72 offset1:76
	s_waitcnt lgkmcnt(0)
	v_mfma_f32_16x16x16_f16 a[4:7], v[34:35], v[26:27], a[4:7]
	v_mfma_f32_16x16x16_f16 a[4:7], v[36:37], v[28:29], a[4:7]
	ds_read2_b64 v[34:37], v38 offset0:80 offset1:84
	s_waitcnt lgkmcnt(0)
	v_mfma_f32_16x16x16_f16 a[4:7], v[34:35], v[22:23], a[4:7]
	;; [unrolled: 4-line block ×6, first 2 shown]
	v_mfma_f32_16x16x16_f16 a[4:7], v[36:37], v[8:9], a[4:7]
	ds_read2_b64 v[34:37], v38 offset0:120 offset1:124
	s_waitcnt lgkmcnt(0)
	s_barrier
	v_mfma_f32_16x16x16_f16 a[4:7], v[34:35], v[2:3], a[4:7]
	v_mfma_f32_16x16x16_f16 a[4:7], v[36:37], v[4:5], a[4:7]
	s_and_saveexec_b64 s[74:75], s[14:15]
	s_xor_b64 s[14:15], exec, s[74:75]
	s_cbranch_execz .LBB32_52
; %bb.51:                               ;   in Loop: Header=BB32_50 Depth=2
	v_add_f32_e64 v34, |v100|, |v100|
	v_mul_f32_e32 v35, 0x3fb8aa3b, v34
	v_rndne_f32_e32 v36, v35
	v_sub_f32_e32 v37, v35, v36
	v_fma_f32 v35, v34, s65, -v35
	v_fmac_f32_e32 v35, 0x32a5705f, v34
	v_add_f32_e32 v35, v37, v35
	v_cvt_i32_f32_e32 v36, v36
	v_exp_f32_e32 v35, v35
	v_cmp_ngt_f32_e32 vcc, s92, v34
	v_ldexp_f32 v35, v35, v36
	s_nop 0
	v_cndmask_b32_e32 v35, 0, v35, vcc
	v_cmp_nlt_f32_e32 vcc, s93, v34
	s_nop 1
	v_cndmask_b32_e32 v34, v224, v35, vcc
	v_add_f32_e32 v34, 1.0, v34
	v_rcp_f32_e32 v34, v34
	s_nop 0
	v_fma_f32 v102, v34, -2.0, 1.0
.LBB32_52:                              ;   in Loop: Header=BB32_50 Depth=2
	s_andn2_saveexec_b64 s[14:15], s[14:15]
; %bb.53:                               ;   in Loop: Header=BB32_50 Depth=2
	v_mul_f32_e32 v34, v100, v100
	v_fmamk_f32 v35, v34, 0xbbbac73d, v226
	v_fmaak_f32 v35, v34, v35, 0xbd5c1c4e
	v_fmaak_f32 v35, v34, v35, 0x3e088382
	;; [unrolled: 1-line block ×3, first 2 shown]
	v_mul_f32_e64 v35, |v100|, v35
	v_fma_f32 v102, v34, v35, |v100|
; %bb.54:                               ;   in Loop: Header=BB32_50 Depth=2
	s_or_b64 exec, exec, s[14:15]
	v_accvgpr_read_b32 v37, a3
	v_accvgpr_read_b32 v35, a1
	;; [unrolled: 1-line block ×4, first 2 shown]
	v_cmp_nlt_f32_e64 s[14:15], |v35|, s47
                                        ; implicit-def: $vgpr34
	s_and_saveexec_b64 s[74:75], s[14:15]
	s_xor_b64 s[14:15], exec, s[74:75]
	s_cbranch_execz .LBB32_56
; %bb.55:                               ;   in Loop: Header=BB32_50 Depth=2
	v_add_f32_e64 v34, |v35|, |v35|
	v_mul_f32_e32 v38, 0x3fb8aa3b, v34
	v_rndne_f32_e32 v39, v38
	v_sub_f32_e32 v40, v38, v39
	v_fma_f32 v38, v34, s65, -v38
	v_fmac_f32_e32 v38, 0x32a5705f, v34
	v_add_f32_e32 v38, v40, v38
	v_cvt_i32_f32_e32 v39, v39
	v_exp_f32_e32 v38, v38
	v_cmp_ngt_f32_e32 vcc, s92, v34
	v_ldexp_f32 v38, v38, v39
	s_nop 0
	v_cndmask_b32_e32 v38, 0, v38, vcc
	v_cmp_nlt_f32_e32 vcc, s93, v34
	s_nop 1
	v_cndmask_b32_e32 v34, v224, v38, vcc
	v_add_f32_e32 v34, 1.0, v34
	v_rcp_f32_e32 v34, v34
	s_nop 0
	v_fma_f32 v34, v34, -2.0, 1.0
.LBB32_56:                              ;   in Loop: Header=BB32_50 Depth=2
	s_andn2_saveexec_b64 s[14:15], s[14:15]
; %bb.57:                               ;   in Loop: Header=BB32_50 Depth=2
	v_mul_f32_e32 v34, v35, v35
	v_fmamk_f32 v38, v34, 0xbbbac73d, v226
	v_fmaak_f32 v38, v34, v38, 0xbd5c1c4e
	v_fmaak_f32 v38, v34, v38, 0x3e088382
	;; [unrolled: 1-line block ×3, first 2 shown]
	v_mul_f32_e64 v38, |v35|, v38
	v_fma_f32 v34, v34, v38, |v35|
; %bb.58:                               ;   in Loop: Header=BB32_50 Depth=2
	s_or_b64 exec, exec, s[14:15]
	v_cmp_nlt_f32_e64 s[14:15], |v36|, s47
                                        ; implicit-def: $vgpr146
	s_and_saveexec_b64 s[74:75], s[14:15]
	s_xor_b64 s[14:15], exec, s[74:75]
	s_cbranch_execz .LBB32_60
; %bb.59:                               ;   in Loop: Header=BB32_50 Depth=2
	v_add_f32_e64 v38, |v36|, |v36|
	v_mul_f32_e32 v39, 0x3fb8aa3b, v38
	v_rndne_f32_e32 v40, v39
	v_sub_f32_e32 v41, v39, v40
	v_fma_f32 v39, v38, s65, -v39
	v_fmac_f32_e32 v39, 0x32a5705f, v38
	v_add_f32_e32 v39, v41, v39
	v_cvt_i32_f32_e32 v40, v40
	v_exp_f32_e32 v39, v39
	v_cmp_ngt_f32_e32 vcc, s92, v38
	v_ldexp_f32 v39, v39, v40
	s_nop 0
	v_cndmask_b32_e32 v39, 0, v39, vcc
	v_cmp_nlt_f32_e32 vcc, s93, v38
	s_nop 1
	v_cndmask_b32_e32 v38, v224, v39, vcc
	v_add_f32_e32 v38, 1.0, v38
	v_rcp_f32_e32 v38, v38
	s_nop 0
	v_fma_f32 v146, v38, -2.0, 1.0
.LBB32_60:                              ;   in Loop: Header=BB32_50 Depth=2
	s_andn2_saveexec_b64 s[14:15], s[14:15]
; %bb.61:                               ;   in Loop: Header=BB32_50 Depth=2
	v_mul_f32_e32 v38, v36, v36
	v_fmamk_f32 v39, v38, 0xbbbac73d, v226
	v_fmaak_f32 v39, v38, v39, 0xbd5c1c4e
	v_fmaak_f32 v39, v38, v39, 0x3e088382
	;; [unrolled: 1-line block ×3, first 2 shown]
	v_mul_f32_e64 v39, |v36|, v39
	v_fma_f32 v146, v38, v39, |v36|
; %bb.62:                               ;   in Loop: Header=BB32_50 Depth=2
	s_or_b64 exec, exec, s[14:15]
	v_cmp_nlt_f32_e64 s[14:15], |v37|, s47
                                        ; implicit-def: $vgpr147
	s_and_saveexec_b64 s[74:75], s[14:15]
	s_xor_b64 s[14:15], exec, s[74:75]
	s_cbranch_execz .LBB32_64
; %bb.63:                               ;   in Loop: Header=BB32_50 Depth=2
	v_add_f32_e64 v38, |v37|, |v37|
	v_mul_f32_e32 v39, 0x3fb8aa3b, v38
	v_rndne_f32_e32 v40, v39
	v_sub_f32_e32 v41, v39, v40
	v_fma_f32 v39, v38, s65, -v39
	v_fmac_f32_e32 v39, 0x32a5705f, v38
	v_add_f32_e32 v39, v41, v39
	v_cvt_i32_f32_e32 v40, v40
	v_exp_f32_e32 v39, v39
	v_cmp_ngt_f32_e32 vcc, s92, v38
	v_ldexp_f32 v39, v39, v40
	s_nop 0
	v_cndmask_b32_e32 v39, 0, v39, vcc
	v_cmp_nlt_f32_e32 vcc, s93, v38
	s_nop 1
	v_cndmask_b32_e32 v38, v224, v39, vcc
	v_add_f32_e32 v38, 1.0, v38
	v_rcp_f32_e32 v38, v38
	s_nop 0
	v_fma_f32 v147, v38, -2.0, 1.0
.LBB32_64:                              ;   in Loop: Header=BB32_50 Depth=2
	s_andn2_saveexec_b64 s[14:15], s[14:15]
; %bb.65:                               ;   in Loop: Header=BB32_50 Depth=2
	v_mul_f32_e32 v38, v37, v37
	v_fmamk_f32 v39, v38, 0xbbbac73d, v226
	v_fmaak_f32 v39, v38, v39, 0xbd5c1c4e
	v_fmaak_f32 v39, v38, v39, 0x3e088382
	;; [unrolled: 1-line block ×3, first 2 shown]
	v_mul_f32_e64 v39, |v37|, v39
	v_fma_f32 v147, v38, v39, |v37|
; %bb.66:                               ;   in Loop: Header=BB32_50 Depth=2
	s_or_b64 exec, exec, s[14:15]
	v_accvgpr_read_b32 v41, a7
	v_accvgpr_read_b32 v38, a4
	;; [unrolled: 1-line block ×4, first 2 shown]
	v_cmp_nlt_f32_e64 s[14:15], |v38|, s47
                                        ; implicit-def: $vgpr148
	s_and_saveexec_b64 s[74:75], s[14:15]
	s_xor_b64 s[14:15], exec, s[74:75]
	s_cbranch_execz .LBB32_68
; %bb.67:                               ;   in Loop: Header=BB32_50 Depth=2
	v_add_f32_e64 v92, |v38|, |v38|
	v_mul_f32_e32 v148, 0x3fb8aa3b, v92
	v_rndne_f32_e32 v149, v148
	v_sub_f32_e32 v150, v148, v149
	v_fma_f32 v148, v92, s65, -v148
	v_fmac_f32_e32 v148, 0x32a5705f, v92
	v_add_f32_e32 v148, v150, v148
	v_cvt_i32_f32_e32 v149, v149
	v_exp_f32_e32 v148, v148
	v_cmp_ngt_f32_e32 vcc, s92, v92
	v_ldexp_f32 v148, v148, v149
	s_nop 0
	v_cndmask_b32_e32 v148, 0, v148, vcc
	v_cmp_nlt_f32_e32 vcc, s93, v92
	s_nop 1
	v_cndmask_b32_e32 v92, v224, v148, vcc
	v_add_f32_e32 v92, 1.0, v92
	v_rcp_f32_e32 v92, v92
	s_nop 0
	v_fma_f32 v148, v92, -2.0, 1.0
.LBB32_68:                              ;   in Loop: Header=BB32_50 Depth=2
	s_andn2_saveexec_b64 s[14:15], s[14:15]
; %bb.69:                               ;   in Loop: Header=BB32_50 Depth=2
	v_mul_f32_e32 v92, v38, v38
	v_fmamk_f32 v148, v92, 0xbbbac73d, v226
	v_fmaak_f32 v148, v92, v148, 0xbd5c1c4e
	v_fmaak_f32 v148, v92, v148, 0x3e088382
	;; [unrolled: 1-line block ×3, first 2 shown]
	v_mul_f32_e64 v148, |v38|, v148
	v_fma_f32 v148, v92, v148, |v38|
; %bb.70:                               ;   in Loop: Header=BB32_50 Depth=2
	s_or_b64 exec, exec, s[14:15]
	v_cmp_nlt_f32_e64 s[14:15], |v39|, s47
                                        ; implicit-def: $vgpr149
	s_and_saveexec_b64 s[74:75], s[14:15]
	s_xor_b64 s[14:15], exec, s[74:75]
	s_cbranch_execz .LBB32_72
; %bb.71:                               ;   in Loop: Header=BB32_50 Depth=2
	v_add_f32_e64 v92, |v39|, |v39|
	v_mul_f32_e32 v149, 0x3fb8aa3b, v92
	v_rndne_f32_e32 v150, v149
	v_sub_f32_e32 v151, v149, v150
	v_fma_f32 v149, v92, s65, -v149
	v_fmac_f32_e32 v149, 0x32a5705f, v92
	v_add_f32_e32 v149, v151, v149
	v_cvt_i32_f32_e32 v150, v150
	v_exp_f32_e32 v149, v149
	v_cmp_ngt_f32_e32 vcc, s92, v92
	v_ldexp_f32 v149, v149, v150
	s_nop 0
	v_cndmask_b32_e32 v149, 0, v149, vcc
	v_cmp_nlt_f32_e32 vcc, s93, v92
	s_nop 1
	v_cndmask_b32_e32 v92, v224, v149, vcc
	v_add_f32_e32 v92, 1.0, v92
	v_rcp_f32_e32 v92, v92
	s_nop 0
	v_fma_f32 v149, v92, -2.0, 1.0
.LBB32_72:                              ;   in Loop: Header=BB32_50 Depth=2
	s_andn2_saveexec_b64 s[14:15], s[14:15]
; %bb.73:                               ;   in Loop: Header=BB32_50 Depth=2
	v_mul_f32_e32 v92, v39, v39
	v_fmamk_f32 v149, v92, 0xbbbac73d, v226
	v_fmaak_f32 v149, v92, v149, 0xbd5c1c4e
	v_fmaak_f32 v149, v92, v149, 0x3e088382
	;; [unrolled: 1-line block ×3, first 2 shown]
	v_mul_f32_e64 v149, |v39|, v149
	v_fma_f32 v149, v92, v149, |v39|
; %bb.74:                               ;   in Loop: Header=BB32_50 Depth=2
	s_or_b64 exec, exec, s[14:15]
	v_cmp_nlt_f32_e64 s[14:15], |v40|, s47
                                        ; implicit-def: $vgpr150
	s_and_saveexec_b64 s[74:75], s[14:15]
	s_xor_b64 s[14:15], exec, s[74:75]
	s_cbranch_execz .LBB32_76
; %bb.75:                               ;   in Loop: Header=BB32_50 Depth=2
	v_add_f32_e64 v92, |v40|, |v40|
	v_mul_f32_e32 v150, 0x3fb8aa3b, v92
	v_rndne_f32_e32 v151, v150
	v_sub_f32_e32 v152, v150, v151
	v_fma_f32 v150, v92, s65, -v150
	v_fmac_f32_e32 v150, 0x32a5705f, v92
	v_add_f32_e32 v150, v152, v150
	v_cvt_i32_f32_e32 v151, v151
	v_exp_f32_e32 v150, v150
	v_cmp_ngt_f32_e32 vcc, s92, v92
	v_ldexp_f32 v150, v150, v151
	s_nop 0
	v_cndmask_b32_e32 v150, 0, v150, vcc
	v_cmp_nlt_f32_e32 vcc, s93, v92
	s_nop 1
	v_cndmask_b32_e32 v92, v224, v150, vcc
	v_add_f32_e32 v92, 1.0, v92
	v_rcp_f32_e32 v92, v92
	s_nop 0
	v_fma_f32 v150, v92, -2.0, 1.0
.LBB32_76:                              ;   in Loop: Header=BB32_50 Depth=2
	s_andn2_saveexec_b64 s[14:15], s[14:15]
; %bb.77:                               ;   in Loop: Header=BB32_50 Depth=2
	v_mul_f32_e32 v92, v40, v40
	v_fmamk_f32 v150, v92, 0xbbbac73d, v226
	v_fmaak_f32 v150, v92, v150, 0xbd5c1c4e
	v_fmaak_f32 v150, v92, v150, 0x3e088382
	;; [unrolled: 1-line block ×3, first 2 shown]
	v_mul_f32_e64 v150, |v40|, v150
	v_fma_f32 v150, v92, v150, |v40|
; %bb.78:                               ;   in Loop: Header=BB32_50 Depth=2
	s_or_b64 exec, exec, s[14:15]
	v_cmp_nlt_f32_e64 s[14:15], |v41|, s47
                                        ; implicit-def: $vgpr151
	s_and_saveexec_b64 s[74:75], s[14:15]
	s_xor_b64 s[14:15], exec, s[74:75]
	s_cbranch_execz .LBB32_80
; %bb.79:                               ;   in Loop: Header=BB32_50 Depth=2
	v_add_f32_e64 v92, |v41|, |v41|
	v_mul_f32_e32 v151, 0x3fb8aa3b, v92
	v_rndne_f32_e32 v152, v151
	v_sub_f32_e32 v153, v151, v152
	v_fma_f32 v151, v92, s65, -v151
	v_fmac_f32_e32 v151, 0x32a5705f, v92
	v_add_f32_e32 v151, v153, v151
	v_cvt_i32_f32_e32 v152, v152
	v_exp_f32_e32 v151, v151
	v_cmp_ngt_f32_e32 vcc, s92, v92
	v_ldexp_f32 v151, v151, v152
	s_nop 0
	v_cndmask_b32_e32 v151, 0, v151, vcc
	v_cmp_nlt_f32_e32 vcc, s93, v92
	s_nop 1
	v_cndmask_b32_e32 v92, v224, v151, vcc
	v_add_f32_e32 v92, 1.0, v92
	v_rcp_f32_e32 v92, v92
	s_nop 0
	v_fma_f32 v151, v92, -2.0, 1.0
.LBB32_80:                              ;   in Loop: Header=BB32_50 Depth=2
	s_andn2_saveexec_b64 s[14:15], s[14:15]
; %bb.81:                               ;   in Loop: Header=BB32_50 Depth=2
	v_mul_f32_e32 v92, v41, v41
	v_fmamk_f32 v151, v92, 0xbbbac73d, v226
	v_fmaak_f32 v151, v92, v151, 0xbd5c1c4e
	v_fmaak_f32 v151, v92, v151, 0x3e088382
	;; [unrolled: 1-line block ×3, first 2 shown]
	v_mul_f32_e64 v151, |v41|, v151
	v_fma_f32 v151, v92, v151, |v41|
; %bb.82:                               ;   in Loop: Header=BB32_50 Depth=2
	s_or_b64 exec, exec, s[14:15]
	v_bfi_b32 v92, s94, v102, v100
	v_bfi_b32 v100, s94, v34, v35
	v_add_u32_e32 v34, 0x8400, v204
	ds_read2_b32 v[34:35], v34 offset1:1
	v_bfi_b32 v37, s94, v147, v37
	v_bfi_b32 v36, s94, v146, v36
	;; [unrolled: 1-line block ×4, first 2 shown]
	s_waitcnt lgkmcnt(0)
	v_fma_mix_f32 v36, s3, v36, v35 op_sel_hi:[0,0,1]
	v_fma_mix_f32 v35, s3, v37, v35 op_sel:[0,0,1] op_sel_hi:[0,0,1]
	ds_read_b32 v37, v211 offset:33792
	v_fma_mix_f32 v92, s3, v92, v34 op_sel_hi:[0,0,1]
	v_fma_mix_f32 v34, s3, v100, v34 op_sel:[0,0,1] op_sel_hi:[0,0,1]
	v_bfi_b32 v40, s94, v150, v40
	v_bfi_b32 v41, s94, v151, v41
	s_waitcnt lgkmcnt(0)
	v_fma_mix_f32 v100, s3, v38, v37 op_sel_hi:[0,0,1]
	ds_read_b32 v38, v212 offset:33792
	v_fma_mix_f32 v37, s3, v39, v37 op_sel:[0,0,1] op_sel_hi:[0,0,1]
	s_mul_hi_i32 s15, s10, s34
	s_mul_i32 s14, s10, s34
	s_lshl_b64 s[14:15], s[14:15], 2
	s_waitcnt lgkmcnt(0)
	v_fma_mix_f32 v39, s3, v40, v38 op_sel_hi:[0,0,1]
	v_fma_mix_f32 v102, s3, v41, v38 op_sel:[0,0,1] op_sel_hi:[0,0,1]
	v_add_f32_e32 v38, 0x40051340, v92
	v_add_f32_e32 v40, 0x40051340, v34
	v_max3_f32 v38, v145, v38, v40
	v_add_f32_e32 v40, 0x40051340, v36
	v_add_f32_e32 v41, 0x40051340, v35
	v_max3_f32 v38, v38, v40, v41
	;; [unrolled: 3-line block ×4, first 2 shown]
	ds_bpermute_b32 v40, v125, v38
	s_add_i32 s72, s72, 1
	s_add_i32 s10, s10, 64
	s_waitcnt lgkmcnt(0)
	v_max_f32_e32 v40, v40, v40
	v_max_f32_e32 v38, v38, v40
	ds_bpermute_b32 v40, v185, v38
	s_waitcnt lgkmcnt(0)
	v_max_f32_e32 v40, v40, v40
	v_max_f32_e32 v38, v38, v40
	v_sub_f32_e32 v40, v92, v38
	v_mul_f32_e32 v41, 0x3fb8aa3b, v40
	v_fma_f32 v92, v40, s65, -v41
	v_rndne_f32_e32 v146, v41
	v_fmac_f32_e32 v92, 0x32a5705f, v40
	v_sub_f32_e32 v41, v41, v146
	v_add_f32_e32 v41, v41, v92
	v_exp_f32_e32 v41, v41
	v_cvt_i32_f32_e32 v92, v146
	v_cmp_ngt_f32_e32 vcc, s92, v40
	v_sub_f32_e32 v34, v34, v38
	v_sub_f32_e32 v36, v36, v38
	v_ldexp_f32 v41, v41, v92
	v_cndmask_b32_e32 v41, 0, v41, vcc
	v_cmp_nlt_f32_e32 vcc, s93, v40
	v_sub_f32_e32 v35, v35, v38
	s_nop 0
	v_cndmask_b32_e32 v40, v224, v41, vcc
	v_mul_f32_e32 v41, 0x3fb8aa3b, v34
	v_fma_f32 v92, v34, s65, -v41
	v_rndne_f32_e32 v146, v41
	v_fmac_f32_e32 v92, 0x32a5705f, v34
	v_sub_f32_e32 v41, v41, v146
	v_add_f32_e32 v41, v41, v92
	v_exp_f32_e32 v41, v41
	v_cvt_i32_f32_e32 v92, v146
	v_cmp_ngt_f32_e32 vcc, s92, v34
	v_ldexp_f32 v41, v41, v92
	v_mul_f32_e32 v92, 0x3fb8aa3b, v36
	v_fma_f32 v146, v36, s65, -v92
	v_rndne_f32_e32 v147, v92
	v_fmac_f32_e32 v146, 0x32a5705f, v36
	v_sub_f32_e32 v92, v92, v147
	v_add_f32_e32 v92, v92, v146
	v_exp_f32_e32 v92, v92
	v_cvt_i32_f32_e32 v146, v147
	v_cndmask_b32_e32 v41, 0, v41, vcc
	v_cmp_nlt_f32_e32 vcc, s93, v34
	v_ldexp_f32 v92, v92, v146
	s_nop 0
	v_cndmask_b32_e32 v41, v224, v41, vcc
	v_cmp_ngt_f32_e32 vcc, s92, v36
	v_add_f32_e32 v34, v40, v41
	s_nop 0
	v_cndmask_b32_e32 v92, 0, v92, vcc
	v_cmp_nlt_f32_e32 vcc, s93, v36
	v_mul_f32_e32 v36, 0x3fb8aa3b, v35
	v_rndne_f32_e32 v147, v36
	v_cndmask_b32_e32 v146, v224, v92, vcc
	v_fma_f32 v92, v35, s65, -v36
	v_fmac_f32_e32 v92, 0x32a5705f, v35
	v_sub_f32_e32 v36, v36, v147
	v_add_f32_e32 v36, v36, v92
	v_exp_f32_e32 v36, v36
	v_cvt_i32_f32_e32 v92, v147
	v_cmp_ngt_f32_e32 vcc, s92, v35
	v_add_f32_e32 v34, v146, v34
	v_ldexp_f32 v36, v36, v92
	v_cndmask_b32_e32 v36, 0, v36, vcc
	v_cmp_nlt_f32_e32 vcc, s93, v35
	v_sub_f32_e32 v35, v100, v38
	s_nop 0
	v_cndmask_b32_e32 v147, v224, v36, vcc
	v_mul_f32_e32 v36, 0x3fb8aa3b, v35
	v_fma_f32 v92, v35, s65, -v36
	v_rndne_f32_e32 v100, v36
	v_fmac_f32_e32 v92, 0x32a5705f, v35
	v_sub_f32_e32 v36, v36, v100
	v_add_f32_e32 v36, v36, v92
	v_exp_f32_e32 v36, v36
	v_cvt_i32_f32_e32 v92, v100
	v_cmp_ngt_f32_e32 vcc, s92, v35
	v_add_f32_e32 v34, v147, v34
	v_ldexp_f32 v36, v36, v92
	v_cndmask_b32_e32 v36, 0, v36, vcc
	v_cmp_nlt_f32_e32 vcc, s93, v35
	v_sub_f32_e32 v35, v37, v38
	s_nop 0
	v_cndmask_b32_e32 v148, v224, v36, vcc
	v_mul_f32_e32 v36, 0x3fb8aa3b, v35
	v_fma_f32 v37, v35, s65, -v36
	v_rndne_f32_e32 v92, v36
	;; [unrolled: 16-line block ×4, first 2 shown]
	v_fmac_f32_e32 v37, 0x32a5705f, v35
	v_sub_f32_e32 v36, v36, v39
	v_add_f32_e32 v36, v36, v37
	v_exp_f32_e32 v36, v36
	v_cvt_i32_f32_e32 v37, v39
	v_cmp_ngt_f32_e32 vcc, s92, v35
	v_add_f32_e32 v34, v150, v34
	v_ldexp_f32 v36, v36, v37
	v_cndmask_b32_e32 v36, 0, v36, vcc
	v_cmp_nlt_f32_e32 vcc, s93, v35
	s_nop 1
	v_cndmask_b32_e32 v100, v224, v36, vcc
	v_add_f32_e32 v39, v100, v34
	v_sub_f32_e32 v34, v145, v38
	v_mul_f32_e32 v35, 0x3fb8aa3b, v34
	v_fma_f32 v36, v34, s65, -v35
	v_rndne_f32_e32 v37, v35
	v_fmac_f32_e32 v36, 0x32a5705f, v34
	v_sub_f32_e32 v35, v35, v37
	v_add_f32_e32 v35, v35, v36
	v_exp_f32_e32 v35, v35
	v_cvt_i32_f32_e32 v36, v37
	v_cmp_ngt_f32_e32 vcc, s92, v34
	v_ldexp_f32 v35, v35, v36
	s_nop 0
	v_cndmask_b32_e32 v35, 0, v35, vcc
	v_cmp_nlt_f32_e32 vcc, s93, v34
	s_nop 1
	v_cndmask_b32_e32 v35, v224, v35, vcc
	v_cmp_le_f32_e32 vcc, s95, v34
	s_nop 1
	v_cndmask_b32_e32 v34, 0, v35, vcc
	v_fmac_f32_e32 v39, v144, v34
	v_cvt_f16_f32_e32 v34, v34
	v_cmp_lt_i32_e32 vcc, s72, v123
	s_and_b64 vcc, exec, vcc
	v_mul_u32_u24_e32 v34, 0x10001, v34
	v_pk_mul_f16 v131, v131, v34
	v_pk_mul_f16 v130, v130, v34
	;; [unrolled: 1-line block ×32, first 2 shown]
	v_lshl_add_u64 v[34:35], v[164:165], 0, s[14:15]
	v_lshl_add_u64 v[36:37], v[68:69], 2, v[34:35]
	;; [unrolled: 1-line block ×11, first 2 shown]
	global_load_dwordx4 v[34:37], v[36:37], off
	v_lshl_add_u64 v[138:139], v[138:139], 0, v[48:49]
	v_lshl_add_u64 v[140:141], v[140:141], 0, v[48:49]
	;; [unrolled: 1-line block ×6, first 2 shown]
	v_cvt_f32_f16_e32 v48, v131
	v_cvt_f32_f16_sdwa v92, v131 dst_sel:DWORD dst_unused:UNUSED_PAD src0_sel:WORD_1
	v_cvt_f32_f16_e32 v112, v130
	v_cvt_f32_f16_sdwa v130, v130 dst_sel:DWORD dst_unused:UNUSED_PAD src0_sel:WORD_1
	v_accvgpr_write_b32 a0, v48
	v_accvgpr_write_b32 a1, v92
	;; [unrolled: 1-line block ×4, first 2 shown]
	s_waitcnt vmcnt(0)
	ds_write_b128 v109, v[34:37]
	global_load_dwordx4 v[34:37], v[138:139], off
	s_waitcnt vmcnt(0)
	ds_write_b128 v254, v[34:37]
	global_load_dwordx4 v[34:37], v[140:141], off
	;; [unrolled: 3-line block ×3, first 2 shown]
	v_cvt_f32_f16_sdwa v143, v144 dst_sel:DWORD dst_unused:UNUSED_PAD src0_sel:WORD_1
	s_waitcnt vmcnt(0)
	ds_write_b128 v251, v[34:37]
	global_load_dwordx4 v[34:37], v[152:153], off
	s_waitcnt vmcnt(0)
	ds_write_b128 v250, v[34:37]
	global_load_dwordx4 v[34:37], v[154:155], off
	;; [unrolled: 3-line block ×3, first 2 shown]
	v_cvt_f32_f16_sdwa v157, v192 dst_sel:DWORD dst_unused:UNUSED_PAD src0_sel:WORD_1
	s_waitcnt vmcnt(0)
	ds_write_b128 v230, v[34:37]
	global_load_dwordx4 v[34:37], v[158:159], off
	v_cvt_f32_f16_e32 v158, v191
	v_cvt_f32_f16_sdwa v159, v191 dst_sel:DWORD dst_unused:UNUSED_PAD src0_sel:WORD_1
	s_waitcnt vmcnt(0)
	ds_write_b128 v108, v[34:37]
	s_waitcnt lgkmcnt(0)
	s_barrier
	ds_read_u16 v34, v205 offset:528
	ds_read_u16 v35, v205 offset:1056
	ds_read_u16 v36, v206
	ds_read_u16 v131, v206 offset:32
	v_cvt_pk_f16_f32 v37, v146, v147
	s_waitcnt lgkmcnt(1)
	v_perm_b32 v35, v36, v35, s96
	ds_read_u16 v36, v205
	ds_read_u16 v138, v205 offset:32
	ds_read_u16 v48, v205 offset:16896
	;; [unrolled: 1-line block ×5, first 2 shown]
	s_waitcnt lgkmcnt(5)
	v_perm_b32 v34, v34, v36, s96
	v_cvt_pk_f16_f32 v36, v40, v41
	s_nop 1
	v_mfma_f32_16x16x16_f16 a[0:3], v[34:35], v[36:37], a[0:3]
	s_nop 7
	v_accvgpr_read_b32 v34, a0
	v_accvgpr_read_b32 v35, a1
	;; [unrolled: 1-line block ×4, first 2 shown]
	v_cvt_f16_f32_e32 v34, v34
	v_cvt_f16_f32_e32 v35, v35
	v_cvt_f16_f32_e32 v40, v40
	v_cvt_f16_f32_e32 v41, v41
	v_cvt_f32_f16_e32 v139, v34
	v_cvt_f32_f16_e32 v140, v35
	;; [unrolled: 1-line block ×4, first 2 shown]
	s_waitcnt lgkmcnt(0)
	v_perm_b32 v41, v130, v112, s96
	v_perm_b32 v40, v92, v48, s96
	v_cvt_pk_f16_f32 v35, v150, v100
	ds_read_u16 v92, v205 offset:560
	ds_read_u16 v100, v205 offset:1088
	v_cvt_pk_f16_f32 v34, v148, v149
	v_accvgpr_write_b32 a0, v139
	v_accvgpr_write_b32 a1, v140
	;; [unrolled: 1-line block ×4, first 2 shown]
	v_cvt_f32_f16_e32 v130, v113
	v_cvt_f32_f16_sdwa v139, v113 dst_sel:DWORD dst_unused:UNUSED_PAD src0_sel:WORD_1
	v_mfma_f32_16x16x16_f16 a[0:3], v[40:41], v[34:35], a[0:3]
	v_cvt_f32_f16_e32 v140, v102
	v_cvt_f32_f16_sdwa v102, v102 dst_sel:DWORD dst_unused:UNUSED_PAD src0_sel:WORD_1
	s_waitcnt lgkmcnt(0)
	v_perm_b32 v113, v131, v100, s96
	v_perm_b32 v112, v92, v138, s96
	v_cvt_f32_f16_sdwa v141, v145 dst_sel:DWORD dst_unused:UNUSED_PAD src0_sel:WORD_1
	v_cvt_f32_f16_e32 v142, v144
	s_nop 0
	v_accvgpr_read_b32 v40, a0
	v_accvgpr_read_b32 v41, a1
	;; [unrolled: 1-line block ×4, first 2 shown]
	v_accvgpr_write_b32 a0, v130
	v_accvgpr_write_b32 a1, v139
	;; [unrolled: 1-line block ×4, first 2 shown]
	v_cvt_f32_f16_sdwa v140, v128 dst_sel:DWORD dst_unused:UNUSED_PAD src0_sel:WORD_1
	s_nop 0
	v_mfma_f32_16x16x16_f16 a[0:3], v[112:113], v[36:37], a[0:3]
	ds_read_u16 v130, v205 offset:16928
	ds_read_u16 v131, v205 offset:17456
	;; [unrolled: 1-line block ×4, first 2 shown]
	s_waitcnt lgkmcnt(0)
	v_perm_b32 v113, v138, v113, s96
	s_nop 1
	v_accvgpr_read_b32 v92, a0
	v_accvgpr_read_b32 v100, a1
	;; [unrolled: 1-line block ×4, first 2 shown]
	v_cvt_f16_f32_e32 v92, v92
	v_cvt_f16_f32_e32 v100, v100
	;; [unrolled: 1-line block ×4, first 2 shown]
	v_cvt_f32_f16_e32 v92, v92
	v_cvt_f32_f16_e32 v100, v100
	;; [unrolled: 1-line block ×4, first 2 shown]
	v_perm_b32 v112, v131, v130, s96
	v_accvgpr_write_b32 a0, v92
	v_accvgpr_write_b32 a1, v100
	;; [unrolled: 1-line block ×4, first 2 shown]
	v_cvt_f32_f16_sdwa v130, v101 dst_sel:DWORD dst_unused:UNUSED_PAD src0_sel:WORD_1
	v_cvt_f32_f16_e32 v131, v97
	v_mfma_f32_16x16x16_f16 a[0:3], v[112:113], v[34:35], a[0:3]
	ds_read_u16 v92, v205 offset:64
	ds_read_u16 v100, v205 offset:592
	;; [unrolled: 1-line block ×4, first 2 shown]
	v_cvt_f32_f16_e32 v113, v101
	v_cvt_f32_f16_sdwa v97, v97 dst_sel:DWORD dst_unused:UNUSED_PAD src0_sel:WORD_1
	s_waitcnt lgkmcnt(2)
	v_perm_b32 v100, v100, v92, s96
	v_cvt_f32_f16_e32 v139, v88
	s_waitcnt lgkmcnt(0)
	v_perm_b32 v101, v112, v102, s96
	v_accvgpr_read_b32 v187, a0
	v_accvgpr_read_b32 v188, a1
	;; [unrolled: 1-line block ×4, first 2 shown]
	v_accvgpr_write_b32 a0, v113
	v_accvgpr_write_b32 a1, v130
	;; [unrolled: 1-line block ×4, first 2 shown]
	ds_read_u16 v102, v205 offset:16960
	ds_read_u16 v112, v205 offset:17488
	ds_read_u16 v113, v205 offset:18016
	ds_read_u16 v130, v206 offset:16960
	v_mfma_f32_16x16x16_f16 a[0:3], v[100:101], v[36:37], a[0:3]
	v_cvt_f32_f16_sdwa v88, v88 dst_sel:DWORD dst_unused:UNUSED_PAD src0_sel:WORD_1
	s_nop 6
	v_accvgpr_read_b32 v92, a0
	v_accvgpr_read_b32 v97, a1
	;; [unrolled: 1-line block ×4, first 2 shown]
	v_cvt_f16_f32_e32 v92, v92
	v_cvt_f16_f32_e32 v97, v97
	;; [unrolled: 1-line block ×4, first 2 shown]
	v_cvt_f32_f16_e32 v92, v92
	v_cvt_f32_f16_e32 v97, v97
	;; [unrolled: 1-line block ×4, first 2 shown]
	s_waitcnt lgkmcnt(0)
	v_perm_b32 v101, v130, v113, s96
	v_perm_b32 v100, v112, v102, s96
	v_accvgpr_write_b32 a0, v92
	v_accvgpr_write_b32 a1, v97
	;; [unrolled: 1-line block ×4, first 2 shown]
	v_cvt_f32_f16_e32 v102, v93
	v_cvt_f32_f16_sdwa v93, v93 dst_sel:DWORD dst_unused:UNUSED_PAD src0_sel:WORD_1
	v_mfma_f32_16x16x16_f16 a[0:3], v[100:101], v[34:35], a[0:3]
	ds_read_u16 v92, v205 offset:96
	ds_read_u16 v97, v205 offset:624
	;; [unrolled: 1-line block ×4, first 2 shown]
	v_cvt_f32_f16_e32 v112, v43
	v_cvt_f32_f16_sdwa v43, v43 dst_sel:DWORD dst_unused:UNUSED_PAD src0_sel:WORD_1
	v_cvt_f32_f16_e32 v130, v99
	v_cvt_f32_f16_sdwa v99, v99 dst_sel:DWORD dst_unused:UNUSED_PAD src0_sel:WORD_1
	s_waitcnt lgkmcnt(0)
	v_perm_b32 v101, v101, v100, s96
	v_perm_b32 v100, v97, v92, s96
	v_accvgpr_read_b32 v193, a0
	v_accvgpr_read_b32 v194, a1
	;; [unrolled: 1-line block ×4, first 2 shown]
	v_accvgpr_write_b32 a0, v102
	v_accvgpr_write_b32 a1, v93
	;; [unrolled: 1-line block ×4, first 2 shown]
	v_cvt_f32_f16_e32 v131, v91
	v_cvt_f32_f16_sdwa v91, v91 dst_sel:DWORD dst_unused:UNUSED_PAD src0_sel:WORD_1
	v_mfma_f32_16x16x16_f16 a[0:3], v[100:101], v[36:37], a[0:3]
	ds_read_u16 v100, v205 offset:16992
	ds_read_u16 v102, v205 offset:17520
	;; [unrolled: 1-line block ×4, first 2 shown]
	v_cvt_f32_f16_e32 v138, v95
	v_cvt_f32_f16_sdwa v95, v95 dst_sel:DWORD dst_unused:UNUSED_PAD src0_sel:WORD_1
	s_waitcnt lgkmcnt(2)
	v_perm_b32 v100, v102, v100, s96
	s_waitcnt lgkmcnt(0)
	v_perm_b32 v101, v112, v101, s96
	v_accvgpr_read_b32 v43, a0
	v_accvgpr_read_b32 v92, a1
	;; [unrolled: 1-line block ×4, first 2 shown]
	v_cvt_f16_f32_e32 v43, v43
	v_cvt_f16_f32_e32 v92, v92
	;; [unrolled: 1-line block ×4, first 2 shown]
	v_cvt_f32_f16_e32 v43, v43
	v_cvt_f32_f16_e32 v92, v92
	;; [unrolled: 1-line block ×4, first 2 shown]
	v_accvgpr_write_b32 a0, v43
	v_accvgpr_write_b32 a1, v92
	;; [unrolled: 1-line block ×4, first 2 shown]
	s_nop 1
	v_mfma_f32_16x16x16_f16 a[0:3], v[100:101], v[34:35], a[0:3]
	ds_read_u16 v92, v205 offset:128
	ds_read_u16 v100, v205 offset:656
	;; [unrolled: 1-line block ×4, first 2 shown]
	s_waitcnt lgkmcnt(0)
	v_perm_b32 v113, v112, v102, s96
	v_perm_b32 v112, v100, v92, s96
	s_nop 0
	v_accvgpr_read_b32 v43, a0
	v_accvgpr_read_b32 v93, a1
	;; [unrolled: 1-line block ×4, first 2 shown]
	v_accvgpr_write_b32 a0, v130
	v_accvgpr_write_b32 a1, v99
	;; [unrolled: 1-line block ×4, first 2 shown]
	v_cvt_pk_f16_f32 v93, v43, v93
	v_cvt_pk_f16_f32 v43, v101, v97
	v_mfma_f32_16x16x16_f16 a[0:3], v[112:113], v[36:37], a[0:3]
	ds_read_u16 v102, v205 offset:17024
	ds_read_u16 v112, v205 offset:17552
	;; [unrolled: 1-line block ×4, first 2 shown]
	v_cvt_pk_f16_f32 v101, v193, v194
	v_cvt_pk_f16_f32 v97, v195, v196
	s_waitcnt lgkmcnt(2)
	v_perm_b32 v112, v112, v102, s96
	s_waitcnt lgkmcnt(0)
	v_perm_b32 v113, v130, v113, s96
	v_accvgpr_read_b32 v92, a1
	v_accvgpr_read_b32 v99, a2
	;; [unrolled: 1-line block ×3, first 2 shown]
	v_cvt_f16_f32_e32 v92, v92
	v_cvt_f16_f32_e32 v99, v99
	;; [unrolled: 1-line block ×3, first 2 shown]
	v_accvgpr_read_b32 v91, a0
	v_cvt_f16_f32_e32 v91, v91
	v_cvt_f32_f16_e32 v92, v92
	v_cvt_f32_f16_e32 v99, v99
	;; [unrolled: 1-line block ×4, first 2 shown]
	v_accvgpr_write_b32 a1, v92
	v_accvgpr_write_b32 a2, v99
	;; [unrolled: 1-line block ×3, first 2 shown]
	ds_read_u16 v92, v205 offset:160
	ds_read_u16 v99, v205 offset:688
	;; [unrolled: 1-line block ×4, first 2 shown]
	v_accvgpr_write_b32 a0, v91
	s_waitcnt lgkmcnt(2)
	v_perm_b32 v130, v99, v92, s96
	v_mfma_f32_16x16x16_f16 a[0:3], v[112:113], v[34:35], a[0:3]
	s_waitcnt lgkmcnt(0)
	v_perm_b32 v131, v102, v100, s96
	s_nop 5
	v_accvgpr_read_b32 v112, a0
	v_accvgpr_read_b32 v113, a1
	;; [unrolled: 1-line block ×4, first 2 shown]
	v_accvgpr_write_b32 a0, v138
	v_accvgpr_write_b32 a1, v95
	v_accvgpr_write_b32 a2, v139
	v_accvgpr_write_b32 a3, v88
	v_cvt_f32_f16_sdwa v138, v129 dst_sel:DWORD dst_unused:UNUSED_PAD src0_sel:WORD_1
	v_cvt_f32_f16_e32 v139, v128
	v_mfma_f32_16x16x16_f16 a[0:3], v[130:131], v[36:37], a[0:3]
	ds_read_u16 v100, v205 offset:17056
	ds_read_u16 v102, v205 offset:17584
	;; [unrolled: 1-line block ×4, first 2 shown]
	v_cvt_pk_f16_f32 v91, v199, v91
	s_waitcnt lgkmcnt(0)
	v_perm_b32 v131, v131, v130, s96
	s_nop 0
	v_accvgpr_read_b32 v88, a0
	v_accvgpr_read_b32 v92, a1
	;; [unrolled: 1-line block ×4, first 2 shown]
	v_cvt_f16_f32_e32 v88, v88
	v_cvt_f16_f32_e32 v92, v92
	;; [unrolled: 1-line block ×4, first 2 shown]
	v_cvt_f32_f16_e32 v88, v88
	v_cvt_f32_f16_e32 v92, v92
	;; [unrolled: 1-line block ×4, first 2 shown]
	v_perm_b32 v130, v102, v100, s96
	v_accvgpr_write_b32 a0, v88
	v_accvgpr_write_b32 a1, v92
	;; [unrolled: 1-line block ×4, first 2 shown]
	s_nop 1
	v_mfma_f32_16x16x16_f16 a[0:3], v[130:131], v[34:35], a[0:3]
	ds_read_u16 v92, v205 offset:192
	ds_read_u16 v100, v205 offset:720
	;; [unrolled: 1-line block ×4, first 2 shown]
	v_cvt_f32_f16_e32 v131, v129
	s_waitcnt lgkmcnt(2)
	v_perm_b32 v128, v100, v92, s96
	s_waitcnt lgkmcnt(0)
	v_perm_b32 v129, v130, v102, s96
	v_accvgpr_read_b32 v88, a0
	v_accvgpr_read_b32 v95, a1
	;; [unrolled: 1-line block ×4, first 2 shown]
	v_accvgpr_write_b32 a0, v131
	v_accvgpr_write_b32 a1, v138
	;; [unrolled: 1-line block ×4, first 2 shown]
	v_cvt_f32_f16_e32 v140, v145
	v_cvt_pk_f16_f32 v95, v88, v95
	v_mfma_f32_16x16x16_f16 a[0:3], v[128:129], v[36:37], a[0:3]
	ds_read_u16 v130, v205 offset:17088
	ds_read_u16 v131, v205 offset:17616
	;; [unrolled: 1-line block ×4, first 2 shown]
	v_cvt_pk_f16_f32 v88, v99, v200
	v_cvt_pk_f16_f32 v99, v112, v113
	;; [unrolled: 1-line block ×4, first 2 shown]
	v_accvgpr_read_b32 v92, a0
	v_accvgpr_read_b32 v100, a1
	;; [unrolled: 1-line block ×3, first 2 shown]
	v_cvt_f16_f32_e32 v92, v92
	v_cvt_f16_f32_e32 v100, v100
	;; [unrolled: 1-line block ×3, first 2 shown]
	v_accvgpr_read_b32 v128, a3
	v_cvt_f16_f32_e32 v128, v128
	v_cvt_f32_f16_e32 v92, v92
	v_cvt_f32_f16_e32 v100, v100
	;; [unrolled: 1-line block ×4, first 2 shown]
	s_waitcnt lgkmcnt(0)
	v_perm_b32 v129, v138, v129, s96
	v_perm_b32 v128, v131, v130, s96
	v_accvgpr_write_b32 a0, v92
	v_accvgpr_write_b32 a1, v100
	;; [unrolled: 1-line block ×3, first 2 shown]
	ds_read_u16 v92, v205 offset:224
	ds_read_u16 v100, v205 offset:752
	;; [unrolled: 1-line block ×4, first 2 shown]
	v_accvgpr_write_b32 a3, v139
	s_waitcnt lgkmcnt(0)
	v_perm_b32 v139, v138, v102, s96
	v_mfma_f32_16x16x16_f16 a[0:3], v[128:129], v[34:35], a[0:3]
	v_perm_b32 v138, v100, v92, s96
	s_nop 6
	v_accvgpr_read_b32 v128, a0
	v_accvgpr_read_b32 v129, a1
	;; [unrolled: 1-line block ×4, first 2 shown]
	v_accvgpr_write_b32 a0, v140
	v_accvgpr_write_b32 a1, v141
	;; [unrolled: 1-line block ×4, first 2 shown]
	ds_read_u16 v141, v205 offset:17120
	ds_read_u16 v143, v205 offset:17648
	ds_read_u16 v102, v205 offset:18176
	ds_read_u16 v100, v206 offset:17120
	v_mfma_f32_16x16x16_f16 a[0:3], v[138:139], v[36:37], a[0:3]
	v_cvt_pk_f16_f32 v129, v128, v129
	v_cvt_pk_f16_f32 v128, v130, v131
	;; [unrolled: 1-line block ×4, first 2 shown]
	s_nop 3
	v_accvgpr_read_b32 v92, a0
	v_cvt_f16_f32_e32 v138, v92
	v_accvgpr_read_b32 v92, a1
	v_cvt_f16_f32_e32 v139, v92
	;; [unrolled: 2-line block ×4, first 2 shown]
	v_cvt_f32_f16_e32 v92, v138
	v_cvt_f32_f16_e32 v144, v139
	;; [unrolled: 1-line block ×4, first 2 shown]
	s_waitcnt lgkmcnt(0)
	v_perm_b32 v139, v100, v102, s96
	v_perm_b32 v138, v143, v141, s96
	v_accvgpr_write_b32 a0, v92
	v_accvgpr_write_b32 a1, v144
	;; [unrolled: 1-line block ×4, first 2 shown]
	v_cvt_f32_f16_sdwa v140, v137 dst_sel:DWORD dst_unused:UNUSED_PAD src0_sel:WORD_1
	v_cvt_f32_f16_e32 v141, v136
	v_mfma_f32_16x16x16_f16 a[0:3], v[138:139], v[34:35], a[0:3]
	ds_read_u16 v92, v205 offset:256
	ds_read_u16 v100, v205 offset:784
	;; [unrolled: 1-line block ×4, first 2 shown]
	v_cvt_f32_f16_e32 v139, v137
	v_cvt_f32_f16_sdwa v142, v136 dst_sel:DWORD dst_unused:UNUSED_PAD src0_sel:WORD_1
	s_waitcnt lgkmcnt(2)
	v_perm_b32 v136, v100, v92, s96
	v_cvt_f32_f16_sdwa v143, v197 dst_sel:DWORD dst_unused:UNUSED_PAD src0_sel:WORD_1
	s_waitcnt lgkmcnt(0)
	v_perm_b32 v137, v138, v102, s96
	v_accvgpr_read_b32 v201, a0
	v_accvgpr_read_b32 v202, a1
	v_accvgpr_read_b32 v203, a2
	v_accvgpr_read_b32 v217, a3
	v_accvgpr_write_b32 a0, v139
	v_accvgpr_write_b32 a1, v140
	v_accvgpr_write_b32 a2, v141
	v_accvgpr_write_b32 a3, v142
	v_cvt_f32_f16_sdwa v142, v134 dst_sel:DWORD dst_unused:UNUSED_PAD src0_sel:WORD_1
	s_nop 0
	v_mfma_f32_16x16x16_f16 a[0:3], v[136:137], v[36:37], a[0:3]
	ds_read_u16 v138, v205 offset:17152
	ds_read_u16 v139, v205 offset:17680
	ds_read_u16 v137, v205 offset:18208
	ds_read_u16 v140, v206 offset:17152
	s_waitcnt lgkmcnt(0)
	v_perm_b32 v137, v140, v137, s96
	s_nop 1
	v_accvgpr_read_b32 v92, a0
	v_accvgpr_read_b32 v100, a1
	v_accvgpr_read_b32 v102, a2
	v_cvt_f16_f32_e32 v92, v92
	v_cvt_f16_f32_e32 v100, v100
	v_cvt_f16_f32_e32 v102, v102
	v_accvgpr_read_b32 v136, a3
	v_cvt_f16_f32_e32 v136, v136
	v_cvt_f32_f16_e32 v92, v92
	v_cvt_f32_f16_e32 v100, v100
	v_cvt_f32_f16_e32 v102, v102
	v_cvt_f32_f16_e32 v141, v136
	v_perm_b32 v136, v139, v138, s96
	v_accvgpr_write_b32 a0, v92
	v_accvgpr_write_b32 a1, v100
	v_accvgpr_write_b32 a2, v102
	ds_read_u16 v92, v205 offset:288
	ds_read_u16 v100, v205 offset:816
	ds_read_u16 v102, v205 offset:1344
	ds_read_u16 v138, v206 offset:288
	v_accvgpr_write_b32 a3, v141
	v_cvt_f32_f16_e32 v139, v135
	v_cvt_f32_f16_sdwa v140, v135 dst_sel:DWORD dst_unused:UNUSED_PAD src0_sel:WORD_1
	v_mfma_f32_16x16x16_f16 a[0:3], v[136:137], v[34:35], a[0:3]
	v_cvt_f32_f16_e32 v141, v134
	s_waitcnt lgkmcnt(0)
	v_perm_b32 v135, v138, v102, s96
	v_perm_b32 v134, v100, v92, s96
	s_nop 3
	v_accvgpr_read_b32 v136, a0
	v_accvgpr_read_b32 v137, a1
	v_accvgpr_read_b32 v144, a2
	v_accvgpr_read_b32 v145, a3
	v_accvgpr_write_b32 a0, v139
	v_accvgpr_write_b32 a1, v140
	v_accvgpr_write_b32 a2, v141
	v_accvgpr_write_b32 a3, v142
	v_cvt_f32_f16_sdwa v142, v132 dst_sel:DWORD dst_unused:UNUSED_PAD src0_sel:WORD_1
	s_nop 0
	v_mfma_f32_16x16x16_f16 a[0:3], v[134:135], v[36:37], a[0:3]
	ds_read_u16 v138, v205 offset:17184
	ds_read_u16 v139, v205 offset:17712
	ds_read_u16 v135, v205 offset:18240
	ds_read_u16 v140, v206 offset:17184
	s_waitcnt lgkmcnt(0)
	v_perm_b32 v135, v140, v135, s96
	s_nop 1
	v_accvgpr_read_b32 v92, a0
	v_accvgpr_read_b32 v100, a1
	v_accvgpr_read_b32 v102, a2
	v_cvt_f16_f32_e32 v92, v92
	v_cvt_f16_f32_e32 v100, v100
	v_cvt_f16_f32_e32 v102, v102
	v_accvgpr_read_b32 v134, a3
	v_cvt_f16_f32_e32 v134, v134
	v_cvt_f32_f16_e32 v92, v92
	v_cvt_f32_f16_e32 v100, v100
	v_cvt_f32_f16_e32 v102, v102
	v_cvt_f32_f16_e32 v141, v134
	v_perm_b32 v134, v139, v138, s96
	v_accvgpr_write_b32 a0, v92
	v_accvgpr_write_b32 a1, v100
	v_accvgpr_write_b32 a2, v102
	ds_read_u16 v92, v205 offset:320
	ds_read_u16 v100, v205 offset:848
	ds_read_u16 v102, v205 offset:1376
	ds_read_u16 v138, v206 offset:320
	v_accvgpr_write_b32 a3, v141
	v_cvt_f32_f16_e32 v139, v133
	v_cvt_f32_f16_sdwa v140, v133 dst_sel:DWORD dst_unused:UNUSED_PAD src0_sel:WORD_1
	v_mfma_f32_16x16x16_f16 a[0:3], v[134:135], v[34:35], a[0:3]
	v_cvt_f32_f16_e32 v141, v132
	s_waitcnt lgkmcnt(0)
	v_perm_b32 v133, v138, v102, s96
	v_perm_b32 v132, v100, v92, s96
	s_nop 3
	;; [unrolled: 47-line block ×3, first 2 shown]
	v_accvgpr_read_b32 v132, a0
	v_accvgpr_read_b32 v133, a1
	;; [unrolled: 1-line block ×4, first 2 shown]
	v_accvgpr_write_b32 a0, v139
	v_accvgpr_write_b32 a1, v140
	;; [unrolled: 1-line block ×4, first 2 shown]
	v_cvt_f32_f16_e32 v142, v197
	s_nop 0
	v_mfma_f32_16x16x16_f16 a[0:3], v[126:127], v[36:37], a[0:3]
	ds_read_u16 v138, v205 offset:17248
	ds_read_u16 v139, v205 offset:17776
	;; [unrolled: 1-line block ×4, first 2 shown]
	s_waitcnt lgkmcnt(0)
	v_perm_b32 v127, v140, v127, s96
	s_nop 1
	v_accvgpr_read_b32 v92, a0
	v_accvgpr_read_b32 v100, a1
	;; [unrolled: 1-line block ×3, first 2 shown]
	v_cvt_f16_f32_e32 v92, v92
	v_cvt_f16_f32_e32 v100, v100
	;; [unrolled: 1-line block ×3, first 2 shown]
	v_accvgpr_read_b32 v126, a3
	v_cvt_f16_f32_e32 v126, v126
	v_cvt_f32_f16_e32 v92, v92
	v_cvt_f32_f16_e32 v100, v100
	;; [unrolled: 1-line block ×4, first 2 shown]
	v_perm_b32 v126, v139, v138, s96
	v_accvgpr_write_b32 a0, v92
	v_accvgpr_write_b32 a1, v100
	;; [unrolled: 1-line block ×3, first 2 shown]
	ds_read_u16 v92, v205 offset:384
	ds_read_u16 v100, v205 offset:912
	;; [unrolled: 1-line block ×4, first 2 shown]
	v_accvgpr_write_b32 a3, v141
	v_cvt_f32_f16_e32 v140, v51
	v_cvt_f32_f16_sdwa v51, v51 dst_sel:DWORD dst_unused:UNUSED_PAD src0_sel:WORD_1
	v_mfma_f32_16x16x16_f16 a[0:3], v[126:127], v[34:35], a[0:3]
	v_cvt_f32_f16_e32 v141, v1
	v_cvt_f32_f16_sdwa v1, v1 dst_sel:DWORD dst_unused:UNUSED_PAD src0_sel:WORD_1
	s_waitcnt lgkmcnt(0)
	v_perm_b32 v139, v138, v102, s96
	v_perm_b32 v138, v100, v92, s96
	s_nop 2
	v_accvgpr_read_b32 v126, a0
	v_accvgpr_read_b32 v127, a1
	v_accvgpr_read_b32 v150, a2
	v_accvgpr_read_b32 v151, a3
	v_accvgpr_write_b32 a0, v140
	v_accvgpr_write_b32 a1, v51
	;; [unrolled: 1-line block ×4, first 2 shown]
	v_cvt_f32_f16_sdwa v141, v198 dst_sel:DWORD dst_unused:UNUSED_PAD src0_sel:WORD_1
	v_cvt_pk_f16_f32 v127, v126, v127
	v_mfma_f32_16x16x16_f16 a[0:3], v[138:139], v[36:37], a[0:3]
	ds_read_u16 v102, v205 offset:17280
	ds_read_u16 v138, v205 offset:17808
	ds_read_u16 v139, v205 offset:18336
	ds_read_u16 v140, v206 offset:17280
	v_cvt_pk_f16_f32 v126, v150, v151
	s_waitcnt lgkmcnt(2)
	v_perm_b32 v138, v138, v102, s96
	s_waitcnt lgkmcnt(0)
	v_perm_b32 v139, v140, v139, s96
	v_accvgpr_read_b32 v1, a0
	v_accvgpr_read_b32 v51, a1
	;; [unrolled: 1-line block ×4, first 2 shown]
	v_cvt_f16_f32_e32 v1, v1
	v_cvt_f16_f32_e32 v51, v51
	;; [unrolled: 1-line block ×4, first 2 shown]
	v_cvt_f32_f16_e32 v1, v1
	v_cvt_f32_f16_e32 v51, v51
	;; [unrolled: 1-line block ×4, first 2 shown]
	v_accvgpr_write_b32 a0, v1
	v_accvgpr_write_b32 a1, v51
	;; [unrolled: 1-line block ×4, first 2 shown]
	v_cvt_f32_f16_e32 v140, v198
	s_nop 0
	v_mfma_f32_16x16x16_f16 a[0:3], v[138:139], v[34:35], a[0:3]
	ds_read_u16 v92, v205 offset:416
	ds_read_u16 v100, v205 offset:944
	;; [unrolled: 1-line block ×4, first 2 shown]
	s_waitcnt lgkmcnt(0)
	v_perm_b32 v139, v138, v102, s96
	v_perm_b32 v138, v100, v92, s96
	s_nop 0
	v_accvgpr_read_b32 v1, a0
	v_accvgpr_read_b32 v51, a1
	;; [unrolled: 1-line block ×4, first 2 shown]
	v_accvgpr_write_b32 a0, v140
	v_accvgpr_write_b32 a1, v141
	;; [unrolled: 1-line block ×4, first 2 shown]
	s_nop 1
	v_mfma_f32_16x16x16_f16 a[0:3], v[138:139], v[36:37], a[0:3]
	ds_read_u16 v140, v205 offset:17312
	ds_read_u16 v141, v205 offset:17840
	;; [unrolled: 1-line block ×4, first 2 shown]
	s_waitcnt lgkmcnt(0)
	v_perm_b32 v139, v142, v139, s96
	s_nop 1
	v_accvgpr_read_b32 v92, a0
	v_accvgpr_read_b32 v100, a1
	;; [unrolled: 1-line block ×4, first 2 shown]
	v_cvt_f16_f32_e32 v92, v92
	v_cvt_f16_f32_e32 v100, v100
	;; [unrolled: 1-line block ×4, first 2 shown]
	v_cvt_f32_f16_e32 v92, v92
	v_cvt_f32_f16_e32 v100, v100
	;; [unrolled: 1-line block ×4, first 2 shown]
	v_perm_b32 v138, v141, v140, s96
	v_accvgpr_write_b32 a0, v92
	v_accvgpr_write_b32 a1, v100
	;; [unrolled: 1-line block ×4, first 2 shown]
	v_cvt_f32_f16_e32 v140, v90
	v_cvt_f32_f16_sdwa v90, v90 dst_sel:DWORD dst_unused:UNUSED_PAD src0_sel:WORD_1
	v_mfma_f32_16x16x16_f16 a[0:3], v[138:139], v[34:35], a[0:3]
	ds_read_u16 v92, v205 offset:448
	ds_read_u16 v100, v205 offset:976
	;; [unrolled: 1-line block ×4, first 2 shown]
	v_cvt_f32_f16_e32 v141, v89
	v_cvt_f32_f16_sdwa v89, v89 dst_sel:DWORD dst_unused:UNUSED_PAD src0_sel:WORD_1
	s_waitcnt lgkmcnt(0)
	v_perm_b32 v139, v138, v102, s96
	v_perm_b32 v138, v100, v92, s96
	v_accvgpr_read_b32 v142, a0
	v_accvgpr_read_b32 v143, a1
	v_accvgpr_read_b32 v154, a2
	v_accvgpr_read_b32 v155, a3
	v_accvgpr_write_b32 a0, v140
	v_accvgpr_write_b32 a1, v90
	v_accvgpr_write_b32 a2, v141
	v_accvgpr_write_b32 a3, v89
	v_cvt_f32_f16_e32 v141, v192
	v_cvt_pk_f16_f32 v143, v142, v143
	v_mfma_f32_16x16x16_f16 a[0:3], v[138:139], v[36:37], a[0:3]
	ds_read_u16 v102, v205 offset:17344
	ds_read_u16 v138, v205 offset:17872
	;; [unrolled: 1-line block ×4, first 2 shown]
	v_cvt_pk_f16_f32 v142, v154, v155
	s_waitcnt lgkmcnt(2)
	v_perm_b32 v138, v138, v102, s96
	s_waitcnt lgkmcnt(0)
	v_perm_b32 v139, v140, v139, s96
	v_accvgpr_read_b32 v89, a0
	v_accvgpr_read_b32 v90, a1
	;; [unrolled: 1-line block ×4, first 2 shown]
	v_cvt_f16_f32_e32 v89, v89
	v_cvt_f16_f32_e32 v90, v90
	;; [unrolled: 1-line block ×4, first 2 shown]
	v_cvt_f32_f16_e32 v89, v89
	v_cvt_f32_f16_e32 v90, v90
	;; [unrolled: 1-line block ×4, first 2 shown]
	v_accvgpr_write_b32 a0, v89
	v_accvgpr_write_b32 a1, v90
	;; [unrolled: 1-line block ×4, first 2 shown]
	s_nop 1
	v_mfma_f32_16x16x16_f16 a[0:3], v[138:139], v[34:35], a[0:3]
	ds_read_u16 v92, v205 offset:480
	ds_read_u16 v100, v205 offset:1008
	;; [unrolled: 1-line block ×4, first 2 shown]
	s_waitcnt lgkmcnt(0)
	v_perm_b32 v139, v138, v102, s96
	v_perm_b32 v138, v100, v92, s96
	s_nop 0
	v_accvgpr_read_b32 v89, a0
	v_accvgpr_read_b32 v90, a1
	;; [unrolled: 1-line block ×4, first 2 shown]
	v_accvgpr_write_b32 a0, v141
	v_accvgpr_write_b32 a1, v157
	;; [unrolled: 1-line block ×4, first 2 shown]
	v_cvt_pk_f16_f32 v140, v140, v156
	s_nop 0
	v_mfma_f32_16x16x16_f16 a[0:3], v[138:139], v[36:37], a[0:3]
	ds_read_u16 v139, v205 offset:17376
	ds_read_u16 v157, v205 offset:17904
	;; [unrolled: 1-line block ×4, first 2 shown]
	s_waitcnt lgkmcnt(0)
	s_barrier
	s_nop 1
	v_accvgpr_read_b32 v92, a2
	v_accvgpr_read_b32 v36, a0
	;; [unrolled: 1-line block ×3, first 2 shown]
	v_cvt_f16_f32_e32 v138, v92
	v_accvgpr_read_b32 v92, a3
	v_cvt_f16_f32_e32 v36, v36
	v_cvt_f16_f32_e32 v37, v37
	;; [unrolled: 1-line block ×3, first 2 shown]
	v_cvt_f32_f16_e32 v138, v138
	v_cvt_f32_f16_e32 v92, v36
	;; [unrolled: 1-line block ×4, first 2 shown]
	v_perm_b32 v37, v100, v102, s96
	v_perm_b32 v36, v157, v139, s96
	v_accvgpr_write_b32 a0, v92
	v_accvgpr_write_b32 a1, v158
	;; [unrolled: 1-line block ×4, first 2 shown]
	v_cvt_pk_f16_f32 v141, v89, v90
	v_cvt_pk_f16_f32 v90, v1, v51
	v_mfma_f32_16x16x16_f16 a[0:3], v[36:37], v[34:35], a[0:3]
	v_cvt_pk_f16_f32 v89, v152, v153
	v_cvt_pk_f16_f32 v51, v132, v133
	;; [unrolled: 1-line block ×8, first 2 shown]
	v_accvgpr_read_b32 v34, a0
	v_accvgpr_read_b32 v35, a1
	;; [unrolled: 1-line block ×4, first 2 shown]
	v_cvt_pk_f16_f32 v138, v34, v35
	v_cvt_pk_f16_f32 v139, v36, v37
	;; [unrolled: 1-line block ×3, first 2 shown]
	s_cbranch_vccz .LBB32_86
; %bb.83:                               ;   in Loop: Header=BB32_50 Depth=2
	v_mov_b32_e32 v144, v39
	v_mov_b32_e32 v145, v38
	s_ashr_i32 s11, s10, 31
	s_and_saveexec_b64 s[14:15], s[4:5]
	s_cbranch_execnz .LBB32_49
	s_branch .LBB32_50
.LBB32_84:                              ;   in Loop: Header=BB32_12 Depth=1
	s_cbranch_execz .LBB32_11
	s_branch .LBB32_211
.LBB32_85:                              ;   in Loop: Header=BB32_12 Depth=1
	v_mov_b32_e32 v38, 0xfeffffff
	v_mov_b32_e32 v39, 0
	;; [unrolled: 1-line block ×34, first 2 shown]
.LBB32_86:                              ;   in Loop: Header=BB32_12 Depth=1
	s_lshl_b32 s10, s72, 6
	s_ashr_i32 s11, s10, 31
	s_and_saveexec_b64 s[14:15], s[4:5]
	s_cbranch_execz .LBB32_88
; %bb.87:                               ;   in Loop: Header=BB32_12 Depth=1
	v_or_b32_e32 v36, v117, v107
	v_mul_hi_u32 v37, s44, v36
	v_add_u32_e32 v37, v36, v37
	v_lshrrev_b32_e32 v37, s45, v37
	v_mul_lo_u32 v37, v37, s36
	s_lshl_b64 s[72:73], s[10:11], 1
	v_sub_u32_e32 v36, v36, v37
	v_lshl_add_u64 v[34:35], v[168:169], 0, s[72:73]
	v_mad_i64_i32 v[36:37], s[72:73], v36, s46, 0
	v_lshl_add_u64 v[34:35], v[36:37], 1, v[34:35]
	v_lshlrev_b32_e32 v48, 1, v50
	v_lshl_add_u64 v[34:35], v[34:35], 0, v[48:49]
	global_load_dword v34, v[34:35], off
	s_waitcnt vmcnt(0)
	ds_write_b32 v210, v34 offset:33792
.LBB32_88:                              ;   in Loop: Header=BB32_12 Depth=1
	s_or_b64 exec, exec, s[14:15]
	s_mul_hi_i32 s15, s10, s38
	s_mul_i32 s14, s10, s38
	s_lshl_b64 s[14:15], s[14:15], 2
	v_lshl_add_u64 v[34:35], v[166:167], 0, s[14:15]
	v_lshl_add_u64 v[36:37], v[52:53], 2, v[34:35]
	v_lshlrev_b32_e32 v48, 2, v46
	v_lshl_add_u64 v[36:37], v[36:37], 0, v[48:49]
	v_lshl_add_u64 v[40:41], v[54:55], 2, v[34:35]
	;; [unrolled: 1-line block ×9, first 2 shown]
	global_load_dwordx4 v[34:37], v[36:37], off
	v_lshl_add_u64 v[40:41], v[40:41], 0, v[48:49]
	v_lshl_add_u64 v[144:145], v[144:145], 0, v[48:49]
	;; [unrolled: 1-line block ×6, first 2 shown]
	s_waitcnt vmcnt(0)
	ds_write_b128 v109, v[34:37]
	global_load_dwordx4 v[34:37], v[40:41], off
	v_add_u32_e32 v40, 0x4000, v115
	s_waitcnt vmcnt(0)
	ds_write_b128 v254, v[34:37]
	global_load_dwordx4 v[34:37], v[144:145], off
	s_waitcnt vmcnt(0)
	ds_write_b128 v255, v[34:37]
	global_load_dwordx4 v[34:37], v[146:147], off
	;; [unrolled: 3-line block ×6, first 2 shown]
	s_waitcnt vmcnt(0)
	ds_write_b128 v108, v[34:37]
	s_waitcnt lgkmcnt(0)
	s_barrier
	ds_read2_b64 v[34:37], v115 offset1:4
	s_waitcnt lgkmcnt(0)
	v_mfma_f32_16x16x16_f16 a[0:3], v[34:35], v[30:31], 0
	v_mfma_f32_16x16x16_f16 a[0:3], v[36:37], v[32:33], a[0:3]
	ds_read2_b64 v[34:37], v115 offset0:8 offset1:12
	s_waitcnt lgkmcnt(0)
	v_mfma_f32_16x16x16_f16 a[0:3], v[34:35], v[26:27], a[0:3]
	v_mfma_f32_16x16x16_f16 a[0:3], v[36:37], v[28:29], a[0:3]
	ds_read2_b64 v[34:37], v115 offset0:16 offset1:20
	;; [unrolled: 4-line block ×14, first 2 shown]
	s_waitcnt lgkmcnt(0)
	v_mfma_f32_16x16x16_f16 a[4:7], v[10:11], v[6:7], a[4:7]
	v_accvgpr_read_b32 v10, a0
	v_cmp_nlt_f32_e64 s[14:15], |v10|, s47
                                        ; implicit-def: $vgpr11
	v_mfma_f32_16x16x16_f16 a[4:7], v[12:13], v[8:9], a[4:7]
	ds_read2_b64 v[6:9], v40 offset0:120 offset1:124
	s_waitcnt lgkmcnt(0)
	s_barrier
	v_mfma_f32_16x16x16_f16 a[4:7], v[6:7], v[2:3], a[4:7]
	v_mfma_f32_16x16x16_f16 a[4:7], v[8:9], v[4:5], a[4:7]
	s_and_saveexec_b64 s[72:73], s[14:15]
	s_xor_b64 s[14:15], exec, s[72:73]
	s_cbranch_execz .LBB32_90
; %bb.89:                               ;   in Loop: Header=BB32_12 Depth=1
	v_add_f32_e64 v2, |v10|, |v10|
	v_mul_f32_e32 v3, 0x3fb8aa3b, v2
	v_rndne_f32_e32 v4, v3
	v_sub_f32_e32 v5, v3, v4
	v_fma_f32 v3, v2, s65, -v3
	v_fmac_f32_e32 v3, 0x32a5705f, v2
	v_add_f32_e32 v3, v5, v3
	v_cvt_i32_f32_e32 v4, v4
	v_exp_f32_e32 v3, v3
	v_cmp_ngt_f32_e32 vcc, s92, v2
	v_ldexp_f32 v3, v3, v4
	s_nop 0
	v_cndmask_b32_e32 v3, 0, v3, vcc
	v_cmp_nlt_f32_e32 vcc, s93, v2
	s_nop 1
	v_cndmask_b32_e32 v2, v224, v3, vcc
	v_add_f32_e32 v2, 1.0, v2
	v_rcp_f32_e32 v2, v2
	s_nop 0
	v_fma_f32 v11, v2, -2.0, 1.0
.LBB32_90:                              ;   in Loop: Header=BB32_12 Depth=1
	s_andn2_saveexec_b64 s[14:15], s[14:15]
; %bb.91:                               ;   in Loop: Header=BB32_12 Depth=1
	v_mul_f32_e32 v2, v10, v10
	v_fmamk_f32 v3, v2, 0xbbbac73d, v226
	v_fmaak_f32 v3, v2, v3, 0xbd5c1c4e
	v_fmaak_f32 v3, v2, v3, 0x3e088382
	;; [unrolled: 1-line block ×3, first 2 shown]
	v_mul_f32_e64 v3, |v10|, v3
	v_fma_f32 v11, v2, v3, |v10|
; %bb.92:                               ;   in Loop: Header=BB32_12 Depth=1
	s_or_b64 exec, exec, s[14:15]
	v_accvgpr_read_b32 v5, a3
	v_accvgpr_read_b32 v3, a1
	;; [unrolled: 1-line block ×4, first 2 shown]
	v_cmp_nlt_f32_e64 s[14:15], |v3|, s47
                                        ; implicit-def: $vgpr2
	s_and_saveexec_b64 s[72:73], s[14:15]
	s_xor_b64 s[14:15], exec, s[72:73]
	s_cbranch_execz .LBB32_94
; %bb.93:                               ;   in Loop: Header=BB32_12 Depth=1
	v_add_f32_e64 v2, |v3|, |v3|
	v_mul_f32_e32 v6, 0x3fb8aa3b, v2
	v_rndne_f32_e32 v7, v6
	v_sub_f32_e32 v8, v6, v7
	v_fma_f32 v6, v2, s65, -v6
	v_fmac_f32_e32 v6, 0x32a5705f, v2
	v_add_f32_e32 v6, v8, v6
	v_cvt_i32_f32_e32 v7, v7
	v_exp_f32_e32 v6, v6
	v_cmp_ngt_f32_e32 vcc, s92, v2
	v_ldexp_f32 v6, v6, v7
	s_nop 0
	v_cndmask_b32_e32 v6, 0, v6, vcc
	v_cmp_nlt_f32_e32 vcc, s93, v2
	s_nop 1
	v_cndmask_b32_e32 v2, v224, v6, vcc
	v_add_f32_e32 v2, 1.0, v2
	v_rcp_f32_e32 v2, v2
	s_nop 0
	v_fma_f32 v2, v2, -2.0, 1.0
.LBB32_94:                              ;   in Loop: Header=BB32_12 Depth=1
	s_andn2_saveexec_b64 s[14:15], s[14:15]
; %bb.95:                               ;   in Loop: Header=BB32_12 Depth=1
	v_mul_f32_e32 v2, v3, v3
	v_fmamk_f32 v6, v2, 0xbbbac73d, v226
	v_fmaak_f32 v6, v2, v6, 0xbd5c1c4e
	v_fmaak_f32 v6, v2, v6, 0x3e088382
	;; [unrolled: 1-line block ×3, first 2 shown]
	v_mul_f32_e64 v6, |v3|, v6
	v_fma_f32 v2, v2, v6, |v3|
; %bb.96:                               ;   in Loop: Header=BB32_12 Depth=1
	s_or_b64 exec, exec, s[14:15]
	v_cmp_nlt_f32_e64 s[14:15], |v4|, s47
                                        ; implicit-def: $vgpr12
	s_and_saveexec_b64 s[72:73], s[14:15]
	s_xor_b64 s[14:15], exec, s[72:73]
	s_cbranch_execz .LBB32_98
; %bb.97:                               ;   in Loop: Header=BB32_12 Depth=1
	v_add_f32_e64 v6, |v4|, |v4|
	v_mul_f32_e32 v7, 0x3fb8aa3b, v6
	v_rndne_f32_e32 v8, v7
	v_sub_f32_e32 v9, v7, v8
	v_fma_f32 v7, v6, s65, -v7
	v_fmac_f32_e32 v7, 0x32a5705f, v6
	v_add_f32_e32 v7, v9, v7
	v_cvt_i32_f32_e32 v8, v8
	v_exp_f32_e32 v7, v7
	v_cmp_ngt_f32_e32 vcc, s92, v6
	v_ldexp_f32 v7, v7, v8
	s_nop 0
	v_cndmask_b32_e32 v7, 0, v7, vcc
	v_cmp_nlt_f32_e32 vcc, s93, v6
	s_nop 1
	v_cndmask_b32_e32 v6, v224, v7, vcc
	v_add_f32_e32 v6, 1.0, v6
	v_rcp_f32_e32 v6, v6
	s_nop 0
	v_fma_f32 v12, v6, -2.0, 1.0
.LBB32_98:                              ;   in Loop: Header=BB32_12 Depth=1
	s_andn2_saveexec_b64 s[14:15], s[14:15]
; %bb.99:                               ;   in Loop: Header=BB32_12 Depth=1
	v_mul_f32_e32 v6, v4, v4
	v_fmamk_f32 v7, v6, 0xbbbac73d, v226
	v_fmaak_f32 v7, v6, v7, 0xbd5c1c4e
	v_fmaak_f32 v7, v6, v7, 0x3e088382
	;; [unrolled: 1-line block ×3, first 2 shown]
	v_mul_f32_e64 v7, |v4|, v7
	v_fma_f32 v12, v6, v7, |v4|
; %bb.100:                              ;   in Loop: Header=BB32_12 Depth=1
	s_or_b64 exec, exec, s[14:15]
	v_cmp_nlt_f32_e64 s[14:15], |v5|, s47
                                        ; implicit-def: $vgpr13
	s_and_saveexec_b64 s[72:73], s[14:15]
	s_xor_b64 s[14:15], exec, s[72:73]
	s_cbranch_execz .LBB32_102
; %bb.101:                              ;   in Loop: Header=BB32_12 Depth=1
	v_add_f32_e64 v6, |v5|, |v5|
	v_mul_f32_e32 v7, 0x3fb8aa3b, v6
	v_rndne_f32_e32 v8, v7
	v_sub_f32_e32 v9, v7, v8
	v_fma_f32 v7, v6, s65, -v7
	v_fmac_f32_e32 v7, 0x32a5705f, v6
	v_add_f32_e32 v7, v9, v7
	v_cvt_i32_f32_e32 v8, v8
	v_exp_f32_e32 v7, v7
	v_cmp_ngt_f32_e32 vcc, s92, v6
	v_ldexp_f32 v7, v7, v8
	s_nop 0
	v_cndmask_b32_e32 v7, 0, v7, vcc
	v_cmp_nlt_f32_e32 vcc, s93, v6
	s_nop 1
	v_cndmask_b32_e32 v6, v224, v7, vcc
	v_add_f32_e32 v6, 1.0, v6
	v_rcp_f32_e32 v6, v6
	s_nop 0
	v_fma_f32 v13, v6, -2.0, 1.0
.LBB32_102:                             ;   in Loop: Header=BB32_12 Depth=1
	s_andn2_saveexec_b64 s[14:15], s[14:15]
; %bb.103:                              ;   in Loop: Header=BB32_12 Depth=1
	v_mul_f32_e32 v6, v5, v5
	v_fmamk_f32 v7, v6, 0xbbbac73d, v226
	v_fmaak_f32 v7, v6, v7, 0xbd5c1c4e
	v_fmaak_f32 v7, v6, v7, 0x3e088382
	;; [unrolled: 1-line block ×3, first 2 shown]
	v_mul_f32_e64 v7, |v5|, v7
	v_fma_f32 v13, v6, v7, |v5|
; %bb.104:                              ;   in Loop: Header=BB32_12 Depth=1
	s_or_b64 exec, exec, s[14:15]
	v_accvgpr_read_b32 v9, a7
	v_accvgpr_read_b32 v6, a4
	;; [unrolled: 1-line block ×4, first 2 shown]
	v_cmp_nlt_f32_e64 s[14:15], |v6|, s47
                                        ; implicit-def: $vgpr14
	s_and_saveexec_b64 s[72:73], s[14:15]
	s_xor_b64 s[14:15], exec, s[72:73]
	s_cbranch_execz .LBB32_106
; %bb.105:                              ;   in Loop: Header=BB32_12 Depth=1
	v_add_f32_e64 v14, |v6|, |v6|
	v_mul_f32_e32 v15, 0x3fb8aa3b, v14
	v_rndne_f32_e32 v16, v15
	v_sub_f32_e32 v17, v15, v16
	v_fma_f32 v15, v14, s65, -v15
	v_fmac_f32_e32 v15, 0x32a5705f, v14
	v_add_f32_e32 v15, v17, v15
	v_cvt_i32_f32_e32 v16, v16
	v_exp_f32_e32 v15, v15
	v_cmp_ngt_f32_e32 vcc, s92, v14
	v_ldexp_f32 v15, v15, v16
	s_nop 0
	v_cndmask_b32_e32 v15, 0, v15, vcc
	v_cmp_nlt_f32_e32 vcc, s93, v14
	s_nop 1
	v_cndmask_b32_e32 v14, v224, v15, vcc
	v_add_f32_e32 v14, 1.0, v14
	v_rcp_f32_e32 v14, v14
	s_nop 0
	v_fma_f32 v14, v14, -2.0, 1.0
.LBB32_106:                             ;   in Loop: Header=BB32_12 Depth=1
	s_andn2_saveexec_b64 s[14:15], s[14:15]
; %bb.107:                              ;   in Loop: Header=BB32_12 Depth=1
	v_mul_f32_e32 v14, v6, v6
	v_fmamk_f32 v15, v14, 0xbbbac73d, v226
	v_fmaak_f32 v15, v14, v15, 0xbd5c1c4e
	v_fmaak_f32 v15, v14, v15, 0x3e088382
	;; [unrolled: 1-line block ×3, first 2 shown]
	v_mul_f32_e64 v15, |v6|, v15
	v_fma_f32 v14, v14, v15, |v6|
; %bb.108:                              ;   in Loop: Header=BB32_12 Depth=1
	s_or_b64 exec, exec, s[14:15]
	v_cmp_nlt_f32_e64 s[14:15], |v7|, s47
                                        ; implicit-def: $vgpr15
	s_and_saveexec_b64 s[72:73], s[14:15]
	s_xor_b64 s[14:15], exec, s[72:73]
	s_cbranch_execz .LBB32_110
; %bb.109:                              ;   in Loop: Header=BB32_12 Depth=1
	v_add_f32_e64 v15, |v7|, |v7|
	v_mul_f32_e32 v16, 0x3fb8aa3b, v15
	v_rndne_f32_e32 v17, v16
	v_sub_f32_e32 v18, v16, v17
	v_fma_f32 v16, v15, s65, -v16
	v_fmac_f32_e32 v16, 0x32a5705f, v15
	v_add_f32_e32 v16, v18, v16
	v_cvt_i32_f32_e32 v17, v17
	v_exp_f32_e32 v16, v16
	v_cmp_ngt_f32_e32 vcc, s92, v15
	v_ldexp_f32 v16, v16, v17
	s_nop 0
	v_cndmask_b32_e32 v16, 0, v16, vcc
	v_cmp_nlt_f32_e32 vcc, s93, v15
	s_nop 1
	v_cndmask_b32_e32 v15, v224, v16, vcc
	v_add_f32_e32 v15, 1.0, v15
	v_rcp_f32_e32 v15, v15
	s_nop 0
	v_fma_f32 v15, v15, -2.0, 1.0
.LBB32_110:                             ;   in Loop: Header=BB32_12 Depth=1
	s_andn2_saveexec_b64 s[14:15], s[14:15]
; %bb.111:                              ;   in Loop: Header=BB32_12 Depth=1
	v_mul_f32_e32 v15, v7, v7
	v_fmamk_f32 v16, v15, 0xbbbac73d, v226
	v_fmaak_f32 v16, v15, v16, 0xbd5c1c4e
	v_fmaak_f32 v16, v15, v16, 0x3e088382
	;; [unrolled: 1-line block ×3, first 2 shown]
	v_mul_f32_e64 v16, |v7|, v16
	v_fma_f32 v15, v15, v16, |v7|
; %bb.112:                              ;   in Loop: Header=BB32_12 Depth=1
	s_or_b64 exec, exec, s[14:15]
	v_cmp_nlt_f32_e64 s[14:15], |v8|, s47
                                        ; implicit-def: $vgpr16
	s_and_saveexec_b64 s[72:73], s[14:15]
	s_xor_b64 s[14:15], exec, s[72:73]
	s_cbranch_execz .LBB32_114
; %bb.113:                              ;   in Loop: Header=BB32_12 Depth=1
	v_add_f32_e64 v16, |v8|, |v8|
	v_mul_f32_e32 v17, 0x3fb8aa3b, v16
	v_rndne_f32_e32 v18, v17
	v_sub_f32_e32 v19, v17, v18
	v_fma_f32 v17, v16, s65, -v17
	v_fmac_f32_e32 v17, 0x32a5705f, v16
	v_add_f32_e32 v17, v19, v17
	v_cvt_i32_f32_e32 v18, v18
	v_exp_f32_e32 v17, v17
	v_cmp_ngt_f32_e32 vcc, s92, v16
	v_ldexp_f32 v17, v17, v18
	s_nop 0
	v_cndmask_b32_e32 v17, 0, v17, vcc
	v_cmp_nlt_f32_e32 vcc, s93, v16
	s_nop 1
	v_cndmask_b32_e32 v16, v224, v17, vcc
	v_add_f32_e32 v16, 1.0, v16
	v_rcp_f32_e32 v16, v16
	s_nop 0
	v_fma_f32 v16, v16, -2.0, 1.0
.LBB32_114:                             ;   in Loop: Header=BB32_12 Depth=1
	s_andn2_saveexec_b64 s[14:15], s[14:15]
; %bb.115:                              ;   in Loop: Header=BB32_12 Depth=1
	v_mul_f32_e32 v16, v8, v8
	v_fmamk_f32 v17, v16, 0xbbbac73d, v226
	v_fmaak_f32 v17, v16, v17, 0xbd5c1c4e
	v_fmaak_f32 v17, v16, v17, 0x3e088382
	;; [unrolled: 1-line block ×3, first 2 shown]
	v_mul_f32_e64 v17, |v8|, v17
	v_fma_f32 v16, v16, v17, |v8|
; %bb.116:                              ;   in Loop: Header=BB32_12 Depth=1
	s_or_b64 exec, exec, s[14:15]
	v_cmp_nlt_f32_e64 s[14:15], |v9|, s47
                                        ; implicit-def: $vgpr17
	s_and_saveexec_b64 s[72:73], s[14:15]
	s_xor_b64 s[14:15], exec, s[72:73]
	s_cbranch_execz .LBB32_118
; %bb.117:                              ;   in Loop: Header=BB32_12 Depth=1
	v_add_f32_e64 v17, |v9|, |v9|
	v_mul_f32_e32 v18, 0x3fb8aa3b, v17
	v_rndne_f32_e32 v19, v18
	v_sub_f32_e32 v20, v18, v19
	v_fma_f32 v18, v17, s65, -v18
	v_fmac_f32_e32 v18, 0x32a5705f, v17
	v_add_f32_e32 v18, v20, v18
	v_cvt_i32_f32_e32 v19, v19
	v_exp_f32_e32 v18, v18
	v_cmp_ngt_f32_e32 vcc, s92, v17
	v_ldexp_f32 v18, v18, v19
	s_nop 0
	v_cndmask_b32_e32 v18, 0, v18, vcc
	v_cmp_nlt_f32_e32 vcc, s93, v17
	s_nop 1
	v_cndmask_b32_e32 v17, v224, v18, vcc
	v_add_f32_e32 v17, 1.0, v17
	v_rcp_f32_e32 v17, v17
	s_nop 0
	v_fma_f32 v17, v17, -2.0, 1.0
.LBB32_118:                             ;   in Loop: Header=BB32_12 Depth=1
	s_andn2_saveexec_b64 s[14:15], s[14:15]
; %bb.119:                              ;   in Loop: Header=BB32_12 Depth=1
	v_mul_f32_e32 v17, v9, v9
	v_fmamk_f32 v18, v17, 0xbbbac73d, v226
	v_fmaak_f32 v18, v17, v18, 0xbd5c1c4e
	v_fmaak_f32 v18, v17, v18, 0x3e088382
	;; [unrolled: 1-line block ×3, first 2 shown]
	v_mul_f32_e64 v18, |v9|, v18
	v_fma_f32 v17, v17, v18, |v9|
; %bb.120:                              ;   in Loop: Header=BB32_12 Depth=1
	s_or_b64 exec, exec, s[14:15]
	v_bfi_b32 v10, s94, v11, v10
	v_bfi_b32 v11, s94, v2, v3
	v_add_u32_e32 v2, 0x8400, v204
	ds_read2_b32 v[2:3], v2 offset1:1
	v_bfi_b32 v5, s94, v13, v5
	v_bfi_b32 v4, s94, v12, v4
	;; [unrolled: 1-line block ×4, first 2 shown]
	s_waitcnt lgkmcnt(0)
	v_fma_mix_f32 v4, s3, v4, v3 op_sel_hi:[0,0,1]
	v_fma_mix_f32 v3, s3, v5, v3 op_sel:[0,0,1] op_sel_hi:[0,0,1]
	ds_read_b32 v5, v211 offset:33792
	v_bfi_b32 v8, s94, v16, v8
	v_bfi_b32 v9, s94, v17, v9
	v_fma_mix_f32 v10, s3, v10, v2 op_sel_hi:[0,0,1]
	v_fma_mix_f32 v2, s3, v11, v2 op_sel:[0,0,1] op_sel_hi:[0,0,1]
	s_waitcnt lgkmcnt(0)
	v_fma_mix_f32 v12, s3, v6, v5 op_sel_hi:[0,0,1]
	ds_read_b32 v6, v212 offset:33792
	v_fma_mix_f32 v5, s3, v7, v5 op_sel:[0,0,1] op_sel_hi:[0,0,1]
	v_add_f32_e32 v7, 0x40051340, v2
	s_mul_hi_i32 s11, s10, s34
	s_mul_i32 s10, s10, s34
	s_waitcnt lgkmcnt(0)
	v_fma_mix_f32 v13, s3, v8, v6 op_sel_hi:[0,0,1]
	v_fma_mix_f32 v14, s3, v9, v6 op_sel:[0,0,1] op_sel_hi:[0,0,1]
	v_add_f32_e32 v6, 0x40051340, v10
	v_max3_f32 v6, v38, v6, v7
	v_add_f32_e32 v7, 0x40051340, v4
	v_add_f32_e32 v8, 0x40051340, v3
	v_max3_f32 v6, v6, v7, v8
	v_add_f32_e32 v7, 0x40051340, v12
	;; [unrolled: 3-line block ×3, first 2 shown]
	v_add_f32_e32 v8, 0x40051340, v14
	v_max3_f32 v6, v6, v7, v8
	v_and_b32_e32 v7, 64, v252
	v_add_u32_e32 v8, 64, v7
	v_xor_b32_e32 v7, 32, v252
	v_cmp_lt_i32_e32 vcc, v7, v8
	s_lshl_b64 s[10:11], s[10:11], 2
	s_nop 0
	v_cndmask_b32_e32 v7, v252, v7, vcc
	v_lshlrev_b32_e32 v7, 2, v7
	ds_bpermute_b32 v9, v7, v6
	s_waitcnt lgkmcnt(0)
	v_max_f32_e32 v9, v9, v9
	v_max_f32_e32 v6, v6, v9
	v_xor_b32_e32 v9, 16, v252
	v_cmp_lt_i32_e32 vcc, v9, v8
	s_nop 1
	v_cndmask_b32_e32 v8, v252, v9, vcc
	v_lshlrev_b32_e32 v8, 2, v8
	ds_bpermute_b32 v9, v8, v6
	s_waitcnt lgkmcnt(0)
	v_max_f32_e32 v9, v9, v9
	v_max_f32_e32 v6, v6, v9
	v_sub_f32_e32 v9, v10, v6
	v_mul_f32_e32 v10, 0x3fb8aa3b, v9
	v_fma_f32 v11, v9, s65, -v10
	v_rndne_f32_e32 v15, v10
	v_fmac_f32_e32 v11, 0x32a5705f, v9
	v_sub_f32_e32 v10, v10, v15
	v_add_f32_e32 v10, v10, v11
	v_exp_f32_e32 v10, v10
	v_cvt_i32_f32_e32 v11, v15
	v_cmp_ngt_f32_e32 vcc, s92, v9
	v_sub_f32_e32 v2, v2, v6
	v_sub_f32_e32 v4, v4, v6
	v_ldexp_f32 v10, v10, v11
	v_cndmask_b32_e32 v10, 0, v10, vcc
	v_cmp_nlt_f32_e32 vcc, s93, v9
	v_sub_f32_e32 v3, v3, v6
	s_nop 0
	v_cndmask_b32_e32 v9, v224, v10, vcc
	v_mul_f32_e32 v10, 0x3fb8aa3b, v2
	v_fma_f32 v11, v2, s65, -v10
	v_rndne_f32_e32 v15, v10
	v_fmac_f32_e32 v11, 0x32a5705f, v2
	v_sub_f32_e32 v10, v10, v15
	v_add_f32_e32 v10, v10, v11
	v_exp_f32_e32 v10, v10
	v_cvt_i32_f32_e32 v11, v15
	v_cmp_ngt_f32_e32 vcc, s92, v2
	v_ldexp_f32 v10, v10, v11
	s_nop 0
	v_cndmask_b32_e32 v10, 0, v10, vcc
	v_cmp_nlt_f32_e32 vcc, s93, v2
	s_nop 1
	v_cndmask_b32_e32 v11, v224, v10, vcc
	v_mul_f32_e32 v10, 0x3fb8aa3b, v4
	v_fma_f32 v15, v4, s65, -v10
	v_rndne_f32_e32 v16, v10
	v_fmac_f32_e32 v15, 0x32a5705f, v4
	v_sub_f32_e32 v10, v10, v16
	v_add_f32_e32 v10, v10, v15
	v_exp_f32_e32 v10, v10
	v_cvt_i32_f32_e32 v15, v16
	v_cmp_ngt_f32_e32 vcc, s92, v4
	v_add_f32_e32 v2, v9, v11
	v_ldexp_f32 v10, v10, v15
	v_cndmask_b32_e32 v10, 0, v10, vcc
	v_cmp_nlt_f32_e32 vcc, s93, v4
	v_mul_f32_e32 v4, 0x3fb8aa3b, v3
	v_rndne_f32_e32 v16, v4
	v_cndmask_b32_e32 v15, v224, v10, vcc
	v_fma_f32 v10, v3, s65, -v4
	v_fmac_f32_e32 v10, 0x32a5705f, v3
	v_sub_f32_e32 v4, v4, v16
	v_add_f32_e32 v4, v4, v10
	v_exp_f32_e32 v4, v4
	v_cvt_i32_f32_e32 v10, v16
	v_cmp_ngt_f32_e32 vcc, s92, v3
	v_add_f32_e32 v2, v15, v2
	v_ldexp_f32 v4, v4, v10
	v_cndmask_b32_e32 v4, 0, v4, vcc
	v_cmp_nlt_f32_e32 vcc, s93, v3
	v_sub_f32_e32 v3, v12, v6
	s_nop 0
	v_cndmask_b32_e32 v16, v224, v4, vcc
	v_mul_f32_e32 v4, 0x3fb8aa3b, v3
	v_fma_f32 v10, v3, s65, -v4
	v_rndne_f32_e32 v12, v4
	v_fmac_f32_e32 v10, 0x32a5705f, v3
	v_sub_f32_e32 v4, v4, v12
	v_add_f32_e32 v4, v4, v10
	v_exp_f32_e32 v4, v4
	v_cvt_i32_f32_e32 v10, v12
	v_cmp_ngt_f32_e32 vcc, s92, v3
	v_add_f32_e32 v2, v16, v2
	v_ldexp_f32 v4, v4, v10
	v_cndmask_b32_e32 v4, 0, v4, vcc
	v_cmp_nlt_f32_e32 vcc, s93, v3
	v_sub_f32_e32 v3, v5, v6
	s_nop 0
	v_cndmask_b32_e32 v17, v224, v4, vcc
	v_mul_f32_e32 v4, 0x3fb8aa3b, v3
	v_fma_f32 v5, v3, s65, -v4
	v_rndne_f32_e32 v10, v4
	v_fmac_f32_e32 v5, 0x32a5705f, v3
	v_sub_f32_e32 v4, v4, v10
	v_add_f32_e32 v4, v4, v5
	v_exp_f32_e32 v4, v4
	v_cvt_i32_f32_e32 v5, v10
	v_cmp_ngt_f32_e32 vcc, s92, v3
	v_add_f32_e32 v2, v17, v2
	v_ldexp_f32 v4, v4, v5
	v_cndmask_b32_e32 v4, 0, v4, vcc
	v_cmp_nlt_f32_e32 vcc, s93, v3
	v_sub_f32_e32 v3, v13, v6
	s_nop 0
	v_cndmask_b32_e32 v18, v224, v4, vcc
	v_mul_f32_e32 v4, 0x3fb8aa3b, v3
	v_fma_f32 v5, v3, s65, -v4
	v_rndne_f32_e32 v10, v4
	v_fmac_f32_e32 v5, 0x32a5705f, v3
	v_sub_f32_e32 v4, v4, v10
	v_add_f32_e32 v4, v4, v5
	v_exp_f32_e32 v4, v4
	v_cvt_i32_f32_e32 v5, v10
	v_cmp_ngt_f32_e32 vcc, s92, v3
	v_add_f32_e32 v2, v18, v2
	v_ldexp_f32 v4, v4, v5
	v_cndmask_b32_e32 v4, 0, v4, vcc
	v_cmp_nlt_f32_e32 vcc, s93, v3
	v_sub_f32_e32 v3, v14, v6
	s_nop 0
	v_cndmask_b32_e32 v22, v224, v4, vcc
	v_mul_f32_e32 v4, 0x3fb8aa3b, v3
	v_fma_f32 v5, v3, s65, -v4
	v_rndne_f32_e32 v10, v4
	v_fmac_f32_e32 v5, 0x32a5705f, v3
	v_sub_f32_e32 v4, v4, v10
	v_add_f32_e32 v4, v4, v5
	v_exp_f32_e32 v4, v4
	v_cvt_i32_f32_e32 v5, v10
	v_cmp_ngt_f32_e32 vcc, s92, v3
	v_add_f32_e32 v2, v22, v2
	v_ldexp_f32 v4, v4, v5
	v_cndmask_b32_e32 v4, 0, v4, vcc
	v_cmp_nlt_f32_e32 vcc, s93, v3
	s_nop 1
	v_cndmask_b32_e32 v23, v224, v4, vcc
	v_add_f32_e32 v10, v23, v2
	v_sub_f32_e32 v2, v38, v6
	v_mul_f32_e32 v3, 0x3fb8aa3b, v2
	v_fma_f32 v4, v2, s65, -v3
	v_rndne_f32_e32 v5, v3
	v_fmac_f32_e32 v4, 0x32a5705f, v2
	v_sub_f32_e32 v3, v3, v5
	v_add_f32_e32 v3, v3, v4
	v_exp_f32_e32 v3, v3
	v_cvt_i32_f32_e32 v4, v5
	v_cmp_ngt_f32_e32 vcc, s92, v2
	v_ldexp_f32 v3, v3, v4
	s_nop 0
	v_cndmask_b32_e32 v3, 0, v3, vcc
	v_cmp_nlt_f32_e32 vcc, s93, v2
	s_nop 1
	v_cndmask_b32_e32 v3, v224, v3, vcc
	v_cmp_le_f32_e32 vcc, s95, v2
	s_nop 1
	v_cndmask_b32_e32 v2, 0, v3, vcc
	v_fmac_f32_e32 v10, v39, v2
	v_cvt_f16_f32_e32 v2, v2
	ds_bpermute_b32 v7, v7, v10
	v_cmp_ne_u64_e32 vcc, 0, v[162:163]
	s_and_b64 s[14:15], s[0:1], vcc
	v_mul_u32_u24_e32 v2, 0x10001, v2
	v_pk_mul_f16 v27, v131, v2
	v_pk_mul_f16 v26, v130, v2
	;; [unrolled: 1-line block ×32, first 2 shown]
	v_lshl_add_u64 v[2:3], v[164:165], 0, s[10:11]
	v_lshl_add_u64 v[4:5], v[68:69], 2, v[2:3]
	;; [unrolled: 1-line block ×11, first 2 shown]
	global_load_dwordx4 v[2:5], v[4:5], off
	v_lshl_add_u64 v[32:33], v[32:33], 0, v[48:49]
	v_lshl_add_u64 v[38:39], v[38:39], 0, v[48:49]
	;; [unrolled: 1-line block ×6, first 2 shown]
	v_cvt_f32_f16_e32 v28, v27
	v_cvt_f32_f16_sdwa v27, v27 dst_sel:DWORD dst_unused:UNUSED_PAD src0_sel:WORD_1
	v_cvt_f32_f16_e32 v40, v13
	v_cvt_f32_f16_sdwa v13, v13 dst_sel:DWORD dst_unused:UNUSED_PAD src0_sel:WORD_1
	v_accvgpr_write_b32 a0, v28
	v_accvgpr_write_b32 a1, v27
	v_cvt_f32_f16_e32 v125, v19
	v_cvt_f32_f16_sdwa v19, v19 dst_sel:DWORD dst_unused:UNUSED_PAD src0_sel:WORD_1
	v_cvt_f32_f16_e32 v134, v95
	v_cvt_f32_f16_sdwa v95, v95 dst_sel:DWORD dst_unused:UNUSED_PAD src0_sel:WORD_1
	v_cvt_f32_f16_e32 v135, v91
	v_cvt_f32_f16_sdwa v91, v91 dst_sel:DWORD dst_unused:UNUSED_PAD src0_sel:WORD_1
	v_cvt_f32_f16_e32 v138, v51
	v_cvt_f32_f16_sdwa v51, v51 dst_sel:DWORD dst_unused:UNUSED_PAD src0_sel:WORD_1
	v_cvt_f32_f16_e32 v139, v1
	v_cvt_f32_f16_sdwa v1, v1 dst_sel:DWORD dst_unused:UNUSED_PAD src0_sel:WORD_1
	v_cvt_f32_f16_sdwa v142, v186 dst_sel:DWORD dst_unused:UNUSED_PAD src0_sel:WORD_1
	v_cvt_f32_f16_e32 v143, v97
	v_cvt_f32_f16_sdwa v97, v97 dst_sel:DWORD dst_unused:UNUSED_PAD src0_sel:WORD_1
	v_cvt_f32_f16_e32 v144, v90
	v_cvt_f32_f16_sdwa v90, v90 dst_sel:DWORD dst_unused:UNUSED_PAD src0_sel:WORD_1
	v_cvt_f32_f16_e32 v145, v89
	v_cvt_f32_f16_sdwa v89, v89 dst_sel:DWORD dst_unused:UNUSED_PAD src0_sel:WORD_1
	v_cvt_f32_f16_e32 v148, v123
	v_cvt_f32_f16_sdwa v123, v123 dst_sel:DWORD dst_unused:UNUSED_PAD src0_sel:WORD_1
	v_cvt_f32_f16_e32 v149, v41
	v_cvt_f32_f16_sdwa v41, v41 dst_sel:DWORD dst_unused:UNUSED_PAD src0_sel:WORD_1
	v_cvt_f32_f16_e32 v150, v36
	v_cvt_f32_f16_sdwa v36, v36 dst_sel:DWORD dst_unused:UNUSED_PAD src0_sel:WORD_1
	v_cvt_f32_f16_e32 v151, v35
	v_cvt_f32_f16_sdwa v35, v35 dst_sel:DWORD dst_unused:UNUSED_PAD src0_sel:WORD_1
	v_cvt_f32_f16_e32 v154, v30
	v_cvt_f32_f16_sdwa v30, v30 dst_sel:DWORD dst_unused:UNUSED_PAD src0_sel:WORD_1
	v_cvt_f32_f16_e32 v155, v29
	v_cvt_f32_f16_sdwa v29, v29 dst_sel:DWORD dst_unused:UNUSED_PAD src0_sel:WORD_1
	s_waitcnt lgkmcnt(0)
	v_add_f32_e32 v7, v10, v7
	ds_bpermute_b32 v10, v8, v7
	s_waitcnt lgkmcnt(0)
	v_add_f32_e32 v7, v7, v10
	s_waitcnt vmcnt(0)
	ds_write_b128 v109, v[2:5]
	global_load_dwordx4 v[2:5], v[32:33], off
	v_cvt_f32_f16_e32 v32, v26
	v_cvt_f32_f16_sdwa v26, v26 dst_sel:DWORD dst_unused:UNUSED_PAD src0_sel:WORD_1
	v_accvgpr_write_b32 a2, v32
	v_accvgpr_write_b32 a3, v26
	s_waitcnt vmcnt(0)
	ds_write_b128 v254, v[2:5]
	global_load_dwordx4 v[2:5], v[38:39], off
	s_waitcnt vmcnt(0)
	ds_write_b128 v255, v[2:5]
	global_load_dwordx4 v[2:5], v[100:101], off
	v_cvt_f32_f16_e32 v100, v14
	v_cvt_f32_f16_sdwa v14, v14 dst_sel:DWORD dst_unused:UNUSED_PAD src0_sel:WORD_1
	s_waitcnt vmcnt(0)
	ds_write_b128 v251, v[2:5]
	global_load_dwordx4 v[2:5], v[126:127], off
	v_cvt_f32_f16_e32 v126, v24
	v_cvt_f32_f16_sdwa v24, v24 dst_sel:DWORD dst_unused:UNUSED_PAD src0_sel:WORD_1
	;; [unrolled: 5-line block ×3, first 2 shown]
	v_cvt_f32_f16_e32 v129, v88
	v_cvt_f32_f16_sdwa v88, v88 dst_sel:DWORD dst_unused:UNUSED_PAD src0_sel:WORD_1
	s_waitcnt vmcnt(0)
	ds_write_b128 v249, v[2:5]
	global_load_dwordx4 v[2:5], v[130:131], off
	s_waitcnt vmcnt(0)
	ds_write_b128 v230, v[2:5]
	global_load_dwordx4 v[2:5], v[132:133], off
	v_cvt_f32_f16_e32 v132, v112
	v_cvt_f32_f16_sdwa v112, v112 dst_sel:DWORD dst_unused:UNUSED_PAD src0_sel:WORD_1
	v_cvt_f32_f16_e32 v133, v99
	v_cvt_f32_f16_sdwa v99, v99 dst_sel:DWORD dst_unused:UNUSED_PAD src0_sel:WORD_1
	s_waitcnt vmcnt(0)
	ds_write_b128 v108, v[2:5]
	s_waitcnt lgkmcnt(0)
	s_barrier
	ds_read_u16 v2, v205 offset:528
	ds_read_u16 v3, v205 offset:1056
	ds_read_u16 v4, v206
	ds_read_u16 v33, v206 offset:32
	v_cvt_pk_f16_f32 v5, v15, v16
	s_waitcnt lgkmcnt(1)
	v_perm_b32 v3, v4, v3, s96
	ds_read_u16 v4, v205
	ds_read_u16 v34, v205 offset:32
	ds_read_u16 v15, v205 offset:16896
	;; [unrolled: 1-line block ×5, first 2 shown]
	s_waitcnt lgkmcnt(5)
	v_perm_b32 v2, v2, v4, s96
	v_cvt_pk_f16_f32 v4, v9, v11
	s_waitcnt lgkmcnt(0)
	v_perm_b32 v27, v27, v26, s96
	v_perm_b32 v26, v16, v15, s96
	v_mfma_f32_16x16x16_f16 a[0:3], v[2:3], v[4:5], a[0:3]
	s_nop 7
	v_accvgpr_read_b32 v2, a0
	v_accvgpr_read_b32 v3, a1
	;; [unrolled: 1-line block ×4, first 2 shown]
	v_cvt_f16_f32_e32 v2, v2
	v_cvt_f16_f32_e32 v3, v3
	;; [unrolled: 1-line block ×4, first 2 shown]
	v_cvt_f32_f16_e32 v28, v2
	v_cvt_f32_f16_e32 v32, v3
	;; [unrolled: 1-line block ×4, first 2 shown]
	v_cvt_pk_f16_f32 v3, v22, v23
	v_cvt_pk_f16_f32 v2, v17, v18
	v_accvgpr_write_b32 a0, v28
	v_accvgpr_write_b32 a1, v32
	;; [unrolled: 1-line block ×4, first 2 shown]
	v_cvt_f32_f16_e32 v23, v21
	v_cvt_f32_f16_sdwa v28, v20 dst_sel:DWORD dst_unused:UNUSED_PAD src0_sel:WORD_1
	v_mfma_f32_16x16x16_f16 a[0:3], v[26:27], v[2:3], a[0:3]
	v_cvt_f32_f16_sdwa v26, v21 dst_sel:DWORD dst_unused:UNUSED_PAD src0_sel:WORD_1
	v_cvt_f32_f16_e32 v27, v20
	s_nop 5
	v_accvgpr_read_b32 v9, a2
	v_accvgpr_read_b32 v11, a3
	v_cvt_f16_f32_e32 v9, v9
	v_cvt_f16_f32_e32 v11, v11
	v_accvgpr_read_b32 v15, a0
	v_accvgpr_read_b32 v16, a1
	v_accvgpr_write_b32 a0, v23
	v_perm_b32 v9, v11, v9, s96
	ds_read_u16 v11, v205 offset:560
	ds_read_u16 v22, v205 offset:1088
	v_accvgpr_write_b32 a1, v26
	v_accvgpr_write_b32 a2, v27
	;; [unrolled: 1-line block ×3, first 2 shown]
	s_waitcnt lgkmcnt(1)
	v_perm_b32 v20, v11, v34, s96
	s_waitcnt lgkmcnt(0)
	v_perm_b32 v21, v33, v22, s96
	ds_read_u16 v23, v205 offset:16928
	ds_read_u16 v26, v205 offset:17456
	;; [unrolled: 1-line block ×4, first 2 shown]
	v_mfma_f32_16x16x16_f16 a[0:3], v[20:21], v[4:5], a[0:3]
	v_cvt_f32_f16_e32 v34, v12
	v_cvt_f32_f16_sdwa v12, v12 dst_sel:DWORD dst_unused:UNUSED_PAD src0_sel:WORD_1
	v_cvt_f16_f32_e32 v17, v15
	v_cvt_f16_f32_e32 v18, v16
	v_perm_b32 v17, v18, v17, s96
	s_nop 2
	v_accvgpr_read_b32 v11, a0
	v_accvgpr_read_b32 v20, a1
	v_accvgpr_read_b32 v21, a2
	v_accvgpr_read_b32 v22, a3
	v_cvt_f16_f32_e32 v11, v11
	v_cvt_f16_f32_e32 v20, v20
	v_cvt_f16_f32_e32 v21, v21
	v_cvt_f16_f32_e32 v22, v22
	v_cvt_f32_f16_e32 v11, v11
	v_cvt_f32_f16_e32 v32, v20
	v_cvt_f32_f16_e32 v33, v21
	v_cvt_f32_f16_e32 v22, v22
	s_waitcnt lgkmcnt(0)
	v_perm_b32 v21, v28, v27, s96
	v_perm_b32 v20, v26, v23, s96
	v_accvgpr_write_b32 a0, v11
	v_accvgpr_write_b32 a1, v32
	v_accvgpr_write_b32 a2, v33
	v_accvgpr_write_b32 a3, v22
	v_cvt_f32_f16_e32 v33, v25
	v_cvt_f32_f16_sdwa v25, v25 dst_sel:DWORD dst_unused:UNUSED_PAD src0_sel:WORD_1
	v_mfma_f32_16x16x16_f16 a[0:3], v[20:21], v[2:3], a[0:3]
	s_nop 7
	v_accvgpr_read_b32 v11, a2
	v_accvgpr_read_b32 v26, a3
	v_cvt_f16_f32_e32 v11, v11
	v_cvt_f16_f32_e32 v26, v26
	v_accvgpr_read_b32 v20, a0
	v_accvgpr_read_b32 v21, a1
	v_accvgpr_write_b32 a0, v33
	v_perm_b32 v11, v26, v11, s96
	ds_read_u16 v26, v205 offset:64
	ds_read_u16 v28, v205 offset:592
	ds_read_u16 v27, v205 offset:1120
	ds_read_u16 v32, v206 offset:64
	v_accvgpr_write_b32 a1, v25
	v_accvgpr_write_b32 a2, v34
	s_waitcnt lgkmcnt(2)
	v_perm_b32 v26, v28, v26, s96
	v_accvgpr_write_b32 a3, v12
	s_waitcnt lgkmcnt(0)
	v_perm_b32 v27, v32, v27, s96
	ds_read_u16 v28, v205 offset:16960
	ds_read_u16 v32, v205 offset:17488
	ds_read_u16 v33, v205 offset:18016
	ds_read_u16 v34, v206 offset:16960
	v_mfma_f32_16x16x16_f16 a[0:3], v[26:27], v[4:5], a[0:3]
	v_cvt_f16_f32_e32 v22, v20
	v_cvt_f16_f32_e32 v23, v21
	v_perm_b32 v22, v23, v22, s96
	s_nop 4
	v_accvgpr_read_b32 v12, a0
	v_accvgpr_read_b32 v25, a1
	v_accvgpr_read_b32 v26, a2
	v_accvgpr_read_b32 v27, a3
	v_cvt_f16_f32_e32 v12, v12
	v_cvt_f16_f32_e32 v25, v25
	v_cvt_f16_f32_e32 v26, v26
	v_cvt_f16_f32_e32 v27, v27
	v_cvt_f32_f16_e32 v12, v12
	v_cvt_f32_f16_e32 v25, v25
	v_cvt_f32_f16_e32 v38, v26
	v_cvt_f32_f16_e32 v39, v27
	s_waitcnt lgkmcnt(0)
	v_perm_b32 v27, v34, v33, s96
	v_perm_b32 v26, v32, v28, s96
	v_accvgpr_write_b32 a0, v12
	v_accvgpr_write_b32 a1, v25
	v_accvgpr_write_b32 a2, v38
	v_accvgpr_write_b32 a3, v39
	v_cvt_f32_f16_e32 v39, v31
	v_cvt_f32_f16_sdwa v31, v31 dst_sel:DWORD dst_unused:UNUSED_PAD src0_sel:WORD_1
	v_mfma_f32_16x16x16_f16 a[0:3], v[26:27], v[2:3], a[0:3]
	s_nop 7
	v_accvgpr_read_b32 v12, a2
	v_accvgpr_read_b32 v32, a3
	v_cvt_f16_f32_e32 v12, v12
	v_cvt_f16_f32_e32 v32, v32
	v_accvgpr_read_b32 v25, a0
	v_accvgpr_read_b32 v26, a1
	v_accvgpr_write_b32 a0, v39
	v_perm_b32 v12, v32, v12, s96
	ds_read_u16 v32, v205 offset:96
	ds_read_u16 v34, v205 offset:624
	ds_read_u16 v33, v205 offset:1152
	ds_read_u16 v38, v206 offset:96
	v_accvgpr_write_b32 a1, v31
	v_accvgpr_write_b32 a2, v40
	s_waitcnt lgkmcnt(2)
	v_perm_b32 v32, v34, v32, s96
	v_accvgpr_write_b32 a3, v13
	s_waitcnt lgkmcnt(0)
	v_perm_b32 v33, v38, v33, s96
	ds_read_u16 v34, v205 offset:16992
	ds_read_u16 v38, v205 offset:17520
	ds_read_u16 v39, v205 offset:18048
	ds_read_u16 v40, v206 offset:16992
	v_mfma_f32_16x16x16_f16 a[0:3], v[32:33], v[4:5], a[0:3]
	v_cvt_f16_f32_e32 v27, v25
	v_cvt_f16_f32_e32 v28, v26
	v_perm_b32 v27, v28, v27, s96
	s_nop 4
	v_accvgpr_read_b32 v13, a0
	v_accvgpr_read_b32 v31, a1
	v_accvgpr_read_b32 v32, a2
	v_accvgpr_read_b32 v33, a3
	v_cvt_f16_f32_e32 v13, v13
	v_cvt_f16_f32_e32 v31, v31
	v_cvt_f16_f32_e32 v32, v32
	v_cvt_f16_f32_e32 v33, v33
	v_cvt_f32_f16_e32 v13, v13
	v_cvt_f32_f16_e32 v31, v31
	v_cvt_f32_f16_e32 v48, v32
	v_cvt_f32_f16_e32 v92, v33
	s_waitcnt lgkmcnt(0)
	v_perm_b32 v33, v40, v39, s96
	v_perm_b32 v32, v38, v34, s96
	v_accvgpr_write_b32 a0, v13
	v_accvgpr_write_b32 a1, v31
	v_accvgpr_write_b32 a2, v48
	v_accvgpr_write_b32 a3, v92
	v_cvt_f32_f16_e32 v92, v37
	v_cvt_f32_f16_sdwa v37, v37 dst_sel:DWORD dst_unused:UNUSED_PAD src0_sel:WORD_1
	v_mfma_f32_16x16x16_f16 a[0:3], v[32:33], v[2:3], a[0:3]
	s_nop 7
	v_accvgpr_read_b32 v13, a2
	v_accvgpr_read_b32 v38, a3
	v_cvt_f16_f32_e32 v13, v13
	v_cvt_f16_f32_e32 v38, v38
	v_accvgpr_read_b32 v31, a0
	v_accvgpr_read_b32 v32, a1
	v_accvgpr_write_b32 a0, v92
	v_perm_b32 v13, v38, v13, s96
	ds_read_u16 v38, v205 offset:128
	ds_read_u16 v40, v205 offset:656
	ds_read_u16 v39, v205 offset:1184
	ds_read_u16 v48, v206 offset:128
	v_accvgpr_write_b32 a1, v37
	v_accvgpr_write_b32 a2, v100
	s_waitcnt lgkmcnt(2)
	v_perm_b32 v38, v40, v38, s96
	v_accvgpr_write_b32 a3, v14
	s_waitcnt lgkmcnt(0)
	v_perm_b32 v39, v48, v39, s96
	ds_read_u16 v40, v205 offset:17024
	ds_read_u16 v48, v205 offset:17552
	ds_read_u16 v92, v205 offset:18080
	ds_read_u16 v100, v206 offset:17024
	v_mfma_f32_16x16x16_f16 a[0:3], v[38:39], v[4:5], a[0:3]
	v_cvt_f16_f32_e32 v33, v31
	v_cvt_f16_f32_e32 v34, v32
	v_perm_b32 v33, v34, v33, s96
	s_nop 4
	v_accvgpr_read_b32 v14, a0
	v_accvgpr_read_b32 v37, a1
	;; [unrolled: 1-line block ×4, first 2 shown]
	v_cvt_f16_f32_e32 v14, v14
	v_cvt_f16_f32_e32 v37, v37
	;; [unrolled: 1-line block ×4, first 2 shown]
	v_cvt_f32_f16_e32 v14, v14
	v_cvt_f32_f16_e32 v37, v37
	;; [unrolled: 1-line block ×4, first 2 shown]
	s_waitcnt lgkmcnt(0)
	v_perm_b32 v39, v100, v92, s96
	v_perm_b32 v38, v48, v40, s96
	v_accvgpr_write_b32 a0, v14
	v_accvgpr_write_b32 a1, v37
	;; [unrolled: 1-line block ×4, first 2 shown]
	v_cvt_f32_f16_e32 v102, v93
	v_cvt_f32_f16_sdwa v93, v93 dst_sel:DWORD dst_unused:UNUSED_PAD src0_sel:WORD_1
	v_mfma_f32_16x16x16_f16 a[0:3], v[38:39], v[2:3], a[0:3]
	s_nop 7
	v_accvgpr_read_b32 v14, a2
	v_accvgpr_read_b32 v48, a3
	v_cvt_f16_f32_e32 v14, v14
	v_cvt_f16_f32_e32 v48, v48
	v_accvgpr_read_b32 v37, a0
	v_accvgpr_read_b32 v38, a1
	v_accvgpr_write_b32 a0, v102
	v_perm_b32 v14, v48, v14, s96
	ds_read_u16 v48, v205 offset:160
	ds_read_u16 v92, v205 offset:688
	;; [unrolled: 1-line block ×4, first 2 shown]
	v_accvgpr_write_b32 a1, v93
	v_accvgpr_write_b32 a2, v125
	;; [unrolled: 1-line block ×3, first 2 shown]
	v_cvt_f16_f32_e32 v39, v37
	s_waitcnt lgkmcnt(0)
	v_perm_b32 v101, v101, v100, s96
	v_perm_b32 v100, v92, v48, s96
	v_cvt_f16_f32_e32 v40, v38
	v_perm_b32 v39, v40, v39, s96
	v_mfma_f32_16x16x16_f16 a[0:3], v[100:101], v[4:5], a[0:3]
	ds_read_u16 v100, v205 offset:17056
	ds_read_u16 v102, v205 offset:17584
	;; [unrolled: 1-line block ×4, first 2 shown]
	s_waitcnt lgkmcnt(2)
	v_perm_b32 v100, v102, v100, s96
	v_cvt_f32_f16_e32 v102, v43
	s_nop 0
	v_accvgpr_read_b32 v19, a0
	v_accvgpr_read_b32 v48, a1
	;; [unrolled: 1-line block ×4, first 2 shown]
	v_cvt_f16_f32_e32 v19, v19
	v_cvt_f16_f32_e32 v48, v48
	;; [unrolled: 1-line block ×4, first 2 shown]
	v_cvt_f32_f16_e32 v19, v19
	v_cvt_f32_f16_e32 v48, v48
	;; [unrolled: 1-line block ×4, first 2 shown]
	s_waitcnt lgkmcnt(0)
	v_perm_b32 v101, v125, v101, s96
	v_accvgpr_write_b32 a0, v19
	v_accvgpr_write_b32 a1, v48
	;; [unrolled: 1-line block ×4, first 2 shown]
	v_cvt_f32_f16_sdwa v43, v43 dst_sel:DWORD dst_unused:UNUSED_PAD src0_sel:WORD_1
	s_nop 0
	v_mfma_f32_16x16x16_f16 a[0:3], v[100:101], v[2:3], a[0:3]
	s_nop 7
	v_accvgpr_read_b32 v19, a2
	v_accvgpr_read_b32 v92, a3
	v_cvt_f16_f32_e32 v19, v19
	v_cvt_f16_f32_e32 v92, v92
	v_accvgpr_read_b32 v48, a0
	v_accvgpr_read_b32 v125, a1
	v_accvgpr_write_b32 a0, v102
	v_perm_b32 v19, v92, v19, s96
	ds_read_u16 v92, v205 offset:192
	ds_read_u16 v93, v205 offset:720
	;; [unrolled: 1-line block ×4, first 2 shown]
	v_accvgpr_write_b32 a1, v43
	v_accvgpr_write_b32 a2, v126
	;; [unrolled: 1-line block ×3, first 2 shown]
	v_cvt_f16_f32_e32 v182, v48
	s_waitcnt lgkmcnt(0)
	v_perm_b32 v101, v101, v100, s96
	v_perm_b32 v100, v93, v92, s96
	v_cvt_f16_f32_e32 v183, v125
	s_nop 0
	v_mfma_f32_16x16x16_f16 a[0:3], v[100:101], v[4:5], a[0:3]
	ds_read_u16 v100, v205 offset:17088
	ds_read_u16 v102, v205 offset:17616
	;; [unrolled: 1-line block ×4, first 2 shown]
	s_waitcnt lgkmcnt(2)
	v_perm_b32 v100, v102, v100, s96
	s_nop 1
	v_accvgpr_read_b32 v24, a0
	v_accvgpr_read_b32 v43, a1
	;; [unrolled: 1-line block ×4, first 2 shown]
	v_cvt_f16_f32_e32 v24, v24
	v_cvt_f16_f32_e32 v43, v43
	v_cvt_f16_f32_e32 v92, v92
	v_cvt_f16_f32_e32 v93, v93
	v_cvt_f32_f16_e32 v24, v24
	v_cvt_f32_f16_e32 v43, v43
	;; [unrolled: 1-line block ×4, first 2 shown]
	s_waitcnt lgkmcnt(0)
	v_perm_b32 v101, v126, v101, s96
	v_accvgpr_write_b32 a0, v24
	v_accvgpr_write_b32 a1, v43
	;; [unrolled: 1-line block ×4, first 2 shown]
	s_nop 1
	v_mfma_f32_16x16x16_f16 a[0:3], v[100:101], v[2:3], a[0:3]
	s_nop 7
	v_accvgpr_read_b32 v24, a2
	v_accvgpr_read_b32 v92, a3
	v_cvt_f16_f32_e32 v24, v24
	v_cvt_f16_f32_e32 v92, v92
	v_accvgpr_read_b32 v101, a0
	v_accvgpr_read_b32 v185, a1
	v_accvgpr_write_b32 a0, v128
	v_perm_b32 v24, v92, v24, s96
	ds_read_u16 v92, v205 offset:224
	ds_read_u16 v100, v205 offset:752
	;; [unrolled: 1-line block ×4, first 2 shown]
	v_accvgpr_write_b32 a1, v113
	v_accvgpr_write_b32 a2, v129
	;; [unrolled: 1-line block ×3, first 2 shown]
	v_cvt_f16_f32_e32 v43, v101
	s_waitcnt lgkmcnt(0)
	v_perm_b32 v127, v126, v102, s96
	v_perm_b32 v126, v100, v92, s96
	v_cvt_f16_f32_e32 v93, v185
	v_perm_b32 v43, v93, v43, s96
	v_mfma_f32_16x16x16_f16 a[0:3], v[126:127], v[4:5], a[0:3]
	ds_read_u16 v127, v205 offset:17120
	ds_read_u16 v129, v205 offset:17648
	;; [unrolled: 1-line block ×4, first 2 shown]
	v_perm_b32 v93, v183, v182, s96
	s_waitcnt lgkmcnt(0)
	v_perm_b32 v131, v130, v102, s96
	s_nop 0
	v_accvgpr_read_b32 v92, a1
	v_cvt_f16_f32_e32 v113, v92
	v_accvgpr_read_b32 v92, a2
	v_accvgpr_read_b32 v88, a0
	v_cvt_f16_f32_e32 v126, v92
	v_accvgpr_read_b32 v92, a3
	v_cvt_f16_f32_e32 v88, v88
	v_cvt_f16_f32_e32 v128, v92
	v_cvt_f32_f16_e32 v92, v113
	v_cvt_f32_f16_e32 v100, v126
	;; [unrolled: 1-line block ×4, first 2 shown]
	v_perm_b32 v130, v129, v127, s96
	v_accvgpr_write_b32 a1, v92
	v_accvgpr_write_b32 a0, v88
	;; [unrolled: 1-line block ×4, first 2 shown]
	s_nop 1
	v_mfma_f32_16x16x16_f16 a[0:3], v[130:131], v[2:3], a[0:3]
	s_nop 7
	v_accvgpr_read_b32 v88, a2
	v_accvgpr_read_b32 v92, a3
	v_cvt_f16_f32_e32 v88, v88
	v_cvt_f16_f32_e32 v92, v92
	v_accvgpr_read_b32 v113, a0
	v_accvgpr_read_b32 v126, a1
	v_accvgpr_write_b32 a0, v132
	v_perm_b32 v88, v92, v88, s96
	ds_read_u16 v92, v205 offset:256
	ds_read_u16 v100, v205 offset:784
	;; [unrolled: 1-line block ×4, first 2 shown]
	v_accvgpr_write_b32 a1, v112
	v_accvgpr_write_b32 a2, v133
	s_waitcnt lgkmcnt(2)
	v_perm_b32 v130, v100, v92, s96
	v_accvgpr_write_b32 a3, v99
	s_waitcnt lgkmcnt(0)
	v_perm_b32 v131, v129, v102, s96
	v_cvt_f16_f32_e32 v127, v113
	v_cvt_f16_f32_e32 v128, v126
	v_mfma_f32_16x16x16_f16 a[0:3], v[130:131], v[4:5], a[0:3]
	ds_read_u16 v112, v205 offset:17152
	ds_read_u16 v129, v205 offset:17680
	;; [unrolled: 1-line block ×4, first 2 shown]
	v_perm_b32 v127, v128, v127, s96
	s_waitcnt lgkmcnt(0)
	v_perm_b32 v131, v131, v130, s96
	s_nop 0
	v_accvgpr_read_b32 v92, a0
	v_accvgpr_read_b32 v99, a1
	;; [unrolled: 1-line block ×4, first 2 shown]
	v_cvt_f16_f32_e32 v92, v92
	v_cvt_f16_f32_e32 v99, v99
	;; [unrolled: 1-line block ×4, first 2 shown]
	v_cvt_f32_f16_e32 v92, v92
	v_cvt_f32_f16_e32 v99, v99
	;; [unrolled: 1-line block ×4, first 2 shown]
	v_perm_b32 v130, v129, v112, s96
	v_accvgpr_write_b32 a0, v92
	v_accvgpr_write_b32 a1, v99
	;; [unrolled: 1-line block ×4, first 2 shown]
	s_nop 1
	v_mfma_f32_16x16x16_f16 a[0:3], v[130:131], v[2:3], a[0:3]
	s_nop 7
	v_accvgpr_read_b32 v92, a2
	v_accvgpr_read_b32 v99, a3
	v_cvt_f16_f32_e32 v92, v92
	v_cvt_f16_f32_e32 v99, v99
	v_accvgpr_read_b32 v112, a0
	v_accvgpr_read_b32 v129, a1
	v_accvgpr_write_b32 a0, v134
	v_perm_b32 v99, v99, v92, s96
	ds_read_u16 v92, v205 offset:288
	ds_read_u16 v100, v205 offset:816
	;; [unrolled: 1-line block ×4, first 2 shown]
	v_accvgpr_write_b32 a1, v95
	v_accvgpr_write_b32 a2, v135
	;; [unrolled: 1-line block ×3, first 2 shown]
	v_cvt_f16_f32_e32 v130, v112
	s_waitcnt lgkmcnt(0)
	v_perm_b32 v133, v132, v102, s96
	v_perm_b32 v132, v100, v92, s96
	v_cvt_f16_f32_e32 v131, v129
	v_perm_b32 v130, v131, v130, s96
	v_mfma_f32_16x16x16_f16 a[0:3], v[132:133], v[4:5], a[0:3]
	ds_read_u16 v102, v205 offset:17184
	ds_read_u16 v132, v205 offset:17712
	;; [unrolled: 1-line block ×4, first 2 shown]
	s_waitcnt lgkmcnt(2)
	v_perm_b32 v132, v132, v102, s96
	s_waitcnt lgkmcnt(0)
	v_perm_b32 v133, v134, v133, s96
	v_accvgpr_read_b32 v91, a0
	v_accvgpr_read_b32 v92, a1
	;; [unrolled: 1-line block ×4, first 2 shown]
	v_cvt_f16_f32_e32 v91, v91
	v_cvt_f16_f32_e32 v92, v92
	;; [unrolled: 1-line block ×4, first 2 shown]
	v_cvt_f32_f16_e32 v91, v91
	v_cvt_f32_f16_e32 v92, v92
	;; [unrolled: 1-line block ×4, first 2 shown]
	v_accvgpr_write_b32 a0, v91
	v_accvgpr_write_b32 a1, v92
	v_accvgpr_write_b32 a2, v95
	v_accvgpr_write_b32 a3, v100
	s_nop 1
	v_mfma_f32_16x16x16_f16 a[0:3], v[132:133], v[2:3], a[0:3]
	s_nop 7
	v_accvgpr_read_b32 v91, a2
	v_accvgpr_read_b32 v92, a3
	v_cvt_f16_f32_e32 v91, v91
	v_cvt_f16_f32_e32 v92, v92
	v_accvgpr_read_b32 v95, a0
	v_accvgpr_read_b32 v132, a1
	v_accvgpr_write_b32 a0, v138
	v_perm_b32 v91, v92, v91, s96
	ds_read_u16 v92, v205 offset:320
	ds_read_u16 v100, v205 offset:848
	;; [unrolled: 1-line block ×4, first 2 shown]
	v_accvgpr_write_b32 a1, v51
	v_accvgpr_write_b32 a2, v139
	s_waitcnt lgkmcnt(2)
	v_perm_b32 v136, v100, v92, s96
	v_accvgpr_write_b32 a3, v1
	s_waitcnt lgkmcnt(0)
	v_perm_b32 v137, v135, v102, s96
	v_cvt_f32_f16_e32 v139, v186
	v_cvt_f16_f32_e32 v133, v95
	v_mfma_f32_16x16x16_f16 a[0:3], v[136:137], v[4:5], a[0:3]
	ds_read_u16 v102, v205 offset:17216
	ds_read_u16 v135, v205 offset:17744
	;; [unrolled: 1-line block ×4, first 2 shown]
	v_cvt_f16_f32_e32 v134, v132
	s_waitcnt lgkmcnt(0)
	v_perm_b32 v137, v137, v136, s96
	s_nop 0
	v_accvgpr_read_b32 v1, a0
	v_accvgpr_read_b32 v51, a1
	;; [unrolled: 1-line block ×4, first 2 shown]
	v_cvt_f16_f32_e32 v1, v1
	v_cvt_f16_f32_e32 v51, v51
	;; [unrolled: 1-line block ×4, first 2 shown]
	v_cvt_f32_f16_e32 v1, v1
	v_cvt_f32_f16_e32 v51, v51
	;; [unrolled: 1-line block ×4, first 2 shown]
	v_perm_b32 v136, v135, v102, s96
	v_accvgpr_write_b32 a0, v1
	v_accvgpr_write_b32 a1, v51
	;; [unrolled: 1-line block ×4, first 2 shown]
	v_perm_b32 v133, v134, v133, s96
	s_nop 0
	v_mfma_f32_16x16x16_f16 a[0:3], v[136:137], v[2:3], a[0:3]
	s_nop 7
	v_accvgpr_read_b32 v1, a2
	v_accvgpr_read_b32 v51, a3
	v_cvt_f16_f32_e32 v1, v1
	v_cvt_f16_f32_e32 v51, v51
	v_accvgpr_read_b32 v135, a0
	v_accvgpr_read_b32 v136, a1
	v_accvgpr_write_b32 a0, v139
	v_perm_b32 v1, v51, v1, s96
	ds_read_u16 v51, v205 offset:352
	ds_read_u16 v92, v205 offset:880
	;; [unrolled: 1-line block ×4, first 2 shown]
	v_accvgpr_write_b32 a1, v142
	v_accvgpr_write_b32 a2, v143
	s_waitcnt lgkmcnt(2)
	v_perm_b32 v140, v92, v51, s96
	v_accvgpr_write_b32 a3, v97
	s_waitcnt lgkmcnt(0)
	v_perm_b32 v141, v102, v100, s96
	v_cvt_f16_f32_e32 v137, v135
	v_cvt_f16_f32_e32 v138, v136
	v_mfma_f32_16x16x16_f16 a[0:3], v[140:141], v[4:5], a[0:3]
	ds_read_u16 v102, v205 offset:17248
	ds_read_u16 v139, v205 offset:17776
	;; [unrolled: 1-line block ×4, first 2 shown]
	v_perm_b32 v137, v138, v137, s96
	s_waitcnt lgkmcnt(0)
	v_perm_b32 v141, v141, v140, s96
	s_nop 0
	v_accvgpr_read_b32 v51, a0
	v_accvgpr_read_b32 v92, a1
	;; [unrolled: 1-line block ×4, first 2 shown]
	v_cvt_f16_f32_e32 v51, v51
	v_cvt_f16_f32_e32 v92, v92
	;; [unrolled: 1-line block ×4, first 2 shown]
	v_cvt_f32_f16_e32 v51, v51
	v_cvt_f32_f16_e32 v92, v92
	;; [unrolled: 1-line block ×4, first 2 shown]
	v_perm_b32 v140, v139, v102, s96
	v_accvgpr_write_b32 a0, v51
	v_accvgpr_write_b32 a1, v92
	;; [unrolled: 1-line block ×4, first 2 shown]
	s_nop 1
	v_mfma_f32_16x16x16_f16 a[0:3], v[140:141], v[2:3], a[0:3]
	s_nop 7
	v_accvgpr_read_b32 v51, a2
	v_accvgpr_read_b32 v92, a3
	v_cvt_f16_f32_e32 v51, v51
	v_cvt_f16_f32_e32 v92, v92
	v_accvgpr_read_b32 v97, a0
	v_accvgpr_read_b32 v139, a1
	v_accvgpr_write_b32 a0, v144
	v_perm_b32 v51, v92, v51, s96
	ds_read_u16 v92, v205 offset:384
	ds_read_u16 v100, v205 offset:912
	;; [unrolled: 1-line block ×4, first 2 shown]
	v_accvgpr_write_b32 a1, v90
	v_accvgpr_write_b32 a2, v145
	;; [unrolled: 1-line block ×3, first 2 shown]
	v_cvt_f16_f32_e32 v140, v97
	s_waitcnt lgkmcnt(0)
	v_perm_b32 v143, v142, v102, s96
	v_perm_b32 v142, v100, v92, s96
	v_cvt_f16_f32_e32 v141, v139
	v_perm_b32 v140, v141, v140, s96
	v_mfma_f32_16x16x16_f16 a[0:3], v[142:143], v[4:5], a[0:3]
	ds_read_u16 v102, v205 offset:17280
	ds_read_u16 v142, v205 offset:17808
	;; [unrolled: 1-line block ×4, first 2 shown]
	s_waitcnt lgkmcnt(2)
	v_perm_b32 v142, v142, v102, s96
	s_waitcnt lgkmcnt(0)
	v_perm_b32 v143, v144, v143, s96
	v_accvgpr_read_b32 v89, a0
	v_accvgpr_read_b32 v90, a1
	;; [unrolled: 1-line block ×4, first 2 shown]
	v_cvt_f16_f32_e32 v89, v89
	v_cvt_f16_f32_e32 v90, v90
	v_cvt_f16_f32_e32 v92, v92
	v_cvt_f16_f32_e32 v100, v100
	v_cvt_f32_f16_e32 v89, v89
	v_cvt_f32_f16_e32 v90, v90
	;; [unrolled: 1-line block ×4, first 2 shown]
	v_accvgpr_write_b32 a0, v89
	v_accvgpr_write_b32 a1, v90
	v_accvgpr_write_b32 a2, v92
	v_accvgpr_write_b32 a3, v100
	s_nop 1
	v_mfma_f32_16x16x16_f16 a[0:3], v[142:143], v[2:3], a[0:3]
	s_nop 7
	v_accvgpr_read_b32 v89, a2
	v_accvgpr_read_b32 v92, a3
	v_cvt_f16_f32_e32 v89, v89
	v_cvt_f16_f32_e32 v92, v92
	v_accvgpr_read_b32 v90, a0
	v_accvgpr_read_b32 v142, a1
	v_accvgpr_write_b32 a0, v148
	v_perm_b32 v89, v92, v89, s96
	ds_read_u16 v92, v205 offset:416
	ds_read_u16 v100, v205 offset:944
	;; [unrolled: 1-line block ×4, first 2 shown]
	v_accvgpr_write_b32 a1, v123
	v_accvgpr_write_b32 a2, v149
	s_waitcnt lgkmcnt(2)
	v_perm_b32 v146, v100, v92, s96
	v_accvgpr_write_b32 a3, v41
	s_waitcnt lgkmcnt(0)
	v_perm_b32 v147, v145, v102, s96
	v_cvt_f16_f32_e32 v143, v90
	v_cvt_f16_f32_e32 v144, v142
	v_mfma_f32_16x16x16_f16 a[0:3], v[146:147], v[4:5], a[0:3]
	ds_read_u16 v123, v205 offset:17312
	ds_read_u16 v145, v205 offset:17840
	ds_read_u16 v146, v205 offset:18368
	ds_read_u16 v147, v206 offset:17312
	s_waitcnt lgkmcnt(0)
	v_perm_b32 v147, v147, v146, s96
	s_nop 1
	v_accvgpr_read_b32 v41, a0
	v_accvgpr_read_b32 v92, a1
	;; [unrolled: 1-line block ×4, first 2 shown]
	v_cvt_f16_f32_e32 v41, v41
	v_cvt_f16_f32_e32 v92, v92
	;; [unrolled: 1-line block ×4, first 2 shown]
	v_cvt_f32_f16_e32 v41, v41
	v_cvt_f32_f16_e32 v92, v92
	;; [unrolled: 1-line block ×4, first 2 shown]
	v_perm_b32 v146, v145, v123, s96
	v_accvgpr_write_b32 a0, v41
	v_accvgpr_write_b32 a1, v92
	;; [unrolled: 1-line block ×4, first 2 shown]
	s_nop 1
	v_mfma_f32_16x16x16_f16 a[0:3], v[146:147], v[2:3], a[0:3]
	s_nop 7
	v_accvgpr_read_b32 v41, a2
	v_accvgpr_read_b32 v92, a3
	v_cvt_f16_f32_e32 v41, v41
	v_cvt_f16_f32_e32 v92, v92
	v_accvgpr_read_b32 v123, a0
	v_accvgpr_read_b32 v145, a1
	v_accvgpr_write_b32 a0, v150
	v_perm_b32 v41, v92, v41, s96
	ds_read_u16 v92, v205 offset:448
	ds_read_u16 v100, v205 offset:976
	;; [unrolled: 1-line block ×4, first 2 shown]
	v_accvgpr_write_b32 a1, v36
	v_accvgpr_write_b32 a2, v151
	;; [unrolled: 1-line block ×3, first 2 shown]
	v_cvt_f16_f32_e32 v146, v123
	s_waitcnt lgkmcnt(0)
	v_perm_b32 v149, v148, v102, s96
	v_perm_b32 v148, v100, v92, s96
	v_cvt_f16_f32_e32 v147, v145
	s_nop 0
	v_mfma_f32_16x16x16_f16 a[0:3], v[148:149], v[4:5], a[0:3]
	ds_read_u16 v102, v205 offset:17344
	ds_read_u16 v148, v205 offset:17872
	;; [unrolled: 1-line block ×4, first 2 shown]
	s_waitcnt lgkmcnt(2)
	v_perm_b32 v148, v148, v102, s96
	s_nop 1
	v_accvgpr_read_b32 v35, a0
	v_accvgpr_read_b32 v36, a1
	v_accvgpr_read_b32 v92, a2
	v_accvgpr_read_b32 v100, a3
	v_cvt_f16_f32_e32 v35, v35
	v_cvt_f16_f32_e32 v36, v36
	v_cvt_f16_f32_e32 v92, v92
	v_cvt_f16_f32_e32 v100, v100
	v_cvt_f32_f16_e32 v35, v35
	v_cvt_f32_f16_e32 v36, v36
	;; [unrolled: 1-line block ×4, first 2 shown]
	s_waitcnt lgkmcnt(0)
	v_perm_b32 v149, v150, v149, s96
	v_accvgpr_write_b32 a0, v35
	v_accvgpr_write_b32 a1, v36
	;; [unrolled: 1-line block ×4, first 2 shown]
	s_nop 1
	v_mfma_f32_16x16x16_f16 a[0:3], v[148:149], v[2:3], a[0:3]
	s_nop 7
	v_accvgpr_read_b32 v35, a2
	v_accvgpr_read_b32 v92, a3
	v_cvt_f16_f32_e32 v35, v35
	v_cvt_f16_f32_e32 v92, v92
	v_accvgpr_read_b32 v36, a0
	v_accvgpr_read_b32 v148, a1
	v_accvgpr_write_b32 a0, v154
	v_perm_b32 v35, v92, v35, s96
	ds_read_u16 v92, v205 offset:480
	ds_read_u16 v100, v205 offset:1008
	;; [unrolled: 1-line block ×4, first 2 shown]
	v_accvgpr_write_b32 a1, v30
	v_accvgpr_write_b32 a2, v155
	s_waitcnt lgkmcnt(2)
	v_perm_b32 v152, v100, v92, s96
	v_accvgpr_write_b32 a3, v29
	s_waitcnt lgkmcnt(0)
	v_perm_b32 v153, v151, v102, s96
	v_cvt_f16_f32_e32 v149, v36
	v_cvt_f16_f32_e32 v150, v148
	v_mfma_f32_16x16x16_f16 a[0:3], v[152:153], v[4:5], a[0:3]
	s_nop 7
	v_accvgpr_read_b32 v30, a3
	v_accvgpr_read_b32 v4, a0
	;; [unrolled: 1-line block ×4, first 2 shown]
	v_cvt_f16_f32_e32 v151, v30
	ds_read_u16 v30, v205 offset:17376
	ds_read_u16 v152, v205 offset:17904
	;; [unrolled: 1-line block ×4, first 2 shown]
	v_cvt_f16_f32_e32 v4, v4
	v_cvt_f16_f32_e32 v5, v5
	;; [unrolled: 1-line block ×3, first 2 shown]
	v_cvt_f32_f16_e32 v151, v151
	v_cvt_f32_f16_e32 v92, v4
	;; [unrolled: 1-line block ×4, first 2 shown]
	s_waitcnt lgkmcnt(0)
	v_perm_b32 v5, v153, v102, s96
	v_perm_b32 v4, v152, v30, s96
	v_accvgpr_write_b32 a0, v92
	v_accvgpr_write_b32 a1, v100
	;; [unrolled: 1-line block ×4, first 2 shown]
	v_perm_b32 v100, v147, v146, s96
	v_perm_b32 v102, v144, v143, s96
	v_mfma_f32_16x16x16_f16 a[0:3], v[4:5], v[2:3], a[0:3]
	s_barrier
	s_nop 6
	v_accvgpr_read_b32 v2, a0
	v_accvgpr_read_b32 v3, a1
	;; [unrolled: 1-line block ×4, first 2 shown]
	v_cvt_f16_f32_e32 v4, v2
	v_cvt_f16_f32_e32 v5, v3
	;; [unrolled: 1-line block ×4, first 2 shown]
	v_perm_b32 v10, v5, v4, s96
	v_perm_b32 v29, v30, v29, s96
	;; [unrolled: 1-line block ×3, first 2 shown]
	s_and_saveexec_b64 s[10:11], s[14:15]
	s_cbranch_execz .LBB32_122
; %bb.121:                              ;   in Loop: Header=BB32_12 Depth=1
	v_cvt_pk_f16_f32 v3, v2, v3
	v_lshlrev_b32_e32 v2, 2, v110
	v_readfirstlane_b32 s14, v162
	v_readfirstlane_b32 s15, v163
	v_max_f32_e32 v22, v6, v6
	v_cvt_pk_f16_f32 v4, v15, v16
	v_cvt_pk_f16_f32 v10, v25, v26
	;; [unrolled: 1-line block ×4, first 2 shown]
	global_load_dword v17, v2, s[14:15]
	v_cvt_pk_f16_f32 v5, v20, v21
	v_cvt_pk_f16_f32 v16, v37, v38
	;; [unrolled: 1-line block ×11, first 2 shown]
	s_waitcnt vmcnt(0)
	v_max_f32_e32 v2, v17, v17
	v_max_f32_e32 v2, v22, v2
	v_sub_f32_e32 v6, v6, v2
	v_mul_f32_e32 v22, 0x3fb8aa3b, v6
	v_fma_f32 v27, v6, s65, -v22
	v_rndne_f32_e32 v33, v22
	v_fmac_f32_e32 v27, 0x32a5705f, v6
	v_sub_f32_e32 v22, v22, v33
	v_add_f32_e32 v22, v22, v27
	v_exp_f32_e32 v22, v22
	v_cvt_i32_f32_e32 v27, v33
	v_cmp_ngt_f32_e32 vcc, s92, v6
	v_sub_f32_e32 v34, v17, v2
	v_ldexp_f32 v22, v22, v27
	v_cndmask_b32_e32 v22, 0, v22, vcc
	v_cmp_nlt_f32_e32 vcc, s93, v6
	s_nop 1
	v_cndmask_b32_e32 v22, v224, v22, vcc
	v_cmp_le_f32_e32 vcc, s95, v6
	s_nop 1
	v_cndmask_b32_e32 v6, 0, v22, vcc
	v_cvt_f16_f32_e32 v17, v6
	v_cmp_ngt_f32_e32 vcc, s92, v34
	v_mul_u32_u24_e32 v36, 0x10001, v17
	v_pk_mul_f16 v27, v10, v36
	v_pk_mul_f16 v10, v3, v36
	v_mul_f32_e32 v3, 0x3fb8aa3b, v34
	v_pk_mul_f16 v17, v4, v36
	v_pk_mul_f16 v22, v5, v36
	v_fma_f32 v4, v34, s65, -v3
	v_rndne_f32_e32 v5, v3
	v_fmac_f32_e32 v4, 0x32a5705f, v34
	v_sub_f32_e32 v3, v3, v5
	v_add_f32_e32 v3, v3, v4
	v_exp_f32_e32 v3, v3
	v_cvt_i32_f32_e32 v4, v5
	v_pk_mul_f16 v9, v9, v36
	v_pk_mul_f16 v11, v11, v36
	;; [unrolled: 1-line block ×3, first 2 shown]
	v_ldexp_f32 v3, v3, v4
	v_cndmask_b32_e32 v3, 0, v3, vcc
	v_cmp_nlt_f32_e32 vcc, s93, v34
	v_pk_mul_f16 v33, v15, v36
	v_pk_mul_f16 v13, v13, v36
	v_cndmask_b32_e32 v3, v224, v3, vcc
	v_fmac_f32_e32 v3, v7, v6
	v_pk_mul_f16 v39, v16, v36
	v_pk_mul_f16 v14, v14, v36
	;; [unrolled: 1-line block ×23, first 2 shown]
	v_mov_b64_e32 v[6:7], v[2:3]
.LBB32_122:                             ;   in Loop: Header=BB32_12 Depth=1
	s_or_b64 exec, exec, s[10:11]
	s_and_saveexec_b64 s[10:11], s[6:7]
; %bb.123:                              ;   in Loop: Header=BB32_12 Depth=1
	v_add_u32_e32 v2, 0, v213
	ds_write2_b32 v2, v6, v7 offset0:128 offset1:129
; %bb.124:                              ;   in Loop: Header=BB32_12 Depth=1
	s_or_b64 exec, exec, s[10:11]
	s_waitcnt lgkmcnt(0)
	s_barrier
	s_and_saveexec_b64 s[10:11], s[12:13]
	s_xor_b64 s[10:11], exec, s[10:11]
	s_cbranch_execz .LBB32_126
; %bb.125:                              ;   in Loop: Header=BB32_12 Depth=1
	s_barrier
                                        ; implicit-def: $vgpr8
.LBB32_126:                             ;   in Loop: Header=BB32_12 Depth=1
	s_andn2_saveexec_b64 s[10:11], s[10:11]
	s_cbranch_execz .LBB32_132
; %bb.127:                              ;   in Loop: Header=BB32_12 Depth=1
	v_add_u32_e32 v3, 0, v214
	ds_read_b64 v[6:7], v3 offset:512
	s_waitcnt lgkmcnt(0)
	s_barrier
	ds_bpermute_b32 v2, v8, v6
	v_max_f32_e32 v4, v6, v6
	s_waitcnt lgkmcnt(0)
	v_max_f32_e32 v2, v2, v2
	v_max_f32_e32 v2, v4, v2
	v_sub_f32_e32 v4, v6, v2
	v_mul_f32_e32 v5, 0x3fb8aa3b, v4
	v_fma_f32 v6, v4, s65, -v5
	v_rndne_f32_e32 v15, v5
	v_fmac_f32_e32 v6, 0x32a5705f, v4
	v_sub_f32_e32 v5, v5, v15
	v_add_f32_e32 v5, v5, v6
	v_cvt_i32_f32_e32 v15, v15
	v_exp_f32_e32 v5, v5
	v_cmp_ngt_f32_e32 vcc, s92, v4
	v_ldexp_f32 v5, v5, v15
	s_nop 0
	v_cndmask_b32_e32 v5, 0, v5, vcc
	v_cmp_nlt_f32_e32 vcc, s93, v4
	s_nop 1
	v_cndmask_b32_e32 v4, v224, v5, vcc
	v_mul_f32_e32 v5, v7, v4
	ds_bpermute_b32 v5, v8, v5
	s_waitcnt lgkmcnt(0)
	v_fmac_f32_e32 v5, v7, v4
	s_and_saveexec_b64 s[14:15], s[8:9]
; %bb.128:                              ;   in Loop: Header=BB32_12 Depth=1
	ds_write_b64 v3, v[4:5] offset:512
; %bb.129:                              ;   in Loop: Header=BB32_12 Depth=1
	s_or_b64 exec, exec, s[14:15]
	s_and_saveexec_b64 s[14:15], s[6:7]
	s_cbranch_execz .LBB32_131
; %bb.130:                              ;   in Loop: Header=BB32_12 Depth=1
	v_mov_b32_e32 v3, v5
	v_accvgpr_read_b32 v4, a80
	v_accvgpr_read_b32 v5, a81
	global_store_dwordx2 v[4:5], v[2:3], off
.LBB32_131:                             ;   in Loop: Header=BB32_12 Depth=1
	s_or_b64 exec, exec, s[14:15]
.LBB32_132:                             ;   in Loop: Header=BB32_12 Depth=1
	s_or_b64 exec, exec, s[10:11]
	v_add_u32_e32 v2, v111, v215
	ds_write2_b32 v2, v17, v9 offset1:1
	ds_write2_b32 v2, v22, v11 offset0:8 offset1:9
	ds_write2_b32 v2, v27, v12 offset0:16 offset1:17
	;; [unrolled: 1-line block ×15, first 2 shown]
	s_waitcnt lgkmcnt(0)
	s_barrier
	s_and_saveexec_b64 s[72:73], s[0:1]
	s_cbranch_execz .LBB32_210
; %bb.133:                              ;   in Loop: Header=BB32_12 Depth=1
	v_add_u32_e32 v2, v231, v117
	v_or_b32_e32 v1, v114, v47
	v_cmp_gt_i32_e64 s[10:11], s36, v2
	v_cmp_gt_i32_e32 vcc, s76, v1
	s_and_b64 s[14:15], s[10:11], vcc
	v_mov_b32_e32 v1, 0x47
	s_and_saveexec_b64 s[10:11], s[14:15]
	s_cbranch_execz .LBB32_135
; %bb.134:                              ;   in Loop: Header=BB32_12 Depth=1
	ds_read2st64_b32 v[4:5], v236 offset1:1
	ds_read2st64_b32 v[6:7], v216 offset0:2 offset1:35
	ds_read2st64_b32 v[8:9], v236 offset0:33 offset1:34
	v_mad_u64_u32 v[2:3], s[14:15], v2, s37, v[114:115]
	v_lshl_add_u32 v2, v2, 7, v44
	s_waitcnt lgkmcnt(2)
	v_cvt_f32_f16_sdwa v11, v4 dst_sel:DWORD dst_unused:UNUSED_PAD src0_sel:WORD_1
	v_cvt_f32_f16_e32 v10, v4
	v_cvt_f32_f16_sdwa v15, v5 dst_sel:DWORD dst_unused:UNUSED_PAD src0_sel:WORD_1
	v_cvt_f32_f16_e32 v14, v5
	s_waitcnt lgkmcnt(0)
	v_cvt_f32_f16_sdwa v13, v8 dst_sel:DWORD dst_unused:UNUSED_PAD src0_sel:WORD_1
	v_cvt_f32_f16_e32 v12, v8
	v_cvt_f32_f16_sdwa v17, v9 dst_sel:DWORD dst_unused:UNUSED_PAD src0_sel:WORD_1
	v_cvt_f32_f16_e32 v16, v9
	v_ashrrev_i32_e32 v3, 31, v2
	v_pk_fma_f32 v[10:11], v[6:7], v[10:11], 0 op_sel_hi:[0,1,0]
	v_mov_b32_e32 v4, v7
	v_pk_fma_f32 v[6:7], v[6:7], v[14:15], 0 op_sel_hi:[0,1,0]
	v_lshl_add_u64 v[2:3], v[2:3], 3, v[160:161]
	v_pk_fma_f32 v[8:9], v[4:5], v[12:13], v[10:11] op_sel_hi:[0,1,1]
	v_pk_fma_f32 v[4:5], v[4:5], v[16:17], v[6:7] op_sel_hi:[0,1,1]
	v_mov_b32_e32 v1, 0
	global_store_dwordx2 v[2:3], v[8:9], off
	global_store_dwordx2 v[2:3], v[4:5], off offset:512
.LBB32_135:                             ;   in Loop: Header=BB32_12 Depth=1
	s_or_b64 exec, exec, s[10:11]
	v_cmp_gt_i32_e64 s[10:11], s97, v1
	s_mov_b64 s[14:15], -1
	s_and_saveexec_b64 s[74:75], s[10:11]
; %bb.136:                              ;   in Loop: Header=BB32_12 Depth=1
	v_cmp_eq_u32_e64 s[10:11], 0, v1
	s_orn2_b64 s[14:15], s[10:11], exec
; %bb.137:                              ;   in Loop: Header=BB32_12 Depth=1
	s_or_b64 exec, exec, s[74:75]
	s_and_b64 exec, exec, s[14:15]
	s_cbranch_execz .LBB32_210
; %bb.138:                              ;   in Loop: Header=BB32_12 Depth=1
	v_add_u32_e32 v2, v229, v117
	v_or_b32_e32 v1, v86, v47
	v_cmp_gt_i32_e64 s[10:11], s36, v2
	v_cmp_gt_i32_e64 s[14:15], s76, v1
	s_and_b64 s[14:15], s[10:11], s[14:15]
	v_mov_b32_e32 v1, 0x47
	s_and_saveexec_b64 s[10:11], s[14:15]
	s_cbranch_execz .LBB32_140
; %bb.139:                              ;   in Loop: Header=BB32_12 Depth=1
	ds_read2st64_b32 v[4:5], v237 offset1:1
	v_accvgpr_read_b32 v1, a18
	ds_read2st64_b32 v[6:7], v1 offset0:2 offset1:35
	ds_read2st64_b32 v[8:9], v237 offset0:33 offset1:34
	v_mad_u64_u32 v[2:3], s[14:15], v2, s37, v[86:87]
	s_waitcnt lgkmcnt(2)
	v_cvt_f32_f16_sdwa v11, v4 dst_sel:DWORD dst_unused:UNUSED_PAD src0_sel:WORD_1
	v_cvt_f32_f16_e32 v10, v4
	v_cvt_f32_f16_sdwa v15, v5 dst_sel:DWORD dst_unused:UNUSED_PAD src0_sel:WORD_1
	v_cvt_f32_f16_e32 v14, v5
	s_waitcnt lgkmcnt(0)
	v_cvt_f32_f16_sdwa v13, v8 dst_sel:DWORD dst_unused:UNUSED_PAD src0_sel:WORD_1
	v_cvt_f32_f16_e32 v12, v8
	v_cvt_f32_f16_sdwa v17, v9 dst_sel:DWORD dst_unused:UNUSED_PAD src0_sel:WORD_1
	v_cvt_f32_f16_e32 v16, v9
	v_lshl_add_u32 v2, v2, 7, v44
	v_ashrrev_i32_e32 v3, 31, v2
	v_pk_fma_f32 v[10:11], v[6:7], v[10:11], 0 op_sel_hi:[0,1,0]
	v_mov_b32_e32 v4, v7
	v_pk_fma_f32 v[6:7], v[6:7], v[14:15], 0 op_sel_hi:[0,1,0]
	v_lshl_add_u64 v[2:3], v[2:3], 3, v[160:161]
	v_pk_fma_f32 v[8:9], v[4:5], v[12:13], v[10:11] op_sel_hi:[0,1,1]
	v_pk_fma_f32 v[4:5], v[4:5], v[16:17], v[6:7] op_sel_hi:[0,1,1]
	v_mov_b32_e32 v1, 0
	global_store_dwordx2 v[2:3], v[8:9], off
	global_store_dwordx2 v[2:3], v[4:5], off offset:512
.LBB32_140:                             ;   in Loop: Header=BB32_12 Depth=1
	s_or_b64 exec, exec, s[10:11]
	v_cmp_gt_i32_e64 s[10:11], s97, v1
	s_mov_b64 s[14:15], -1
	s_and_saveexec_b64 s[74:75], s[10:11]
; %bb.141:                              ;   in Loop: Header=BB32_12 Depth=1
	v_cmp_eq_u32_e64 s[10:11], 0, v1
	s_orn2_b64 s[14:15], s[10:11], exec
; %bb.142:                              ;   in Loop: Header=BB32_12 Depth=1
	s_or_b64 exec, exec, s[74:75]
	s_and_b64 exec, exec, s[14:15]
	s_cbranch_execz .LBB32_210
; %bb.143:                              ;   in Loop: Header=BB32_12 Depth=1
	v_accvgpr_read_b32 v1, a57
	v_accvgpr_read_b32 v4, a58
	v_add_u32_e32 v2, v1, v117
	v_or_b32_e32 v1, v4, v47
	v_cmp_gt_i32_e64 s[10:11], s36, v2
	v_cmp_gt_i32_e64 s[14:15], s76, v1
	s_and_b64 s[14:15], s[10:11], s[14:15]
	v_mov_b32_e32 v1, 0x47
	s_and_saveexec_b64 s[10:11], s[14:15]
	s_cbranch_execz .LBB32_145
; %bb.144:                              ;   in Loop: Header=BB32_12 Depth=1
	v_accvgpr_read_b32 v8, a36
	ds_read2st64_b32 v[4:5], v8 offset1:1
	v_accvgpr_read_b32 v6, a58
	v_accvgpr_read_b32 v1, a19
	v_mad_u64_u32 v[2:3], s[14:15], v2, s37, v[6:7]
	ds_read2st64_b32 v[6:7], v1 offset0:2 offset1:35
	ds_read2st64_b32 v[8:9], v8 offset0:33 offset1:34
	s_waitcnt lgkmcnt(2)
	v_cvt_f32_f16_sdwa v11, v4 dst_sel:DWORD dst_unused:UNUSED_PAD src0_sel:WORD_1
	v_cvt_f32_f16_e32 v10, v4
	v_cvt_f32_f16_sdwa v15, v5 dst_sel:DWORD dst_unused:UNUSED_PAD src0_sel:WORD_1
	v_cvt_f32_f16_e32 v14, v5
	s_waitcnt lgkmcnt(0)
	v_cvt_f32_f16_sdwa v13, v8 dst_sel:DWORD dst_unused:UNUSED_PAD src0_sel:WORD_1
	v_cvt_f32_f16_e32 v12, v8
	v_cvt_f32_f16_sdwa v17, v9 dst_sel:DWORD dst_unused:UNUSED_PAD src0_sel:WORD_1
	v_cvt_f32_f16_e32 v16, v9
	v_lshl_add_u32 v2, v2, 7, v44
	v_ashrrev_i32_e32 v3, 31, v2
	v_pk_fma_f32 v[10:11], v[6:7], v[10:11], 0 op_sel_hi:[0,1,0]
	v_mov_b32_e32 v4, v7
	v_pk_fma_f32 v[6:7], v[6:7], v[14:15], 0 op_sel_hi:[0,1,0]
	v_lshl_add_u64 v[2:3], v[2:3], 3, v[160:161]
	v_pk_fma_f32 v[8:9], v[4:5], v[12:13], v[10:11] op_sel_hi:[0,1,1]
	v_pk_fma_f32 v[4:5], v[4:5], v[16:17], v[6:7] op_sel_hi:[0,1,1]
	v_mov_b32_e32 v1, 0
	global_store_dwordx2 v[2:3], v[8:9], off
	global_store_dwordx2 v[2:3], v[4:5], off offset:512
.LBB32_145:                             ;   in Loop: Header=BB32_12 Depth=1
	s_or_b64 exec, exec, s[10:11]
	v_cmp_gt_i32_e64 s[10:11], s97, v1
	s_mov_b64 s[14:15], -1
	s_and_saveexec_b64 s[74:75], s[10:11]
; %bb.146:                              ;   in Loop: Header=BB32_12 Depth=1
	v_cmp_eq_u32_e64 s[10:11], 0, v1
	s_orn2_b64 s[14:15], s[10:11], exec
; %bb.147:                              ;   in Loop: Header=BB32_12 Depth=1
	s_or_b64 exec, exec, s[74:75]
	s_and_b64 exec, exec, s[14:15]
	s_cbranch_execz .LBB32_210
; %bb.148:                              ;   in Loop: Header=BB32_12 Depth=1
	v_accvgpr_read_b32 v1, a59
	v_accvgpr_read_b32 v4, a60
	v_add_u32_e32 v2, v1, v117
	v_or_b32_e32 v1, v4, v47
	v_cmp_gt_i32_e64 s[10:11], s36, v2
	v_cmp_gt_i32_e64 s[14:15], s76, v1
	s_and_b64 s[14:15], s[10:11], s[14:15]
	v_mov_b32_e32 v1, 0x47
	s_and_saveexec_b64 s[10:11], s[14:15]
	s_cbranch_execz .LBB32_150
; %bb.149:                              ;   in Loop: Header=BB32_12 Depth=1
	v_accvgpr_read_b32 v8, a37
	ds_read2st64_b32 v[4:5], v8 offset1:1
	v_accvgpr_read_b32 v6, a60
	v_accvgpr_read_b32 v1, a20
	v_mad_u64_u32 v[2:3], s[14:15], v2, s37, v[6:7]
	ds_read2st64_b32 v[6:7], v1 offset0:2 offset1:35
	ds_read2st64_b32 v[8:9], v8 offset0:33 offset1:34
	s_waitcnt lgkmcnt(2)
	v_cvt_f32_f16_sdwa v11, v4 dst_sel:DWORD dst_unused:UNUSED_PAD src0_sel:WORD_1
	v_cvt_f32_f16_e32 v10, v4
	v_cvt_f32_f16_sdwa v15, v5 dst_sel:DWORD dst_unused:UNUSED_PAD src0_sel:WORD_1
	v_cvt_f32_f16_e32 v14, v5
	s_waitcnt lgkmcnt(0)
	v_cvt_f32_f16_sdwa v13, v8 dst_sel:DWORD dst_unused:UNUSED_PAD src0_sel:WORD_1
	v_cvt_f32_f16_e32 v12, v8
	v_cvt_f32_f16_sdwa v17, v9 dst_sel:DWORD dst_unused:UNUSED_PAD src0_sel:WORD_1
	v_cvt_f32_f16_e32 v16, v9
	v_lshl_add_u32 v2, v2, 7, v44
	v_ashrrev_i32_e32 v3, 31, v2
	v_pk_fma_f32 v[10:11], v[6:7], v[10:11], 0 op_sel_hi:[0,1,0]
	v_mov_b32_e32 v4, v7
	v_pk_fma_f32 v[6:7], v[6:7], v[14:15], 0 op_sel_hi:[0,1,0]
	v_lshl_add_u64 v[2:3], v[2:3], 3, v[160:161]
	v_pk_fma_f32 v[8:9], v[4:5], v[12:13], v[10:11] op_sel_hi:[0,1,1]
	v_pk_fma_f32 v[4:5], v[4:5], v[16:17], v[6:7] op_sel_hi:[0,1,1]
	v_mov_b32_e32 v1, 0
	global_store_dwordx2 v[2:3], v[8:9], off
	global_store_dwordx2 v[2:3], v[4:5], off offset:512
.LBB32_150:                             ;   in Loop: Header=BB32_12 Depth=1
	s_or_b64 exec, exec, s[10:11]
	v_cmp_gt_i32_e64 s[10:11], s97, v1
	s_mov_b64 s[14:15], -1
	s_and_saveexec_b64 s[74:75], s[10:11]
; %bb.151:                              ;   in Loop: Header=BB32_12 Depth=1
	v_cmp_eq_u32_e64 s[10:11], 0, v1
	s_orn2_b64 s[14:15], s[10:11], exec
; %bb.152:                              ;   in Loop: Header=BB32_12 Depth=1
	s_or_b64 exec, exec, s[74:75]
	s_and_b64 exec, exec, s[14:15]
	s_cbranch_execz .LBB32_210
; %bb.153:                              ;   in Loop: Header=BB32_12 Depth=1
	v_accvgpr_read_b32 v1, a21
	v_add_u32_e32 v2, v1, v117
	v_cmp_gt_i32_e64 s[10:11], s36, v2
	s_and_b64 s[14:15], s[10:11], vcc
	v_mov_b32_e32 v1, 0x47
	s_and_saveexec_b64 s[10:11], s[14:15]
	s_cbranch_execz .LBB32_155
; %bb.154:                              ;   in Loop: Header=BB32_12 Depth=1
	v_accvgpr_read_b32 v8, a38
	ds_read2st64_b32 v[4:5], v8 offset1:1
	v_accvgpr_read_b32 v1, a22
	ds_read2st64_b32 v[6:7], v1 offset0:2 offset1:35
	ds_read2st64_b32 v[8:9], v8 offset0:33 offset1:34
	v_mad_u64_u32 v[2:3], s[14:15], v2, s37, v[114:115]
	s_waitcnt lgkmcnt(2)
	v_cvt_f32_f16_sdwa v11, v4 dst_sel:DWORD dst_unused:UNUSED_PAD src0_sel:WORD_1
	v_cvt_f32_f16_e32 v10, v4
	v_cvt_f32_f16_sdwa v15, v5 dst_sel:DWORD dst_unused:UNUSED_PAD src0_sel:WORD_1
	v_cvt_f32_f16_e32 v14, v5
	s_waitcnt lgkmcnt(0)
	v_cvt_f32_f16_sdwa v13, v8 dst_sel:DWORD dst_unused:UNUSED_PAD src0_sel:WORD_1
	v_cvt_f32_f16_e32 v12, v8
	v_cvt_f32_f16_sdwa v17, v9 dst_sel:DWORD dst_unused:UNUSED_PAD src0_sel:WORD_1
	v_cvt_f32_f16_e32 v16, v9
	v_lshl_add_u32 v2, v2, 7, v44
	v_ashrrev_i32_e32 v3, 31, v2
	v_pk_fma_f32 v[10:11], v[6:7], v[10:11], 0 op_sel_hi:[0,1,0]
	v_mov_b32_e32 v4, v7
	v_pk_fma_f32 v[6:7], v[6:7], v[14:15], 0 op_sel_hi:[0,1,0]
	v_lshl_add_u64 v[2:3], v[2:3], 3, v[160:161]
	v_pk_fma_f32 v[8:9], v[4:5], v[12:13], v[10:11] op_sel_hi:[0,1,1]
	v_pk_fma_f32 v[4:5], v[4:5], v[16:17], v[6:7] op_sel_hi:[0,1,1]
	v_mov_b32_e32 v1, 0
	global_store_dwordx2 v[2:3], v[8:9], off
	global_store_dwordx2 v[2:3], v[4:5], off offset:512
.LBB32_155:                             ;   in Loop: Header=BB32_12 Depth=1
	s_or_b64 exec, exec, s[10:11]
	v_cmp_gt_i32_e64 s[10:11], s97, v1
	s_mov_b64 s[14:15], -1
	s_and_saveexec_b64 s[74:75], s[10:11]
; %bb.156:                              ;   in Loop: Header=BB32_12 Depth=1
	v_cmp_eq_u32_e64 s[10:11], 0, v1
	s_orn2_b64 s[14:15], s[10:11], exec
; %bb.157:                              ;   in Loop: Header=BB32_12 Depth=1
	s_or_b64 exec, exec, s[74:75]
	s_and_b64 exec, exec, s[14:15]
	s_cbranch_execz .LBB32_210
; %bb.158:                              ;   in Loop: Header=BB32_12 Depth=1
	v_accvgpr_read_b32 v1, a61
	v_accvgpr_read_b32 v4, a62
	v_add_u32_e32 v2, v1, v117
	v_or_b32_e32 v1, v4, v47
	v_cmp_gt_i32_e64 s[10:11], s36, v2
	v_cmp_gt_i32_e64 s[14:15], s76, v1
	s_and_b64 s[14:15], s[10:11], s[14:15]
	v_mov_b32_e32 v1, 0x47
	s_and_saveexec_b64 s[10:11], s[14:15]
	s_cbranch_execz .LBB32_160
; %bb.159:                              ;   in Loop: Header=BB32_12 Depth=1
	v_accvgpr_read_b32 v8, a39
	ds_read2st64_b32 v[4:5], v8 offset1:1
	v_accvgpr_read_b32 v6, a62
	v_accvgpr_read_b32 v1, a23
	v_mad_u64_u32 v[2:3], s[14:15], v2, s37, v[6:7]
	ds_read2st64_b32 v[6:7], v1 offset0:2 offset1:35
	ds_read2st64_b32 v[8:9], v8 offset0:33 offset1:34
	s_waitcnt lgkmcnt(2)
	v_cvt_f32_f16_sdwa v11, v4 dst_sel:DWORD dst_unused:UNUSED_PAD src0_sel:WORD_1
	v_cvt_f32_f16_e32 v10, v4
	v_cvt_f32_f16_sdwa v15, v5 dst_sel:DWORD dst_unused:UNUSED_PAD src0_sel:WORD_1
	v_cvt_f32_f16_e32 v14, v5
	s_waitcnt lgkmcnt(0)
	v_cvt_f32_f16_sdwa v13, v8 dst_sel:DWORD dst_unused:UNUSED_PAD src0_sel:WORD_1
	v_cvt_f32_f16_e32 v12, v8
	v_cvt_f32_f16_sdwa v17, v9 dst_sel:DWORD dst_unused:UNUSED_PAD src0_sel:WORD_1
	v_cvt_f32_f16_e32 v16, v9
	v_lshl_add_u32 v2, v2, 7, v44
	v_ashrrev_i32_e32 v3, 31, v2
	v_pk_fma_f32 v[10:11], v[6:7], v[10:11], 0 op_sel_hi:[0,1,0]
	v_mov_b32_e32 v4, v7
	v_pk_fma_f32 v[6:7], v[6:7], v[14:15], 0 op_sel_hi:[0,1,0]
	v_lshl_add_u64 v[2:3], v[2:3], 3, v[160:161]
	v_pk_fma_f32 v[8:9], v[4:5], v[12:13], v[10:11] op_sel_hi:[0,1,1]
	v_pk_fma_f32 v[4:5], v[4:5], v[16:17], v[6:7] op_sel_hi:[0,1,1]
	v_mov_b32_e32 v1, 0
	global_store_dwordx2 v[2:3], v[8:9], off
	global_store_dwordx2 v[2:3], v[4:5], off offset:512
.LBB32_160:                             ;   in Loop: Header=BB32_12 Depth=1
	s_or_b64 exec, exec, s[10:11]
	v_cmp_gt_i32_e64 s[10:11], s97, v1
	s_mov_b64 s[14:15], -1
	s_and_saveexec_b64 s[74:75], s[10:11]
; %bb.161:                              ;   in Loop: Header=BB32_12 Depth=1
	v_cmp_eq_u32_e64 s[10:11], 0, v1
	s_orn2_b64 s[14:15], s[10:11], exec
; %bb.162:                              ;   in Loop: Header=BB32_12 Depth=1
	s_or_b64 exec, exec, s[74:75]
	s_and_b64 exec, exec, s[14:15]
	s_cbranch_execz .LBB32_210
; %bb.163:                              ;   in Loop: Header=BB32_12 Depth=1
	v_accvgpr_read_b32 v1, a63
	v_accvgpr_read_b32 v4, a64
	v_add_u32_e32 v2, v1, v117
	v_or_b32_e32 v1, v4, v47
	v_cmp_gt_i32_e64 s[10:11], s36, v2
	v_cmp_gt_i32_e64 s[14:15], s76, v1
	s_and_b64 s[14:15], s[10:11], s[14:15]
	v_mov_b32_e32 v1, 0x47
	s_and_saveexec_b64 s[10:11], s[14:15]
	s_cbranch_execz .LBB32_165
; %bb.164:                              ;   in Loop: Header=BB32_12 Depth=1
	v_accvgpr_read_b32 v8, a40
	ds_read2st64_b32 v[4:5], v8 offset1:1
	v_accvgpr_read_b32 v6, a64
	v_accvgpr_read_b32 v1, a24
	v_mad_u64_u32 v[2:3], s[14:15], v2, s37, v[6:7]
	ds_read2st64_b32 v[6:7], v1 offset0:2 offset1:35
	ds_read2st64_b32 v[8:9], v8 offset0:33 offset1:34
	s_waitcnt lgkmcnt(2)
	v_cvt_f32_f16_sdwa v11, v4 dst_sel:DWORD dst_unused:UNUSED_PAD src0_sel:WORD_1
	v_cvt_f32_f16_e32 v10, v4
	v_cvt_f32_f16_sdwa v15, v5 dst_sel:DWORD dst_unused:UNUSED_PAD src0_sel:WORD_1
	v_cvt_f32_f16_e32 v14, v5
	s_waitcnt lgkmcnt(0)
	v_cvt_f32_f16_sdwa v13, v8 dst_sel:DWORD dst_unused:UNUSED_PAD src0_sel:WORD_1
	v_cvt_f32_f16_e32 v12, v8
	v_cvt_f32_f16_sdwa v17, v9 dst_sel:DWORD dst_unused:UNUSED_PAD src0_sel:WORD_1
	v_cvt_f32_f16_e32 v16, v9
	v_lshl_add_u32 v2, v2, 7, v44
	v_ashrrev_i32_e32 v3, 31, v2
	v_pk_fma_f32 v[10:11], v[6:7], v[10:11], 0 op_sel_hi:[0,1,0]
	v_mov_b32_e32 v4, v7
	v_pk_fma_f32 v[6:7], v[6:7], v[14:15], 0 op_sel_hi:[0,1,0]
	v_lshl_add_u64 v[2:3], v[2:3], 3, v[160:161]
	v_pk_fma_f32 v[8:9], v[4:5], v[12:13], v[10:11] op_sel_hi:[0,1,1]
	v_pk_fma_f32 v[4:5], v[4:5], v[16:17], v[6:7] op_sel_hi:[0,1,1]
	v_mov_b32_e32 v1, 0
	global_store_dwordx2 v[2:3], v[8:9], off
	global_store_dwordx2 v[2:3], v[4:5], off offset:512
.LBB32_165:                             ;   in Loop: Header=BB32_12 Depth=1
	;; [unrolled: 52-line block ×3, first 2 shown]
	s_or_b64 exec, exec, s[10:11]
	v_cmp_gt_i32_e64 s[10:11], s97, v1
	s_mov_b64 s[14:15], -1
	s_and_saveexec_b64 s[74:75], s[10:11]
; %bb.171:                              ;   in Loop: Header=BB32_12 Depth=1
	v_cmp_eq_u32_e64 s[10:11], 0, v1
	s_orn2_b64 s[14:15], s[10:11], exec
; %bb.172:                              ;   in Loop: Header=BB32_12 Depth=1
	s_or_b64 exec, exec, s[74:75]
	s_and_b64 exec, exec, s[14:15]
	s_cbranch_execz .LBB32_210
; %bb.173:                              ;   in Loop: Header=BB32_12 Depth=1
	v_accvgpr_read_b32 v1, a26
	v_add_u32_e32 v2, v1, v117
	v_cmp_gt_i32_e64 s[10:11], s36, v2
	s_and_b64 s[14:15], s[10:11], vcc
	v_mov_b32_e32 v1, 0x47
	s_and_saveexec_b64 s[10:11], s[14:15]
	s_cbranch_execz .LBB32_175
; %bb.174:                              ;   in Loop: Header=BB32_12 Depth=1
	v_accvgpr_read_b32 v8, a42
	ds_read2st64_b32 v[4:5], v8 offset1:1
	v_accvgpr_read_b32 v1, a27
	ds_read2st64_b32 v[6:7], v1 offset0:2 offset1:35
	ds_read2st64_b32 v[8:9], v8 offset0:33 offset1:34
	v_mad_u64_u32 v[2:3], s[14:15], v2, s37, v[114:115]
	s_waitcnt lgkmcnt(2)
	v_cvt_f32_f16_sdwa v11, v4 dst_sel:DWORD dst_unused:UNUSED_PAD src0_sel:WORD_1
	v_cvt_f32_f16_e32 v10, v4
	v_cvt_f32_f16_sdwa v15, v5 dst_sel:DWORD dst_unused:UNUSED_PAD src0_sel:WORD_1
	v_cvt_f32_f16_e32 v14, v5
	s_waitcnt lgkmcnt(0)
	v_cvt_f32_f16_sdwa v13, v8 dst_sel:DWORD dst_unused:UNUSED_PAD src0_sel:WORD_1
	v_cvt_f32_f16_e32 v12, v8
	v_cvt_f32_f16_sdwa v17, v9 dst_sel:DWORD dst_unused:UNUSED_PAD src0_sel:WORD_1
	v_cvt_f32_f16_e32 v16, v9
	v_lshl_add_u32 v2, v2, 7, v44
	v_ashrrev_i32_e32 v3, 31, v2
	v_pk_fma_f32 v[10:11], v[6:7], v[10:11], 0 op_sel_hi:[0,1,0]
	v_mov_b32_e32 v4, v7
	v_pk_fma_f32 v[6:7], v[6:7], v[14:15], 0 op_sel_hi:[0,1,0]
	v_lshl_add_u64 v[2:3], v[2:3], 3, v[160:161]
	v_pk_fma_f32 v[8:9], v[4:5], v[12:13], v[10:11] op_sel_hi:[0,1,1]
	v_pk_fma_f32 v[4:5], v[4:5], v[16:17], v[6:7] op_sel_hi:[0,1,1]
	v_mov_b32_e32 v1, 0
	global_store_dwordx2 v[2:3], v[8:9], off
	global_store_dwordx2 v[2:3], v[4:5], off offset:512
.LBB32_175:                             ;   in Loop: Header=BB32_12 Depth=1
	s_or_b64 exec, exec, s[10:11]
	v_cmp_gt_i32_e64 s[10:11], s97, v1
	s_mov_b64 s[14:15], -1
	s_and_saveexec_b64 s[74:75], s[10:11]
; %bb.176:                              ;   in Loop: Header=BB32_12 Depth=1
	v_cmp_eq_u32_e64 s[10:11], 0, v1
	s_orn2_b64 s[14:15], s[10:11], exec
; %bb.177:                              ;   in Loop: Header=BB32_12 Depth=1
	s_or_b64 exec, exec, s[74:75]
	s_and_b64 exec, exec, s[14:15]
	s_cbranch_execz .LBB32_210
; %bb.178:                              ;   in Loop: Header=BB32_12 Depth=1
	v_accvgpr_read_b32 v1, a67
	v_accvgpr_read_b32 v4, a68
	v_add_u32_e32 v2, v1, v117
	v_or_b32_e32 v1, v4, v47
	v_cmp_gt_i32_e64 s[10:11], s36, v2
	v_cmp_gt_i32_e64 s[14:15], s76, v1
	s_and_b64 s[14:15], s[10:11], s[14:15]
	v_mov_b32_e32 v1, 0x47
	s_and_saveexec_b64 s[10:11], s[14:15]
	s_cbranch_execz .LBB32_180
; %bb.179:                              ;   in Loop: Header=BB32_12 Depth=1
	v_accvgpr_read_b32 v8, a43
	ds_read2st64_b32 v[4:5], v8 offset1:1
	v_accvgpr_read_b32 v6, a68
	v_accvgpr_read_b32 v1, a28
	v_mad_u64_u32 v[2:3], s[14:15], v2, s37, v[6:7]
	ds_read2st64_b32 v[6:7], v1 offset0:2 offset1:35
	ds_read2st64_b32 v[8:9], v8 offset0:33 offset1:34
	s_waitcnt lgkmcnt(2)
	v_cvt_f32_f16_sdwa v11, v4 dst_sel:DWORD dst_unused:UNUSED_PAD src0_sel:WORD_1
	v_cvt_f32_f16_e32 v10, v4
	v_cvt_f32_f16_sdwa v15, v5 dst_sel:DWORD dst_unused:UNUSED_PAD src0_sel:WORD_1
	v_cvt_f32_f16_e32 v14, v5
	s_waitcnt lgkmcnt(0)
	v_cvt_f32_f16_sdwa v13, v8 dst_sel:DWORD dst_unused:UNUSED_PAD src0_sel:WORD_1
	v_cvt_f32_f16_e32 v12, v8
	v_cvt_f32_f16_sdwa v17, v9 dst_sel:DWORD dst_unused:UNUSED_PAD src0_sel:WORD_1
	v_cvt_f32_f16_e32 v16, v9
	v_lshl_add_u32 v2, v2, 7, v44
	v_ashrrev_i32_e32 v3, 31, v2
	v_pk_fma_f32 v[10:11], v[6:7], v[10:11], 0 op_sel_hi:[0,1,0]
	v_mov_b32_e32 v4, v7
	v_pk_fma_f32 v[6:7], v[6:7], v[14:15], 0 op_sel_hi:[0,1,0]
	v_lshl_add_u64 v[2:3], v[2:3], 3, v[160:161]
	v_pk_fma_f32 v[8:9], v[4:5], v[12:13], v[10:11] op_sel_hi:[0,1,1]
	v_pk_fma_f32 v[4:5], v[4:5], v[16:17], v[6:7] op_sel_hi:[0,1,1]
	v_mov_b32_e32 v1, 0
	global_store_dwordx2 v[2:3], v[8:9], off
	global_store_dwordx2 v[2:3], v[4:5], off offset:512
.LBB32_180:                             ;   in Loop: Header=BB32_12 Depth=1
	s_or_b64 exec, exec, s[10:11]
	v_cmp_gt_i32_e64 s[10:11], s97, v1
	s_mov_b64 s[14:15], -1
	s_and_saveexec_b64 s[74:75], s[10:11]
; %bb.181:                              ;   in Loop: Header=BB32_12 Depth=1
	v_cmp_eq_u32_e64 s[10:11], 0, v1
	s_orn2_b64 s[14:15], s[10:11], exec
; %bb.182:                              ;   in Loop: Header=BB32_12 Depth=1
	s_or_b64 exec, exec, s[74:75]
	s_and_b64 exec, exec, s[14:15]
	s_cbranch_execz .LBB32_210
; %bb.183:                              ;   in Loop: Header=BB32_12 Depth=1
	v_accvgpr_read_b32 v1, a69
	v_accvgpr_read_b32 v4, a70
	v_add_u32_e32 v2, v1, v117
	v_or_b32_e32 v1, v4, v47
	v_cmp_gt_i32_e64 s[10:11], s36, v2
	v_cmp_gt_i32_e64 s[14:15], s76, v1
	s_and_b64 s[14:15], s[10:11], s[14:15]
	v_mov_b32_e32 v1, 0x47
	s_and_saveexec_b64 s[10:11], s[14:15]
	s_cbranch_execz .LBB32_185
; %bb.184:                              ;   in Loop: Header=BB32_12 Depth=1
	v_accvgpr_read_b32 v8, a44
	ds_read2st64_b32 v[4:5], v8 offset1:1
	v_accvgpr_read_b32 v6, a70
	v_accvgpr_read_b32 v1, a29
	v_mad_u64_u32 v[2:3], s[14:15], v2, s37, v[6:7]
	ds_read2st64_b32 v[6:7], v1 offset0:2 offset1:35
	ds_read2st64_b32 v[8:9], v8 offset0:33 offset1:34
	s_waitcnt lgkmcnt(2)
	v_cvt_f32_f16_sdwa v11, v4 dst_sel:DWORD dst_unused:UNUSED_PAD src0_sel:WORD_1
	v_cvt_f32_f16_e32 v10, v4
	v_cvt_f32_f16_sdwa v15, v5 dst_sel:DWORD dst_unused:UNUSED_PAD src0_sel:WORD_1
	v_cvt_f32_f16_e32 v14, v5
	s_waitcnt lgkmcnt(0)
	v_cvt_f32_f16_sdwa v13, v8 dst_sel:DWORD dst_unused:UNUSED_PAD src0_sel:WORD_1
	v_cvt_f32_f16_e32 v12, v8
	v_cvt_f32_f16_sdwa v17, v9 dst_sel:DWORD dst_unused:UNUSED_PAD src0_sel:WORD_1
	v_cvt_f32_f16_e32 v16, v9
	v_lshl_add_u32 v2, v2, 7, v44
	v_ashrrev_i32_e32 v3, 31, v2
	v_pk_fma_f32 v[10:11], v[6:7], v[10:11], 0 op_sel_hi:[0,1,0]
	v_mov_b32_e32 v4, v7
	v_pk_fma_f32 v[6:7], v[6:7], v[14:15], 0 op_sel_hi:[0,1,0]
	v_lshl_add_u64 v[2:3], v[2:3], 3, v[160:161]
	v_pk_fma_f32 v[8:9], v[4:5], v[12:13], v[10:11] op_sel_hi:[0,1,1]
	v_pk_fma_f32 v[4:5], v[4:5], v[16:17], v[6:7] op_sel_hi:[0,1,1]
	v_mov_b32_e32 v1, 0
	global_store_dwordx2 v[2:3], v[8:9], off
	global_store_dwordx2 v[2:3], v[4:5], off offset:512
.LBB32_185:                             ;   in Loop: Header=BB32_12 Depth=1
	;; [unrolled: 52-line block ×3, first 2 shown]
	s_or_b64 exec, exec, s[10:11]
	v_cmp_gt_i32_e64 s[10:11], s97, v1
	s_mov_b64 s[14:15], -1
	s_and_saveexec_b64 s[74:75], s[10:11]
; %bb.191:                              ;   in Loop: Header=BB32_12 Depth=1
	v_cmp_eq_u32_e64 s[10:11], 0, v1
	s_orn2_b64 s[14:15], s[10:11], exec
; %bb.192:                              ;   in Loop: Header=BB32_12 Depth=1
	s_or_b64 exec, exec, s[74:75]
	s_and_b64 exec, exec, s[14:15]
	s_cbranch_execz .LBB32_210
; %bb.193:                              ;   in Loop: Header=BB32_12 Depth=1
	v_accvgpr_read_b32 v1, a31
	v_add_u32_e32 v2, v1, v117
	v_cmp_gt_i32_e64 s[10:11], s36, v2
	s_and_b64 s[14:15], s[10:11], vcc
	v_mov_b32_e32 v1, 0x47
	s_and_saveexec_b64 s[10:11], s[14:15]
	s_cbranch_execz .LBB32_195
; %bb.194:                              ;   in Loop: Header=BB32_12 Depth=1
	v_accvgpr_read_b32 v8, a46
	ds_read2st64_b32 v[4:5], v8 offset1:1
	v_accvgpr_read_b32 v1, a32
	ds_read2st64_b32 v[6:7], v1 offset0:2 offset1:35
	ds_read2st64_b32 v[8:9], v8 offset0:33 offset1:34
	v_mad_u64_u32 v[2:3], s[14:15], v2, s37, v[114:115]
	s_waitcnt lgkmcnt(2)
	v_cvt_f32_f16_sdwa v11, v4 dst_sel:DWORD dst_unused:UNUSED_PAD src0_sel:WORD_1
	v_cvt_f32_f16_e32 v10, v4
	v_cvt_f32_f16_sdwa v15, v5 dst_sel:DWORD dst_unused:UNUSED_PAD src0_sel:WORD_1
	v_cvt_f32_f16_e32 v14, v5
	s_waitcnt lgkmcnt(0)
	v_cvt_f32_f16_sdwa v13, v8 dst_sel:DWORD dst_unused:UNUSED_PAD src0_sel:WORD_1
	v_cvt_f32_f16_e32 v12, v8
	v_cvt_f32_f16_sdwa v17, v9 dst_sel:DWORD dst_unused:UNUSED_PAD src0_sel:WORD_1
	v_cvt_f32_f16_e32 v16, v9
	v_lshl_add_u32 v2, v2, 7, v44
	v_ashrrev_i32_e32 v3, 31, v2
	v_pk_fma_f32 v[10:11], v[6:7], v[10:11], 0 op_sel_hi:[0,1,0]
	v_mov_b32_e32 v4, v7
	v_pk_fma_f32 v[6:7], v[6:7], v[14:15], 0 op_sel_hi:[0,1,0]
	v_lshl_add_u64 v[2:3], v[2:3], 3, v[160:161]
	v_pk_fma_f32 v[8:9], v[4:5], v[12:13], v[10:11] op_sel_hi:[0,1,1]
	v_pk_fma_f32 v[4:5], v[4:5], v[16:17], v[6:7] op_sel_hi:[0,1,1]
	v_mov_b32_e32 v1, 0
	global_store_dwordx2 v[2:3], v[8:9], off
	global_store_dwordx2 v[2:3], v[4:5], off offset:512
.LBB32_195:                             ;   in Loop: Header=BB32_12 Depth=1
	s_or_b64 exec, exec, s[10:11]
	v_cmp_gt_i32_e32 vcc, s97, v1
	s_mov_b64 s[10:11], -1
	s_and_saveexec_b64 s[14:15], vcc
; %bb.196:                              ;   in Loop: Header=BB32_12 Depth=1
	v_cmp_eq_u32_e32 vcc, 0, v1
	s_orn2_b64 s[10:11], vcc, exec
; %bb.197:                              ;   in Loop: Header=BB32_12 Depth=1
	s_or_b64 exec, exec, s[14:15]
	s_and_b64 exec, exec, s[10:11]
	s_cbranch_execz .LBB32_210
; %bb.198:                              ;   in Loop: Header=BB32_12 Depth=1
	v_accvgpr_read_b32 v1, a73
	v_accvgpr_read_b32 v4, a74
	v_add_u32_e32 v2, v1, v117
	v_or_b32_e32 v1, v4, v47
	v_cmp_gt_i32_e32 vcc, s36, v2
	v_cmp_gt_i32_e64 s[10:11], s76, v1
	s_and_b64 s[14:15], vcc, s[10:11]
	v_mov_b32_e32 v1, 0x47
	s_and_saveexec_b64 s[10:11], s[14:15]
	s_cbranch_execz .LBB32_200
; %bb.199:                              ;   in Loop: Header=BB32_12 Depth=1
	v_accvgpr_read_b32 v8, a47
	ds_read2st64_b32 v[4:5], v8 offset1:1
	v_accvgpr_read_b32 v6, a74
	v_accvgpr_read_b32 v1, a33
	v_mad_u64_u32 v[2:3], s[14:15], v2, s37, v[6:7]
	ds_read2st64_b32 v[6:7], v1 offset0:2 offset1:35
	ds_read2st64_b32 v[8:9], v8 offset0:33 offset1:34
	s_waitcnt lgkmcnt(2)
	v_cvt_f32_f16_sdwa v11, v4 dst_sel:DWORD dst_unused:UNUSED_PAD src0_sel:WORD_1
	v_cvt_f32_f16_e32 v10, v4
	v_cvt_f32_f16_sdwa v15, v5 dst_sel:DWORD dst_unused:UNUSED_PAD src0_sel:WORD_1
	v_cvt_f32_f16_e32 v14, v5
	s_waitcnt lgkmcnt(0)
	v_cvt_f32_f16_sdwa v13, v8 dst_sel:DWORD dst_unused:UNUSED_PAD src0_sel:WORD_1
	v_cvt_f32_f16_e32 v12, v8
	v_cvt_f32_f16_sdwa v17, v9 dst_sel:DWORD dst_unused:UNUSED_PAD src0_sel:WORD_1
	v_cvt_f32_f16_e32 v16, v9
	v_lshl_add_u32 v2, v2, 7, v44
	v_ashrrev_i32_e32 v3, 31, v2
	v_pk_fma_f32 v[10:11], v[6:7], v[10:11], 0 op_sel_hi:[0,1,0]
	v_mov_b32_e32 v4, v7
	v_pk_fma_f32 v[6:7], v[6:7], v[14:15], 0 op_sel_hi:[0,1,0]
	v_lshl_add_u64 v[2:3], v[2:3], 3, v[160:161]
	v_pk_fma_f32 v[8:9], v[4:5], v[12:13], v[10:11] op_sel_hi:[0,1,1]
	v_pk_fma_f32 v[4:5], v[4:5], v[16:17], v[6:7] op_sel_hi:[0,1,1]
	v_mov_b32_e32 v1, 0
	global_store_dwordx2 v[2:3], v[8:9], off
	global_store_dwordx2 v[2:3], v[4:5], off offset:512
.LBB32_200:                             ;   in Loop: Header=BB32_12 Depth=1
	s_or_b64 exec, exec, s[10:11]
	v_cmp_gt_i32_e32 vcc, s97, v1
	s_mov_b64 s[10:11], -1
	s_and_saveexec_b64 s[14:15], vcc
; %bb.201:                              ;   in Loop: Header=BB32_12 Depth=1
	v_cmp_eq_u32_e32 vcc, 0, v1
	s_orn2_b64 s[10:11], vcc, exec
; %bb.202:                              ;   in Loop: Header=BB32_12 Depth=1
	s_or_b64 exec, exec, s[14:15]
	s_and_b64 exec, exec, s[10:11]
	s_cbranch_execz .LBB32_210
; %bb.203:                              ;   in Loop: Header=BB32_12 Depth=1
	v_accvgpr_read_b32 v1, a75
	v_accvgpr_read_b32 v4, a76
	v_add_u32_e32 v2, v1, v117
	v_or_b32_e32 v1, v4, v47
	v_cmp_gt_i32_e32 vcc, s36, v2
	v_cmp_gt_i32_e64 s[10:11], s76, v1
	s_and_b64 s[14:15], vcc, s[10:11]
	v_mov_b32_e32 v1, 0x47
	s_and_saveexec_b64 s[10:11], s[14:15]
	s_cbranch_execz .LBB32_205
; %bb.204:                              ;   in Loop: Header=BB32_12 Depth=1
	v_accvgpr_read_b32 v8, a48
	ds_read2st64_b32 v[4:5], v8 offset1:1
	v_accvgpr_read_b32 v6, a76
	v_accvgpr_read_b32 v1, a34
	v_mad_u64_u32 v[2:3], s[14:15], v2, s37, v[6:7]
	ds_read2st64_b32 v[6:7], v1 offset0:2 offset1:35
	ds_read2st64_b32 v[8:9], v8 offset0:33 offset1:34
	s_waitcnt lgkmcnt(2)
	v_cvt_f32_f16_sdwa v11, v4 dst_sel:DWORD dst_unused:UNUSED_PAD src0_sel:WORD_1
	v_cvt_f32_f16_e32 v10, v4
	v_cvt_f32_f16_sdwa v15, v5 dst_sel:DWORD dst_unused:UNUSED_PAD src0_sel:WORD_1
	v_cvt_f32_f16_e32 v14, v5
	s_waitcnt lgkmcnt(0)
	v_cvt_f32_f16_sdwa v13, v8 dst_sel:DWORD dst_unused:UNUSED_PAD src0_sel:WORD_1
	v_cvt_f32_f16_e32 v12, v8
	v_cvt_f32_f16_sdwa v17, v9 dst_sel:DWORD dst_unused:UNUSED_PAD src0_sel:WORD_1
	v_cvt_f32_f16_e32 v16, v9
	v_lshl_add_u32 v2, v2, 7, v44
	v_ashrrev_i32_e32 v3, 31, v2
	v_pk_fma_f32 v[10:11], v[6:7], v[10:11], 0 op_sel_hi:[0,1,0]
	v_mov_b32_e32 v4, v7
	v_pk_fma_f32 v[6:7], v[6:7], v[14:15], 0 op_sel_hi:[0,1,0]
	v_lshl_add_u64 v[2:3], v[2:3], 3, v[160:161]
	v_pk_fma_f32 v[8:9], v[4:5], v[12:13], v[10:11] op_sel_hi:[0,1,1]
	v_pk_fma_f32 v[4:5], v[4:5], v[16:17], v[6:7] op_sel_hi:[0,1,1]
	v_mov_b32_e32 v1, 0
	global_store_dwordx2 v[2:3], v[8:9], off
	global_store_dwordx2 v[2:3], v[4:5], off offset:512
.LBB32_205:                             ;   in Loop: Header=BB32_12 Depth=1
	s_or_b64 exec, exec, s[10:11]
	v_cmp_gt_i32_e32 vcc, s97, v1
	s_mov_b64 s[10:11], -1
	s_and_saveexec_b64 s[14:15], vcc
; %bb.206:                              ;   in Loop: Header=BB32_12 Depth=1
	v_cmp_eq_u32_e32 vcc, 0, v1
	s_orn2_b64 s[10:11], vcc, exec
; %bb.207:                              ;   in Loop: Header=BB32_12 Depth=1
	s_or_b64 exec, exec, s[14:15]
	s_and_b64 exec, exec, s[10:11]
	s_cbranch_execz .LBB32_210
; %bb.208:                              ;   in Loop: Header=BB32_12 Depth=1
	v_accvgpr_read_b32 v1, a77
	v_accvgpr_read_b32 v2, a78
	v_add_u32_e32 v1, v1, v117
	v_or_b32_e32 v2, v2, v47
	v_cmp_gt_i32_e32 vcc, s36, v1
	v_cmp_gt_i32_e64 s[10:11], s76, v2
	s_and_b64 s[10:11], vcc, s[10:11]
	s_and_b64 exec, exec, s[10:11]
	s_cbranch_execz .LBB32_210
; %bb.209:                              ;   in Loop: Header=BB32_12 Depth=1
	v_accvgpr_read_b32 v8, a49
	v_accvgpr_read_b32 v4, a78
	ds_read2st64_b32 v[2:3], v8 offset1:1
	v_mad_u64_u32 v[4:5], s[10:11], v1, s37, v[4:5]
	v_accvgpr_read_b32 v1, a35
	ds_read2st64_b32 v[6:7], v1 offset0:2 offset1:35
	ds_read2st64_b32 v[8:9], v8 offset0:33 offset1:34
	s_waitcnt lgkmcnt(2)
	v_cvt_f32_f16_sdwa v11, v2 dst_sel:DWORD dst_unused:UNUSED_PAD src0_sel:WORD_1
	v_cvt_f32_f16_e32 v10, v2
	v_cvt_f32_f16_sdwa v15, v3 dst_sel:DWORD dst_unused:UNUSED_PAD src0_sel:WORD_1
	v_cvt_f32_f16_e32 v14, v3
	s_waitcnt lgkmcnt(0)
	v_cvt_f32_f16_sdwa v13, v8 dst_sel:DWORD dst_unused:UNUSED_PAD src0_sel:WORD_1
	v_cvt_f32_f16_e32 v12, v8
	v_cvt_f32_f16_sdwa v17, v9 dst_sel:DWORD dst_unused:UNUSED_PAD src0_sel:WORD_1
	v_cvt_f32_f16_e32 v16, v9
	v_lshl_add_u32 v4, v4, 7, v44
	v_ashrrev_i32_e32 v5, 31, v4
	v_pk_fma_f32 v[10:11], v[6:7], v[10:11], 0 op_sel_hi:[0,1,0]
	v_mov_b32_e32 v2, v7
	v_pk_fma_f32 v[6:7], v[6:7], v[14:15], 0 op_sel_hi:[0,1,0]
	v_lshl_add_u64 v[4:5], v[4:5], 3, v[160:161]
	v_pk_fma_f32 v[8:9], v[2:3], v[12:13], v[10:11] op_sel_hi:[0,1,1]
	v_pk_fma_f32 v[2:3], v[2:3], v[16:17], v[6:7] op_sel_hi:[0,1,1]
	global_store_dwordx2 v[4:5], v[8:9], off
	global_store_dwordx2 v[4:5], v[2:3], off offset:512
.LBB32_210:                             ;   in Loop: Header=BB32_12 Depth=1
	s_or_b64 exec, exec, s[72:73]
	s_barrier
	s_branch .LBB32_11
.LBB32_211:                             ;   in Loop: Header=BB32_12 Depth=1
	v_cmp_le_i32_e64 s[10:11], s36, v119
	v_cmp_le_i32_e64 s[14:15], s76, v121
	v_cmp_gt_i32_e32 vcc, s76, v121
	s_or_b64 s[10:11], s[10:11], s[14:15]
	s_and_saveexec_b64 s[14:15], s[10:11]
	s_xor_b64 s[10:11], exec, s[14:15]
; %bb.212:                              ;   in Loop: Header=BB32_12 Depth=1
	v_add_u32_e32 v1, v235, v248
	ds_write2st64_b32 v1, v49, v49 offset1:1
                                        ; implicit-def: $vgpr119
; %bb.213:                              ;   in Loop: Header=BB32_12 Depth=1
	s_andn2_saveexec_b64 s[10:11], s[10:11]
	s_cbranch_execz .LBB32_215
; %bb.214:                              ;   in Loop: Header=BB32_12 Depth=1
	v_mad_u64_u32 v[2:3], s[14:15], v119, s57, v[116:117]
	v_ashrrev_i32_e32 v3, 31, v2
	v_lshl_add_u64 v[2:3], v[2:3], 3, v[180:181]
	global_load_dwordx2 v[4:5], v[2:3], off
	s_nop 0
	global_load_dwordx2 v[2:3], v[2:3], off offset:512
	s_waitcnt vmcnt(1)
	v_cvt_pk_f16_f32 v1, v4, v5
	s_waitcnt vmcnt(0)
	v_cvt_pk_f16_f32 v2, v2, v3
	v_pk_mul_f16 v1, v1, v253
	v_pk_mul_f16 v2, v2, v253
	ds_write2st64_b32 v106, v1, v2 offset1:1
.LBB32_215:                             ;   in Loop: Header=BB32_12 Depth=1
	s_or_b64 exec, exec, s[10:11]
	v_add_u32_e32 v1, v104, v117
	v_or_b32_e32 v2, v247, v47
	v_cmp_le_i32_e64 s[10:11], s36, v1
	v_cmp_le_i32_e64 s[14:15], s76, v2
	s_or_b64 s[10:11], s[10:11], s[14:15]
	s_and_saveexec_b64 s[14:15], s[10:11]
	s_xor_b64 s[10:11], exec, s[14:15]
; %bb.216:                              ;   in Loop: Header=BB32_12 Depth=1
	v_add_u32_e32 v1, v235, v248
	v_add_u32_e32 v1, 64, v1
	ds_write2st64_b32 v1, v49, v49 offset0:8 offset1:9
                                        ; implicit-def: $vgpr1
; %bb.217:                              ;   in Loop: Header=BB32_12 Depth=1
	s_andn2_saveexec_b64 s[10:11], s[10:11]
	s_cbranch_execz .LBB32_219
; %bb.218:                              ;   in Loop: Header=BB32_12 Depth=1
	v_mad_u64_u32 v[2:3], s[14:15], v1, s57, v[118:119]
	v_ashrrev_i32_e32 v3, 31, v2
	v_lshl_add_u64 v[2:3], v[2:3], 3, v[180:181]
	global_load_dwordx2 v[4:5], v[2:3], off
	s_nop 0
	global_load_dwordx2 v[2:3], v[2:3], off offset:512
	s_waitcnt vmcnt(1)
	v_cvt_pk_f16_f32 v1, v4, v5
	s_waitcnt vmcnt(0)
	v_cvt_pk_f16_f32 v2, v2, v3
	v_pk_mul_f16 v1, v1, v253
	v_pk_mul_f16 v2, v2, v253
	v_accvgpr_read_b32 v3, a50
	ds_write2st64_b32 v3, v1, v2 offset1:1
.LBB32_219:                             ;   in Loop: Header=BB32_12 Depth=1
	s_or_b64 exec, exec, s[10:11]
	v_add_u32_e32 v1, v246, v117
	v_cmp_le_i32_e64 s[10:11], s36, v1
	s_xor_b64 s[14:15], vcc, -1
	s_or_b64 s[10:11], s[10:11], s[14:15]
	s_and_saveexec_b64 s[72:73], s[10:11]
	s_xor_b64 s[10:11], exec, s[72:73]
; %bb.220:                              ;   in Loop: Header=BB32_12 Depth=1
	v_add_u32_e32 v1, v235, v248
	v_add_u32_e32 v1, 0x80, v1
	ds_write2st64_b32 v1, v49, v49 offset0:16 offset1:17
                                        ; implicit-def: $vgpr1
; %bb.221:                              ;   in Loop: Header=BB32_12 Depth=1
	s_andn2_saveexec_b64 s[10:11], s[10:11]
	s_cbranch_execz .LBB32_223
; %bb.222:                              ;   in Loop: Header=BB32_12 Depth=1
	v_mad_u64_u32 v[2:3], s[72:73], v1, s57, v[116:117]
	v_ashrrev_i32_e32 v3, 31, v2
	v_lshl_add_u64 v[2:3], v[2:3], 3, v[180:181]
	global_load_dwordx2 v[4:5], v[2:3], off
	s_nop 0
	global_load_dwordx2 v[2:3], v[2:3], off offset:512
	s_waitcnt vmcnt(1)
	v_cvt_pk_f16_f32 v1, v4, v5
	s_waitcnt vmcnt(0)
	v_cvt_pk_f16_f32 v2, v2, v3
	v_pk_mul_f16 v1, v1, v253
	v_pk_mul_f16 v2, v2, v253
	v_accvgpr_read_b32 v3, a51
	ds_write2st64_b32 v3, v1, v2 offset1:1
.LBB32_223:                             ;   in Loop: Header=BB32_12 Depth=1
	s_or_b64 exec, exec, s[10:11]
	v_add_u32_e32 v1, v243, v117
	v_or_b32_e32 v2, v98, v47
	v_cmp_le_i32_e32 vcc, s36, v1
	v_cmp_le_i32_e64 s[10:11], s76, v2
	s_or_b64 s[10:11], vcc, s[10:11]
	s_and_saveexec_b64 s[72:73], s[10:11]
	s_xor_b64 s[10:11], exec, s[72:73]
; %bb.224:                              ;   in Loop: Header=BB32_12 Depth=1
	v_add_u32_e32 v1, v235, v248
	v_add_u32_e32 v1, 0xc0, v1
	ds_write2st64_b32 v1, v49, v49 offset0:24 offset1:25
                                        ; implicit-def: $vgpr1
; %bb.225:                              ;   in Loop: Header=BB32_12 Depth=1
	s_andn2_saveexec_b64 s[10:11], s[10:11]
	s_cbranch_execz .LBB32_227
; %bb.226:                              ;   in Loop: Header=BB32_12 Depth=1
	v_mad_u64_u32 v[2:3], s[72:73], v1, s57, v[120:121]
	v_ashrrev_i32_e32 v3, 31, v2
	v_lshl_add_u64 v[2:3], v[2:3], 3, v[180:181]
	global_load_dwordx2 v[4:5], v[2:3], off
	s_nop 0
	global_load_dwordx2 v[2:3], v[2:3], off offset:512
	s_waitcnt vmcnt(1)
	v_cvt_pk_f16_f32 v1, v4, v5
	s_waitcnt vmcnt(0)
	v_cvt_pk_f16_f32 v2, v2, v3
	v_pk_mul_f16 v1, v1, v253
	v_pk_mul_f16 v2, v2, v253
	v_accvgpr_read_b32 v3, a52
	ds_write2st64_b32 v3, v1, v2 offset1:1
.LBB32_227:                             ;   in Loop: Header=BB32_12 Depth=1
	s_or_b64 exec, exec, s[10:11]
	v_add_u32_e32 v1, v94, v117
	v_cmp_le_i32_e32 vcc, s36, v1
	s_or_b64 s[10:11], vcc, s[14:15]
	s_and_saveexec_b64 s[72:73], s[10:11]
	s_xor_b64 s[10:11], exec, s[72:73]
; %bb.228:                              ;   in Loop: Header=BB32_12 Depth=1
	v_add_u32_e32 v1, v235, v248
	ds_write2st64_b32 v1, v49, v49 offset0:33 offset1:34
                                        ; implicit-def: $vgpr1
; %bb.229:                              ;   in Loop: Header=BB32_12 Depth=1
	s_andn2_saveexec_b64 s[10:11], s[10:11]
	s_cbranch_execz .LBB32_231
; %bb.230:                              ;   in Loop: Header=BB32_12 Depth=1
	v_mad_u64_u32 v[2:3], s[72:73], v1, s57, v[116:117]
	v_ashrrev_i32_e32 v3, 31, v2
	v_lshl_add_u64 v[2:3], v[2:3], 3, v[180:181]
	global_load_dwordx2 v[4:5], v[2:3], off
	s_nop 0
	global_load_dwordx2 v[2:3], v[2:3], off offset:512
	s_waitcnt vmcnt(1)
	v_cvt_pk_f16_f32 v1, v4, v5
	s_waitcnt vmcnt(0)
	v_cvt_pk_f16_f32 v2, v2, v3
	v_pk_mul_f16 v1, v1, v253
	v_pk_mul_f16 v2, v2, v253
	v_accvgpr_read_b32 v3, a53
	ds_write2st64_b32 v3, v1, v2 offset1:1
.LBB32_231:                             ;   in Loop: Header=BB32_12 Depth=1
	s_or_b64 exec, exec, s[10:11]
	v_add_u32_e32 v1, v96, v117
	v_or_b32_e32 v2, v242, v47
	v_cmp_le_i32_e32 vcc, s36, v1
	v_cmp_le_i32_e64 s[10:11], s76, v2
	s_or_b64 s[10:11], vcc, s[10:11]
	s_and_saveexec_b64 s[72:73], s[10:11]
	s_xor_b64 s[10:11], exec, s[72:73]
; %bb.232:                              ;   in Loop: Header=BB32_12 Depth=1
	v_add_u32_e32 v1, v235, v248
	v_add_u32_e32 v1, 64, v1
	ds_write2st64_b32 v1, v49, v49 offset0:41 offset1:42
                                        ; implicit-def: $vgpr1
; %bb.233:                              ;   in Loop: Header=BB32_12 Depth=1
	s_andn2_saveexec_b64 s[10:11], s[10:11]
	s_cbranch_execz .LBB32_235
; %bb.234:                              ;   in Loop: Header=BB32_12 Depth=1
	v_mad_u64_u32 v[2:3], s[72:73], v1, s57, v[122:123]
	v_ashrrev_i32_e32 v3, 31, v2
	v_lshl_add_u64 v[2:3], v[2:3], 3, v[180:181]
	global_load_dwordx2 v[4:5], v[2:3], off
	s_nop 0
	global_load_dwordx2 v[2:3], v[2:3], off offset:512
	s_waitcnt vmcnt(1)
	v_cvt_pk_f16_f32 v1, v4, v5
	s_waitcnt vmcnt(0)
	v_cvt_pk_f16_f32 v2, v2, v3
	v_pk_mul_f16 v1, v1, v253
	v_pk_mul_f16 v2, v2, v253
	v_accvgpr_read_b32 v3, a54
	ds_write2st64_b32 v3, v1, v2 offset1:1
.LBB32_235:                             ;   in Loop: Header=BB32_12 Depth=1
	s_or_b64 exec, exec, s[10:11]
	v_add_u32_e32 v1, v241, v117
	v_cmp_le_i32_e32 vcc, s36, v1
	s_or_b64 s[10:11], vcc, s[14:15]
	s_and_saveexec_b64 s[14:15], s[10:11]
	s_xor_b64 s[10:11], exec, s[14:15]
; %bb.236:                              ;   in Loop: Header=BB32_12 Depth=1
	v_add_u32_e32 v1, v235, v248
	v_add_u32_e32 v1, 0x80, v1
	ds_write2st64_b32 v1, v49, v49 offset0:49 offset1:50
                                        ; implicit-def: $vgpr1
; %bb.237:                              ;   in Loop: Header=BB32_12 Depth=1
	s_andn2_saveexec_b64 s[10:11], s[10:11]
	s_cbranch_execz .LBB32_239
; %bb.238:                              ;   in Loop: Header=BB32_12 Depth=1
	v_mad_u64_u32 v[2:3], s[14:15], v1, s57, v[116:117]
	v_ashrrev_i32_e32 v3, 31, v2
	v_lshl_add_u64 v[2:3], v[2:3], 3, v[180:181]
	global_load_dwordx2 v[4:5], v[2:3], off
	s_nop 0
	global_load_dwordx2 v[2:3], v[2:3], off offset:512
	s_waitcnt vmcnt(1)
	v_cvt_pk_f16_f32 v1, v4, v5
	s_waitcnt vmcnt(0)
	v_cvt_pk_f16_f32 v2, v2, v3
	v_pk_mul_f16 v1, v1, v253
	v_pk_mul_f16 v2, v2, v253
	v_accvgpr_read_b32 v3, a55
	ds_write2st64_b32 v3, v1, v2 offset1:1
.LBB32_239:                             ;   in Loop: Header=BB32_12 Depth=1
	s_or_b64 exec, exec, s[10:11]
	v_add_u32_e32 v1, v234, v117
	v_or_b32_e32 v2, v233, v47
	v_cmp_le_i32_e32 vcc, s36, v1
	v_cmp_le_i32_e64 s[10:11], s76, v2
	s_or_b64 s[10:11], vcc, s[10:11]
	s_and_saveexec_b64 s[14:15], s[10:11]
	s_xor_b64 s[10:11], exec, s[14:15]
; %bb.240:                              ;   in Loop: Header=BB32_12 Depth=1
	v_add_u32_e32 v1, v235, v248
	v_add_u32_e32 v1, 0xc0, v1
	ds_write2st64_b32 v1, v49, v49 offset0:57 offset1:58
                                        ; implicit-def: $vgpr1
                                        ; implicit-def: $vgpr180_vgpr181
; %bb.241:                              ;   in Loop: Header=BB32_12 Depth=1
	s_andn2_saveexec_b64 s[10:11], s[10:11]
	s_cbranch_execz .LBB32_243
; %bb.242:                              ;   in Loop: Header=BB32_12 Depth=1
	v_mad_u64_u32 v[2:3], s[14:15], v1, s57, v[124:125]
	v_ashrrev_i32_e32 v3, 31, v2
	v_lshl_add_u64 v[2:3], v[2:3], 3, v[180:181]
	global_load_dwordx2 v[4:5], v[2:3], off
	s_nop 0
	global_load_dwordx2 v[2:3], v[2:3], off offset:512
	s_waitcnt vmcnt(1)
	v_cvt_pk_f16_f32 v1, v4, v5
	s_waitcnt vmcnt(0)
	v_cvt_pk_f16_f32 v2, v2, v3
	v_pk_mul_f16 v1, v1, v253
	v_pk_mul_f16 v2, v2, v253
	v_accvgpr_read_b32 v3, a56
	ds_write2st64_b32 v3, v1, v2 offset1:1
.LBB32_243:                             ;   in Loop: Header=BB32_12 Depth=1
	s_or_b64 exec, exec, s[10:11]
	s_waitcnt lgkmcnt(0)
	s_barrier
	ds_read2_b64 v[30:33], v105 offset1:4
	ds_read2_b64 v[26:29], v105 offset0:8 offset1:12
	ds_read2_b64 v[22:25], v105 offset0:16 offset1:20
	;; [unrolled: 1-line block ×7, first 2 shown]
	v_cmp_gt_i32_e32 vcc, 2, v184
	s_waitcnt lgkmcnt(0)
	s_barrier
	s_cbranch_vccnz .LBB32_280
; %bb.244:                              ;   in Loop: Header=BB32_12 Depth=1
	v_add_u32_e32 v1, v117, v107
	v_mul_hi_u32 v34, s44, v1
	v_add_u32_e32 v34, v1, v34
	v_lshrrev_b32_e32 v34, s45, v34
	v_mul_lo_u32 v34, v34, s36
	v_sub_u32_e32 v1, v1, v34
	v_and_b32_e32 v34, 64, v252
	v_add_u32_e32 v34, 64, v34
	v_xor_b32_e32 v35, 32, v252
	v_cmp_lt_i32_e32 vcc, v35, v34
	v_accvgpr_read_b32 v36, a82
	v_accvgpr_read_b32 v37, a83
	v_cndmask_b32_e32 v35, v252, v35, vcc
	v_lshlrev_b32_e32 v119, 2, v35
	v_xor_b32_e32 v35, 16, v252
	v_cmp_lt_i32_e32 vcc, v35, v34
	v_add_u32_e32 v48, -1, v184
	v_mov_b32_e32 v141, 0
	v_cndmask_b32_e32 v34, v252, v35, vcc
	v_lshlrev_b32_e32 v121, 2, v34
	v_mad_i64_i32 v[34:35], s[10:11], s64, v1, v[174:175]
	v_lshl_add_u64 v[174:175], v[36:37], 0, v[34:35]
	v_accvgpr_read_b32 v36, a84
	v_lshl_add_u64 v[34:35], v[176:177], 0, v[178:179]
	v_accvgpr_read_b32 v37, a85
	;; [unrolled: 2-line block ×3, first 2 shown]
	v_accvgpr_read_b32 v37, a87
	v_lshl_add_u64 v[178:179], v[36:37], 0, v[34:35]
	v_accvgpr_read_b32 v36, a88
	v_accvgpr_read_b32 v37, a89
	v_lshl_add_u64 v[180:181], v[36:37], 0, v[34:35]
	v_accvgpr_read_b32 v36, a90
	v_accvgpr_read_b32 v37, a91
	v_lshl_add_u64 v[182:183], v[36:37], 0, v[34:35]
	v_accvgpr_read_b32 v36, a92
	v_accvgpr_read_b32 v37, a93
	v_lshl_add_u64 v[184:185], v[36:37], 0, v[34:35]
	v_accvgpr_read_b32 v36, a94
	v_accvgpr_read_b32 v37, a95
	v_lshl_add_u64 v[186:187], v[36:37], 0, v[34:35]
	v_accvgpr_read_b32 v36, a96
	v_accvgpr_read_b32 v37, a97
	v_lshl_add_u64 v[188:189], v[36:37], 0, v[34:35]
	v_accvgpr_read_b32 v36, a98
	v_accvgpr_read_b32 v37, a99
	v_lshl_add_u64 v[190:191], v[36:37], 0, v[34:35]
	v_accvgpr_read_b32 v36, a100
	v_lshl_add_u64 v[34:35], v[170:171], 0, v[172:173]
	v_accvgpr_read_b32 v37, a101
	v_lshl_add_u64 v[170:171], v[36:37], 0, v[34:35]
	v_accvgpr_read_b32 v36, a102
	v_accvgpr_read_b32 v37, a103
	v_lshl_add_u64 v[172:173], v[36:37], 0, v[34:35]
	v_accvgpr_read_b32 v36, a104
	v_accvgpr_read_b32 v37, a105
	v_lshl_add_u64 v[192:193], v[36:37], 0, v[34:35]
	v_accvgpr_read_b32 v36, a106
	v_accvgpr_read_b32 v37, a107
	v_lshl_add_u64 v[194:195], v[36:37], 0, v[34:35]
	v_accvgpr_read_b32 v36, a108
	v_accvgpr_read_b32 v37, a109
	v_lshl_add_u64 v[196:197], v[36:37], 0, v[34:35]
	v_accvgpr_read_b32 v36, a110
	v_accvgpr_read_b32 v37, a111
	v_lshl_add_u64 v[198:199], v[36:37], 0, v[34:35]
	v_accvgpr_read_b32 v36, a112
	v_accvgpr_read_b32 v37, a113
	v_lshl_add_u64 v[200:201], v[36:37], 0, v[34:35]
	v_accvgpr_read_b32 v36, a114
	v_accvgpr_read_b32 v37, a115
	v_lshl_add_u64 v[202:203], v[36:37], 0, v[34:35]
	v_mov_b32_e32 v134, 0xfeffffff
	v_mov_b32_e32 v128, 0
	;; [unrolled: 1-line block ×34, first 2 shown]
	s_and_saveexec_b64 s[10:11], s[4:5]
	s_cbranch_execz .LBB32_246
.LBB32_245:                             ;   in Loop: Header=BB32_12 Depth=1
	global_load_dword v34, v[174:175], off
	s_waitcnt vmcnt(0)
	ds_write_b32 v210, v34 offset:33792
.LBB32_246:                             ;   Parent Loop BB32_12 Depth=1
                                        ; =>  This Inner Loop Header: Depth=2
	s_or_b64 exec, exec, s[10:11]
	v_lshl_add_u64 v[34:35], v[170:171], 0, v[84:85]
	global_load_dwordx4 v[34:37], v[34:35], off
	v_lshl_add_u64 v[38:39], v[172:173], 0, v[84:85]
	v_lshl_add_u64 v[40:41], v[192:193], 0, v[84:85]
	v_lshl_add_u64 v[144:145], v[194:195], 0, v[84:85]
	v_lshl_add_u64 v[146:147], v[196:197], 0, v[84:85]
	v_lshl_add_u64 v[148:149], v[198:199], 0, v[84:85]
	v_lshl_add_u64 v[150:151], v[200:201], 0, v[84:85]
	v_lshl_add_u64 v[152:153], v[202:203], 0, v[84:85]
                                        ; implicit-def: $vgpr102
	s_waitcnt vmcnt(0)
	ds_write_b128 v109, v[34:37]
	global_load_dwordx4 v[34:37], v[38:39], off
	v_add_u32_e32 v38, 0x4000, v115
	s_waitcnt vmcnt(0)
	ds_write_b128 v254, v[34:37]
	global_load_dwordx4 v[34:37], v[40:41], off
	s_waitcnt vmcnt(0)
	ds_write_b128 v255, v[34:37]
	global_load_dwordx4 v[34:37], v[144:145], off
	s_waitcnt vmcnt(0)
	ds_write_b128 v251, v[34:37]
	global_load_dwordx4 v[34:37], v[146:147], off
	s_waitcnt vmcnt(0)
	ds_write_b128 v250, v[34:37]
	global_load_dwordx4 v[34:37], v[148:149], off
	s_waitcnt vmcnt(0)
	ds_write_b128 v249, v[34:37]
	global_load_dwordx4 v[34:37], v[150:151], off
	s_waitcnt vmcnt(0)
	ds_write_b128 v230, v[34:37]
	global_load_dwordx4 v[34:37], v[152:153], off
	s_waitcnt vmcnt(0)
	ds_write_b128 v108, v[34:37]
	s_waitcnt lgkmcnt(0)
	s_barrier
	ds_read2_b64 v[34:37], v115 offset1:4
	s_waitcnt lgkmcnt(0)
	v_mfma_f32_16x16x16_f16 a[0:3], v[34:35], v[30:31], 0
	v_mfma_f32_16x16x16_f16 a[0:3], v[36:37], v[32:33], a[0:3]
	ds_read2_b64 v[34:37], v115 offset0:8 offset1:12
	s_waitcnt lgkmcnt(0)
	v_mfma_f32_16x16x16_f16 a[0:3], v[34:35], v[26:27], a[0:3]
	v_mfma_f32_16x16x16_f16 a[0:3], v[36:37], v[28:29], a[0:3]
	ds_read2_b64 v[34:37], v115 offset0:16 offset1:20
	;; [unrolled: 4-line block ×8, first 2 shown]
	s_waitcnt lgkmcnt(0)
	v_mfma_f32_16x16x16_f16 a[4:7], v[34:35], v[30:31], 0
	s_nop 4
	v_accvgpr_read_b32 v100, a0
	v_cmp_nlt_f32_e64 s[10:11], |v100|, s47
	v_mfma_f32_16x16x16_f16 a[4:7], v[36:37], v[32:33], a[4:7]
	ds_read2_b64 v[34:37], v38 offset0:72 offset1:76
	s_waitcnt lgkmcnt(0)
	v_mfma_f32_16x16x16_f16 a[4:7], v[34:35], v[26:27], a[4:7]
	v_mfma_f32_16x16x16_f16 a[4:7], v[36:37], v[28:29], a[4:7]
	ds_read2_b64 v[34:37], v38 offset0:80 offset1:84
	s_waitcnt lgkmcnt(0)
	v_mfma_f32_16x16x16_f16 a[4:7], v[34:35], v[22:23], a[4:7]
	v_mfma_f32_16x16x16_f16 a[4:7], v[36:37], v[24:25], a[4:7]
	ds_read2_b64 v[34:37], v38 offset0:88 offset1:92
	s_waitcnt lgkmcnt(0)
	v_mfma_f32_16x16x16_f16 a[4:7], v[34:35], v[18:19], a[4:7]
	v_mfma_f32_16x16x16_f16 a[4:7], v[36:37], v[20:21], a[4:7]
	ds_read2_b64 v[34:37], v38 offset0:96 offset1:100
	s_waitcnt lgkmcnt(0)
	v_mfma_f32_16x16x16_f16 a[4:7], v[34:35], v[14:15], a[4:7]
	v_mfma_f32_16x16x16_f16 a[4:7], v[36:37], v[16:17], a[4:7]
	ds_read2_b64 v[34:37], v38 offset0:104 offset1:108
	s_waitcnt lgkmcnt(0)
	v_mfma_f32_16x16x16_f16 a[4:7], v[34:35], v[10:11], a[4:7]
	v_mfma_f32_16x16x16_f16 a[4:7], v[36:37], v[12:13], a[4:7]
	ds_read2_b64 v[34:37], v38 offset0:112 offset1:116
	s_waitcnt lgkmcnt(0)
	v_mfma_f32_16x16x16_f16 a[4:7], v[34:35], v[6:7], a[4:7]
	v_mfma_f32_16x16x16_f16 a[4:7], v[36:37], v[8:9], a[4:7]
	ds_read2_b64 v[34:37], v38 offset0:120 offset1:124
	s_waitcnt lgkmcnt(0)
	s_barrier
	v_mfma_f32_16x16x16_f16 a[4:7], v[34:35], v[2:3], a[4:7]
	v_mfma_f32_16x16x16_f16 a[4:7], v[36:37], v[4:5], a[4:7]
	s_and_saveexec_b64 s[14:15], s[10:11]
	s_xor_b64 s[10:11], exec, s[14:15]
	s_cbranch_execz .LBB32_248
; %bb.247:                              ;   in Loop: Header=BB32_246 Depth=2
	v_add_f32_e64 v34, |v100|, |v100|
	v_mul_f32_e32 v35, 0x3fb8aa3b, v34
	v_rndne_f32_e32 v36, v35
	v_sub_f32_e32 v37, v35, v36
	v_fma_f32 v35, v34, s65, -v35
	v_fmac_f32_e32 v35, 0x32a5705f, v34
	v_add_f32_e32 v35, v37, v35
	v_cvt_i32_f32_e32 v36, v36
	v_exp_f32_e32 v35, v35
	v_cmp_ngt_f32_e32 vcc, s92, v34
	v_ldexp_f32 v35, v35, v36
	s_nop 0
	v_cndmask_b32_e32 v35, 0, v35, vcc
	v_cmp_nlt_f32_e32 vcc, s93, v34
	s_nop 1
	v_cndmask_b32_e32 v34, v224, v35, vcc
	v_add_f32_e32 v34, 1.0, v34
	v_rcp_f32_e32 v34, v34
	s_nop 0
	v_fma_f32 v102, v34, -2.0, 1.0
.LBB32_248:                             ;   in Loop: Header=BB32_246 Depth=2
	s_andn2_saveexec_b64 s[10:11], s[10:11]
; %bb.249:                              ;   in Loop: Header=BB32_246 Depth=2
	v_mul_f32_e32 v34, v100, v100
	v_fmamk_f32 v35, v34, 0xbbbac73d, v226
	v_fmaak_f32 v35, v34, v35, 0xbd5c1c4e
	v_fmaak_f32 v35, v34, v35, 0x3e088382
	;; [unrolled: 1-line block ×3, first 2 shown]
	v_mul_f32_e64 v35, |v100|, v35
	v_fma_f32 v102, v34, v35, |v100|
; %bb.250:                              ;   in Loop: Header=BB32_246 Depth=2
	s_or_b64 exec, exec, s[10:11]
	v_accvgpr_read_b32 v37, a3
	v_accvgpr_read_b32 v35, a1
	;; [unrolled: 1-line block ×4, first 2 shown]
	v_cmp_nlt_f32_e64 s[10:11], |v35|, s47
                                        ; implicit-def: $vgpr34
	s_and_saveexec_b64 s[14:15], s[10:11]
	s_xor_b64 s[10:11], exec, s[14:15]
	s_cbranch_execz .LBB32_252
; %bb.251:                              ;   in Loop: Header=BB32_246 Depth=2
	v_add_f32_e64 v34, |v35|, |v35|
	v_mul_f32_e32 v38, 0x3fb8aa3b, v34
	v_rndne_f32_e32 v39, v38
	v_sub_f32_e32 v40, v38, v39
	v_fma_f32 v38, v34, s65, -v38
	v_fmac_f32_e32 v38, 0x32a5705f, v34
	v_add_f32_e32 v38, v40, v38
	v_cvt_i32_f32_e32 v39, v39
	v_exp_f32_e32 v38, v38
	v_cmp_ngt_f32_e32 vcc, s92, v34
	v_ldexp_f32 v38, v38, v39
	s_nop 0
	v_cndmask_b32_e32 v38, 0, v38, vcc
	v_cmp_nlt_f32_e32 vcc, s93, v34
	s_nop 1
	v_cndmask_b32_e32 v34, v224, v38, vcc
	v_add_f32_e32 v34, 1.0, v34
	v_rcp_f32_e32 v34, v34
	s_nop 0
	v_fma_f32 v34, v34, -2.0, 1.0
.LBB32_252:                             ;   in Loop: Header=BB32_246 Depth=2
	s_andn2_saveexec_b64 s[10:11], s[10:11]
; %bb.253:                              ;   in Loop: Header=BB32_246 Depth=2
	v_mul_f32_e32 v34, v35, v35
	v_fmamk_f32 v38, v34, 0xbbbac73d, v226
	v_fmaak_f32 v38, v34, v38, 0xbd5c1c4e
	v_fmaak_f32 v38, v34, v38, 0x3e088382
	;; [unrolled: 1-line block ×3, first 2 shown]
	v_mul_f32_e64 v38, |v35|, v38
	v_fma_f32 v34, v34, v38, |v35|
; %bb.254:                              ;   in Loop: Header=BB32_246 Depth=2
	s_or_b64 exec, exec, s[10:11]
	v_cmp_nlt_f32_e64 s[10:11], |v36|, s47
                                        ; implicit-def: $vgpr143
	s_and_saveexec_b64 s[14:15], s[10:11]
	s_xor_b64 s[10:11], exec, s[14:15]
	s_cbranch_execz .LBB32_256
; %bb.255:                              ;   in Loop: Header=BB32_246 Depth=2
	v_add_f32_e64 v38, |v36|, |v36|
	v_mul_f32_e32 v39, 0x3fb8aa3b, v38
	v_rndne_f32_e32 v40, v39
	v_sub_f32_e32 v41, v39, v40
	v_fma_f32 v39, v38, s65, -v39
	v_fmac_f32_e32 v39, 0x32a5705f, v38
	v_add_f32_e32 v39, v41, v39
	v_cvt_i32_f32_e32 v40, v40
	v_exp_f32_e32 v39, v39
	v_cmp_ngt_f32_e32 vcc, s92, v38
	v_ldexp_f32 v39, v39, v40
	s_nop 0
	v_cndmask_b32_e32 v39, 0, v39, vcc
	v_cmp_nlt_f32_e32 vcc, s93, v38
	s_nop 1
	v_cndmask_b32_e32 v38, v224, v39, vcc
	v_add_f32_e32 v38, 1.0, v38
	v_rcp_f32_e32 v38, v38
	s_nop 0
	v_fma_f32 v143, v38, -2.0, 1.0
.LBB32_256:                             ;   in Loop: Header=BB32_246 Depth=2
	s_andn2_saveexec_b64 s[10:11], s[10:11]
; %bb.257:                              ;   in Loop: Header=BB32_246 Depth=2
	v_mul_f32_e32 v38, v36, v36
	v_fmamk_f32 v39, v38, 0xbbbac73d, v226
	v_fmaak_f32 v39, v38, v39, 0xbd5c1c4e
	v_fmaak_f32 v39, v38, v39, 0x3e088382
	;; [unrolled: 1-line block ×3, first 2 shown]
	v_mul_f32_e64 v39, |v36|, v39
	v_fma_f32 v143, v38, v39, |v36|
; %bb.258:                              ;   in Loop: Header=BB32_246 Depth=2
	s_or_b64 exec, exec, s[10:11]
	v_cmp_nlt_f32_e64 s[10:11], |v37|, s47
                                        ; implicit-def: $vgpr144
	s_and_saveexec_b64 s[14:15], s[10:11]
	s_xor_b64 s[10:11], exec, s[14:15]
	s_cbranch_execz .LBB32_260
; %bb.259:                              ;   in Loop: Header=BB32_246 Depth=2
	v_add_f32_e64 v38, |v37|, |v37|
	v_mul_f32_e32 v39, 0x3fb8aa3b, v38
	v_rndne_f32_e32 v40, v39
	v_sub_f32_e32 v41, v39, v40
	v_fma_f32 v39, v38, s65, -v39
	v_fmac_f32_e32 v39, 0x32a5705f, v38
	v_add_f32_e32 v39, v41, v39
	v_cvt_i32_f32_e32 v40, v40
	v_exp_f32_e32 v39, v39
	v_cmp_ngt_f32_e32 vcc, s92, v38
	v_ldexp_f32 v39, v39, v40
	s_nop 0
	v_cndmask_b32_e32 v39, 0, v39, vcc
	v_cmp_nlt_f32_e32 vcc, s93, v38
	s_nop 1
	v_cndmask_b32_e32 v38, v224, v39, vcc
	v_add_f32_e32 v38, 1.0, v38
	v_rcp_f32_e32 v38, v38
	s_nop 0
	v_fma_f32 v144, v38, -2.0, 1.0
.LBB32_260:                             ;   in Loop: Header=BB32_246 Depth=2
	s_andn2_saveexec_b64 s[10:11], s[10:11]
; %bb.261:                              ;   in Loop: Header=BB32_246 Depth=2
	v_mul_f32_e32 v38, v37, v37
	v_fmamk_f32 v39, v38, 0xbbbac73d, v226
	v_fmaak_f32 v39, v38, v39, 0xbd5c1c4e
	v_fmaak_f32 v39, v38, v39, 0x3e088382
	;; [unrolled: 1-line block ×3, first 2 shown]
	v_mul_f32_e64 v39, |v37|, v39
	v_fma_f32 v144, v38, v39, |v37|
; %bb.262:                              ;   in Loop: Header=BB32_246 Depth=2
	s_or_b64 exec, exec, s[10:11]
	v_accvgpr_read_b32 v41, a7
	v_accvgpr_read_b32 v38, a4
	;; [unrolled: 1-line block ×4, first 2 shown]
	v_cmp_nlt_f32_e64 s[10:11], |v38|, s47
                                        ; implicit-def: $vgpr145
	s_and_saveexec_b64 s[14:15], s[10:11]
	s_xor_b64 s[10:11], exec, s[14:15]
	s_cbranch_execz .LBB32_264
; %bb.263:                              ;   in Loop: Header=BB32_246 Depth=2
	v_add_f32_e64 v145, |v38|, |v38|
	v_mul_f32_e32 v146, 0x3fb8aa3b, v145
	v_rndne_f32_e32 v147, v146
	v_sub_f32_e32 v148, v146, v147
	v_fma_f32 v146, v145, s65, -v146
	v_fmac_f32_e32 v146, 0x32a5705f, v145
	v_add_f32_e32 v146, v148, v146
	v_cvt_i32_f32_e32 v147, v147
	v_exp_f32_e32 v146, v146
	v_cmp_ngt_f32_e32 vcc, s92, v145
	v_ldexp_f32 v146, v146, v147
	s_nop 0
	v_cndmask_b32_e32 v146, 0, v146, vcc
	v_cmp_nlt_f32_e32 vcc, s93, v145
	s_nop 1
	v_cndmask_b32_e32 v145, v224, v146, vcc
	v_add_f32_e32 v145, 1.0, v145
	v_rcp_f32_e32 v145, v145
	s_nop 0
	v_fma_f32 v145, v145, -2.0, 1.0
.LBB32_264:                             ;   in Loop: Header=BB32_246 Depth=2
	s_andn2_saveexec_b64 s[10:11], s[10:11]
; %bb.265:                              ;   in Loop: Header=BB32_246 Depth=2
	v_mul_f32_e32 v145, v38, v38
	v_fmamk_f32 v146, v145, 0xbbbac73d, v226
	v_fmaak_f32 v146, v145, v146, 0xbd5c1c4e
	v_fmaak_f32 v146, v145, v146, 0x3e088382
	;; [unrolled: 1-line block ×3, first 2 shown]
	v_mul_f32_e64 v146, |v38|, v146
	v_fma_f32 v145, v145, v146, |v38|
; %bb.266:                              ;   in Loop: Header=BB32_246 Depth=2
	s_or_b64 exec, exec, s[10:11]
	v_cmp_nlt_f32_e64 s[10:11], |v39|, s47
                                        ; implicit-def: $vgpr146
	s_and_saveexec_b64 s[14:15], s[10:11]
	s_xor_b64 s[10:11], exec, s[14:15]
	s_cbranch_execz .LBB32_268
; %bb.267:                              ;   in Loop: Header=BB32_246 Depth=2
	v_add_f32_e64 v146, |v39|, |v39|
	v_mul_f32_e32 v147, 0x3fb8aa3b, v146
	v_rndne_f32_e32 v148, v147
	v_sub_f32_e32 v149, v147, v148
	v_fma_f32 v147, v146, s65, -v147
	v_fmac_f32_e32 v147, 0x32a5705f, v146
	v_add_f32_e32 v147, v149, v147
	v_cvt_i32_f32_e32 v148, v148
	v_exp_f32_e32 v147, v147
	v_cmp_ngt_f32_e32 vcc, s92, v146
	v_ldexp_f32 v147, v147, v148
	s_nop 0
	v_cndmask_b32_e32 v147, 0, v147, vcc
	v_cmp_nlt_f32_e32 vcc, s93, v146
	s_nop 1
	v_cndmask_b32_e32 v146, v224, v147, vcc
	v_add_f32_e32 v146, 1.0, v146
	v_rcp_f32_e32 v146, v146
	s_nop 0
	v_fma_f32 v146, v146, -2.0, 1.0
.LBB32_268:                             ;   in Loop: Header=BB32_246 Depth=2
	s_andn2_saveexec_b64 s[10:11], s[10:11]
; %bb.269:                              ;   in Loop: Header=BB32_246 Depth=2
	v_mul_f32_e32 v146, v39, v39
	v_fmamk_f32 v147, v146, 0xbbbac73d, v226
	v_fmaak_f32 v147, v146, v147, 0xbd5c1c4e
	v_fmaak_f32 v147, v146, v147, 0x3e088382
	;; [unrolled: 1-line block ×3, first 2 shown]
	v_mul_f32_e64 v147, |v39|, v147
	v_fma_f32 v146, v146, v147, |v39|
; %bb.270:                              ;   in Loop: Header=BB32_246 Depth=2
	s_or_b64 exec, exec, s[10:11]
	v_cmp_nlt_f32_e64 s[10:11], |v40|, s47
                                        ; implicit-def: $vgpr147
	s_and_saveexec_b64 s[14:15], s[10:11]
	s_xor_b64 s[10:11], exec, s[14:15]
	s_cbranch_execz .LBB32_272
; %bb.271:                              ;   in Loop: Header=BB32_246 Depth=2
	v_add_f32_e64 v147, |v40|, |v40|
	v_mul_f32_e32 v148, 0x3fb8aa3b, v147
	v_rndne_f32_e32 v149, v148
	v_sub_f32_e32 v150, v148, v149
	v_fma_f32 v148, v147, s65, -v148
	v_fmac_f32_e32 v148, 0x32a5705f, v147
	v_add_f32_e32 v148, v150, v148
	v_cvt_i32_f32_e32 v149, v149
	v_exp_f32_e32 v148, v148
	v_cmp_ngt_f32_e32 vcc, s92, v147
	v_ldexp_f32 v148, v148, v149
	s_nop 0
	v_cndmask_b32_e32 v148, 0, v148, vcc
	v_cmp_nlt_f32_e32 vcc, s93, v147
	s_nop 1
	v_cndmask_b32_e32 v147, v224, v148, vcc
	v_add_f32_e32 v147, 1.0, v147
	v_rcp_f32_e32 v147, v147
	s_nop 0
	v_fma_f32 v147, v147, -2.0, 1.0
.LBB32_272:                             ;   in Loop: Header=BB32_246 Depth=2
	s_andn2_saveexec_b64 s[10:11], s[10:11]
; %bb.273:                              ;   in Loop: Header=BB32_246 Depth=2
	v_mul_f32_e32 v147, v40, v40
	v_fmamk_f32 v148, v147, 0xbbbac73d, v226
	v_fmaak_f32 v148, v147, v148, 0xbd5c1c4e
	v_fmaak_f32 v148, v147, v148, 0x3e088382
	v_fmaak_f32 v148, v147, v148, 0xbeaaaa99
	v_mul_f32_e64 v148, |v40|, v148
	v_fma_f32 v147, v147, v148, |v40|
; %bb.274:                              ;   in Loop: Header=BB32_246 Depth=2
	s_or_b64 exec, exec, s[10:11]
	v_cmp_nlt_f32_e64 s[10:11], |v41|, s47
                                        ; implicit-def: $vgpr148
	s_and_saveexec_b64 s[14:15], s[10:11]
	s_xor_b64 s[10:11], exec, s[14:15]
	s_cbranch_execz .LBB32_276
; %bb.275:                              ;   in Loop: Header=BB32_246 Depth=2
	v_add_f32_e64 v148, |v41|, |v41|
	v_mul_f32_e32 v149, 0x3fb8aa3b, v148
	v_rndne_f32_e32 v150, v149
	v_sub_f32_e32 v151, v149, v150
	v_fma_f32 v149, v148, s65, -v149
	v_fmac_f32_e32 v149, 0x32a5705f, v148
	v_add_f32_e32 v149, v151, v149
	v_cvt_i32_f32_e32 v150, v150
	v_exp_f32_e32 v149, v149
	v_cmp_ngt_f32_e32 vcc, s92, v148
	v_ldexp_f32 v149, v149, v150
	s_nop 0
	v_cndmask_b32_e32 v149, 0, v149, vcc
	v_cmp_nlt_f32_e32 vcc, s93, v148
	s_nop 1
	v_cndmask_b32_e32 v148, v224, v149, vcc
	v_add_f32_e32 v148, 1.0, v148
	v_rcp_f32_e32 v148, v148
	s_nop 0
	v_fma_f32 v148, v148, -2.0, 1.0
.LBB32_276:                             ;   in Loop: Header=BB32_246 Depth=2
	s_andn2_saveexec_b64 s[10:11], s[10:11]
; %bb.277:                              ;   in Loop: Header=BB32_246 Depth=2
	v_mul_f32_e32 v148, v41, v41
	v_fmamk_f32 v149, v148, 0xbbbac73d, v226
	v_fmaak_f32 v149, v148, v149, 0xbd5c1c4e
	v_fmaak_f32 v149, v148, v149, 0x3e088382
	;; [unrolled: 1-line block ×3, first 2 shown]
	v_mul_f32_e64 v149, |v41|, v149
	v_fma_f32 v148, v148, v149, |v41|
; %bb.278:                              ;   in Loop: Header=BB32_246 Depth=2
	s_or_b64 exec, exec, s[10:11]
	v_bfi_b32 v100, s94, v102, v100
	v_bfi_b32 v102, s94, v34, v35
	v_add_u32_e32 v34, 0x8400, v204
	ds_read2_b32 v[34:35], v34 offset1:1
	v_bfi_b32 v37, s94, v144, v37
	v_bfi_b32 v36, s94, v143, v36
	;; [unrolled: 1-line block ×4, first 2 shown]
	s_waitcnt lgkmcnt(0)
	v_fma_mix_f32 v36, s3, v36, v35 op_sel_hi:[0,0,1]
	v_fma_mix_f32 v35, s3, v37, v35 op_sel:[0,0,1] op_sel_hi:[0,0,1]
	ds_read_b32 v37, v211 offset:33792
	v_fma_mix_f32 v100, s3, v100, v34 op_sel_hi:[0,0,1]
	v_fma_mix_f32 v34, s3, v102, v34 op_sel:[0,0,1] op_sel_hi:[0,0,1]
	v_bfi_b32 v40, s94, v147, v40
	v_bfi_b32 v41, s94, v148, v41
	s_waitcnt lgkmcnt(0)
	v_fma_mix_f32 v102, s3, v38, v37 op_sel_hi:[0,0,1]
	ds_read_b32 v38, v212 offset:33792
	v_fma_mix_f32 v37, s3, v39, v37 op_sel:[0,0,1] op_sel_hi:[0,0,1]
	v_lshl_add_u64 v[150:151], v[178:179], 0, v[84:85]
	v_lshl_add_u64 v[152:153], v[180:181], 0, v[84:85]
	;; [unrolled: 1-line block ×3, first 2 shown]
	s_waitcnt lgkmcnt(0)
	v_fma_mix_f32 v39, s3, v40, v38 op_sel_hi:[0,0,1]
	v_fma_mix_f32 v143, s3, v41, v38 op_sel:[0,0,1] op_sel_hi:[0,0,1]
	v_add_f32_e32 v38, 0x40051340, v100
	v_add_f32_e32 v40, 0x40051340, v34
	v_max3_f32 v38, v134, v38, v40
	v_add_f32_e32 v40, 0x40051340, v36
	v_add_f32_e32 v41, 0x40051340, v35
	v_max3_f32 v38, v38, v40, v41
	;; [unrolled: 3-line block ×4, first 2 shown]
	ds_bpermute_b32 v40, v119, v38
	v_lshl_add_u64 v[156:157], v[184:185], 0, v[84:85]
	v_lshl_add_u64 v[158:159], v[186:187], 0, v[84:85]
	v_lshl_add_u64 v[218:219], v[188:189], 0, v[84:85]
	v_lshl_add_u64 v[220:221], v[190:191], 0, v[84:85]
	s_waitcnt lgkmcnt(0)
	v_max_f32_e32 v40, v40, v40
	v_max_f32_e32 v38, v38, v40
	ds_bpermute_b32 v40, v121, v38
	v_add_u32_e32 v123, -1, v123
	v_lshl_add_u64 v[174:175], v[174:175], 0, s[70:71]
	v_lshl_add_u64 v[178:179], v[178:179], 0, s[66:67]
	;; [unrolled: 1-line block ×3, first 2 shown]
	s_waitcnt lgkmcnt(0)
	v_max_f32_e32 v40, v40, v40
	v_max_f32_e32 v38, v38, v40
	v_sub_f32_e32 v40, v100, v38
	v_mul_f32_e32 v41, 0x3fb8aa3b, v40
	v_fma_f32 v100, v40, s65, -v41
	v_rndne_f32_e32 v144, v41
	v_fmac_f32_e32 v100, 0x32a5705f, v40
	v_sub_f32_e32 v41, v41, v144
	v_add_f32_e32 v41, v41, v100
	v_exp_f32_e32 v41, v41
	v_cvt_i32_f32_e32 v100, v144
	v_cmp_ngt_f32_e32 vcc, s92, v40
	v_sub_f32_e32 v34, v34, v38
	v_sub_f32_e32 v36, v36, v38
	v_ldexp_f32 v41, v41, v100
	v_cndmask_b32_e32 v41, 0, v41, vcc
	v_cmp_nlt_f32_e32 vcc, s93, v40
	v_sub_f32_e32 v35, v35, v38
	v_lshl_add_u64 v[182:183], v[182:183], 0, s[66:67]
	v_cndmask_b32_e32 v40, v224, v41, vcc
	v_mul_f32_e32 v41, 0x3fb8aa3b, v34
	v_fma_f32 v100, v34, s65, -v41
	v_rndne_f32_e32 v144, v41
	v_fmac_f32_e32 v100, 0x32a5705f, v34
	v_sub_f32_e32 v41, v41, v144
	v_add_f32_e32 v41, v41, v100
	v_exp_f32_e32 v41, v41
	v_cvt_i32_f32_e32 v100, v144
	v_cmp_ngt_f32_e32 vcc, s92, v34
	v_lshl_add_u64 v[184:185], v[184:185], 0, s[66:67]
	v_lshl_add_u64 v[186:187], v[186:187], 0, s[66:67]
	v_ldexp_f32 v41, v41, v100
	v_mul_f32_e32 v100, 0x3fb8aa3b, v36
	v_fma_f32 v144, v36, s65, -v100
	v_rndne_f32_e32 v145, v100
	v_fmac_f32_e32 v144, 0x32a5705f, v36
	v_sub_f32_e32 v100, v100, v145
	v_add_f32_e32 v100, v100, v144
	v_exp_f32_e32 v100, v100
	v_cvt_i32_f32_e32 v144, v145
	v_cndmask_b32_e32 v41, 0, v41, vcc
	v_cmp_nlt_f32_e32 vcc, s93, v34
	v_lshl_add_u64 v[188:189], v[188:189], 0, s[66:67]
	v_ldexp_f32 v100, v100, v144
	v_cndmask_b32_e32 v41, v224, v41, vcc
	v_cmp_ngt_f32_e32 vcc, s92, v36
	v_add_f32_e32 v34, v40, v41
	v_lshl_add_u64 v[190:191], v[190:191], 0, s[66:67]
	v_cndmask_b32_e32 v100, 0, v100, vcc
	v_cmp_nlt_f32_e32 vcc, s93, v36
	v_mul_f32_e32 v36, 0x3fb8aa3b, v35
	v_rndne_f32_e32 v144, v36
	v_cndmask_b32_e32 v145, v224, v100, vcc
	v_fma_f32 v100, v35, s65, -v36
	v_fmac_f32_e32 v100, 0x32a5705f, v35
	v_sub_f32_e32 v36, v36, v144
	v_add_f32_e32 v36, v36, v100
	v_exp_f32_e32 v36, v36
	v_cvt_i32_f32_e32 v100, v144
	v_cmp_ngt_f32_e32 vcc, s92, v35
	v_add_f32_e32 v34, v145, v34
	v_lshl_add_u64 v[170:171], v[170:171], 0, s[68:69]
	v_ldexp_f32 v36, v36, v100
	v_cndmask_b32_e32 v36, 0, v36, vcc
	v_cmp_nlt_f32_e32 vcc, s93, v35
	v_sub_f32_e32 v35, v102, v38
	v_lshl_add_u64 v[172:173], v[172:173], 0, s[68:69]
	v_cndmask_b32_e32 v146, v224, v36, vcc
	v_mul_f32_e32 v36, 0x3fb8aa3b, v35
	v_fma_f32 v100, v35, s65, -v36
	v_rndne_f32_e32 v102, v36
	v_fmac_f32_e32 v100, 0x32a5705f, v35
	v_sub_f32_e32 v36, v36, v102
	v_add_f32_e32 v36, v36, v100
	v_exp_f32_e32 v36, v36
	v_cvt_i32_f32_e32 v100, v102
	v_cmp_ngt_f32_e32 vcc, s92, v35
	v_add_f32_e32 v34, v146, v34
	v_lshl_add_u64 v[192:193], v[192:193], 0, s[68:69]
	v_ldexp_f32 v36, v36, v100
	v_cndmask_b32_e32 v36, 0, v36, vcc
	v_cmp_nlt_f32_e32 vcc, s93, v35
	v_sub_f32_e32 v35, v37, v38
	v_lshl_add_u64 v[194:195], v[194:195], 0, s[68:69]
	v_cndmask_b32_e32 v147, v224, v36, vcc
	v_mul_f32_e32 v36, 0x3fb8aa3b, v35
	v_fma_f32 v37, v35, s65, -v36
	v_rndne_f32_e32 v100, v36
	;; [unrolled: 17-line block ×4, first 2 shown]
	v_fmac_f32_e32 v37, 0x32a5705f, v35
	v_sub_f32_e32 v36, v36, v39
	v_add_f32_e32 v36, v36, v37
	v_exp_f32_e32 v36, v36
	v_cvt_i32_f32_e32 v37, v39
	v_cmp_ngt_f32_e32 vcc, s92, v35
	v_add_f32_e32 v34, v100, v34
	v_ldexp_f32 v36, v36, v37
	v_cndmask_b32_e32 v36, 0, v36, vcc
	v_cmp_nlt_f32_e32 vcc, s93, v35
	s_nop 1
	v_cndmask_b32_e32 v149, v224, v36, vcc
	v_add_f32_e32 v39, v149, v34
	v_sub_f32_e32 v34, v134, v38
	v_mul_f32_e32 v35, 0x3fb8aa3b, v34
	v_fma_f32 v36, v34, s65, -v35
	v_rndne_f32_e32 v37, v35
	v_fmac_f32_e32 v36, 0x32a5705f, v34
	v_sub_f32_e32 v35, v35, v37
	v_add_f32_e32 v35, v35, v36
	v_exp_f32_e32 v35, v35
	v_cvt_i32_f32_e32 v36, v37
	v_cmp_ngt_f32_e32 vcc, s92, v34
	v_ldexp_f32 v35, v35, v36
	s_nop 0
	v_cndmask_b32_e32 v35, 0, v35, vcc
	v_cmp_nlt_f32_e32 vcc, s93, v34
	s_nop 1
	v_cndmask_b32_e32 v35, v224, v35, vcc
	v_cmp_le_f32_e32 vcc, s95, v34
	s_nop 1
	v_cndmask_b32_e32 v34, 0, v35, vcc
	v_fmac_f32_e32 v39, v128, v34
	v_cvt_f16_f32_e32 v34, v34
	v_cmp_ne_u32_e32 vcc, 0, v123
	s_and_b64 vcc, exec, vcc
	v_mul_u32_u24_e32 v34, 0x10001, v34
	v_pk_mul_f16 v128, v127, v34
	v_pk_mul_f16 v125, v125, v34
	;; [unrolled: 1-line block ×32, first 2 shown]
	v_lshl_add_u64 v[34:35], v[176:177], 0, v[84:85]
	global_load_dwordx4 v[34:37], v[34:35], off
	v_cvt_f32_f16_e32 v91, v128
	v_cvt_f32_f16_sdwa v128, v128 dst_sel:DWORD dst_unused:UNUSED_PAD src0_sel:WORD_1
	v_cvt_f32_f16_e32 v133, v125
	v_cvt_f32_f16_sdwa v125, v125 dst_sel:DWORD dst_unused:UNUSED_PAD src0_sel:WORD_1
	v_accvgpr_write_b32 a0, v91
	v_accvgpr_write_b32 a1, v128
	;; [unrolled: 1-line block ×4, first 2 shown]
	v_cvt_f32_f16_sdwa v225, v112 dst_sel:DWORD dst_unused:UNUSED_PAD src0_sel:WORD_1
	v_cvt_f32_f16_e32 v244, v43
	v_cvt_f32_f16_sdwa v43, v43 dst_sel:DWORD dst_unused:UNUSED_PAD src0_sel:WORD_1
	v_cvt_f32_f16_e32 v92, v227
	;; [unrolled: 2-line block ×3, first 2 shown]
	v_cvt_f32_f16_sdwa v239, v239 dst_sel:DWORD dst_unused:UNUSED_PAD src0_sel:WORD_1
	v_lshl_add_u64 v[176:177], v[176:177], 0, s[66:67]
	s_waitcnt vmcnt(0)
	ds_write_b128 v109, v[34:37]
	global_load_dwordx4 v[34:37], v[150:151], off
	s_waitcnt vmcnt(0)
	ds_write_b128 v254, v[34:37]
	global_load_dwordx4 v[34:37], v[152:153], off
	v_cvt_f32_f16_e32 v152, v137
	v_cvt_f32_f16_sdwa v137, v137 dst_sel:DWORD dst_unused:UNUSED_PAD src0_sel:WORD_1
	s_waitcnt vmcnt(0)
	ds_write_b128 v255, v[34:37]
	global_load_dwordx4 v[34:37], v[154:155], off
	v_cvt_f32_f16_e32 v154, v135
	v_cvt_f32_f16_sdwa v135, v135 dst_sel:DWORD dst_unused:UNUSED_PAD src0_sel:WORD_1
	;; [unrolled: 5-line block ×4, first 2 shown]
	v_cvt_f32_f16_e32 v159, v112
	s_waitcnt vmcnt(0)
	ds_write_b128 v249, v[34:37]
	global_load_dwordx4 v[34:37], v[218:219], off
	s_waitcnt vmcnt(0)
	ds_write_b128 v230, v[34:37]
	global_load_dwordx4 v[34:37], v[220:221], off
	s_waitcnt vmcnt(0)
	ds_write_b128 v108, v[34:37]
	s_waitcnt lgkmcnt(0)
	s_barrier
	ds_read_u16 v34, v205 offset:528
	ds_read_u16 v35, v205 offset:1056
	ds_read_u16 v36, v206
	ds_read_u16 v134, v206 offset:32
	v_cvt_pk_f16_f32 v37, v145, v146
	s_waitcnt lgkmcnt(1)
	v_perm_b32 v35, v36, v35, s96
	ds_read_u16 v36, v205
	ds_read_u16 v141, v205 offset:32
	ds_read_u16 v91, v205 offset:16896
	;; [unrolled: 1-line block ×5, first 2 shown]
	s_waitcnt lgkmcnt(5)
	v_perm_b32 v34, v34, v36, s96
	v_cvt_pk_f16_f32 v36, v40, v41
	s_nop 1
	v_mfma_f32_16x16x16_f16 a[0:3], v[34:35], v[36:37], a[0:3]
	s_nop 7
	v_accvgpr_read_b32 v34, a0
	v_accvgpr_read_b32 v35, a1
	;; [unrolled: 1-line block ×4, first 2 shown]
	v_cvt_f16_f32_e32 v34, v34
	v_cvt_f16_f32_e32 v35, v35
	;; [unrolled: 1-line block ×4, first 2 shown]
	v_cvt_f32_f16_e32 v142, v34
	v_cvt_f32_f16_e32 v145, v35
	v_cvt_f32_f16_e32 v146, v40
	v_cvt_f32_f16_e32 v150, v41
	s_waitcnt lgkmcnt(0)
	v_perm_b32 v41, v133, v128, s96
	v_perm_b32 v40, v125, v91, s96
	v_cvt_pk_f16_f32 v35, v100, v149
	ds_read_u16 v91, v205 offset:560
	ds_read_u16 v100, v205 offset:1088
	v_cvt_pk_f16_f32 v34, v147, v148
	v_accvgpr_write_b32 a0, v142
	v_accvgpr_write_b32 a1, v145
	;; [unrolled: 1-line block ×4, first 2 shown]
	v_cvt_f32_f16_e32 v128, v102
	v_cvt_f32_f16_sdwa v102, v102 dst_sel:DWORD dst_unused:UNUSED_PAD src0_sel:WORD_1
	v_mfma_f32_16x16x16_f16 a[0:3], v[40:41], v[34:35], a[0:3]
	v_cvt_f32_f16_e32 v133, v101
	v_cvt_f32_f16_sdwa v142, v101 dst_sel:DWORD dst_unused:UNUSED_PAD src0_sel:WORD_1
	s_waitcnt lgkmcnt(0)
	v_perm_b32 v101, v134, v100, s96
	v_perm_b32 v100, v91, v141, s96
	v_cvt_f32_f16_e32 v149, v139
	v_cvt_f32_f16_sdwa v139, v139 dst_sel:DWORD dst_unused:UNUSED_PAD src0_sel:WORD_1
	s_nop 0
	v_accvgpr_read_b32 v40, a0
	v_accvgpr_read_b32 v41, a1
	;; [unrolled: 1-line block ×4, first 2 shown]
	v_accvgpr_write_b32 a0, v128
	v_accvgpr_write_b32 a1, v102
	;; [unrolled: 1-line block ×4, first 2 shown]
	ds_read_u16 v128, v205 offset:16928
	ds_read_u16 v133, v205 offset:17456
	ds_read_u16 v134, v205 offset:17984
	ds_read_u16 v141, v206 offset:16928
	v_mfma_f32_16x16x16_f16 a[0:3], v[100:101], v[36:37], a[0:3]
	v_cvt_pk_f16_f32 v125, v125, v220
	s_nop 6
	v_accvgpr_read_b32 v91, a0
	v_accvgpr_read_b32 v100, a1
	;; [unrolled: 1-line block ×4, first 2 shown]
	v_cvt_f16_f32_e32 v91, v91
	v_cvt_f16_f32_e32 v100, v100
	;; [unrolled: 1-line block ×4, first 2 shown]
	v_cvt_f32_f16_e32 v91, v91
	v_cvt_f32_f16_e32 v142, v100
	;; [unrolled: 1-line block ×4, first 2 shown]
	s_waitcnt lgkmcnt(0)
	v_perm_b32 v101, v141, v134, s96
	v_perm_b32 v100, v133, v128, s96
	v_accvgpr_write_b32 a0, v91
	v_accvgpr_write_b32 a1, v142
	;; [unrolled: 1-line block ×4, first 2 shown]
	v_cvt_f32_f16_e32 v128, v90
	v_cvt_f32_f16_sdwa v133, v90 dst_sel:DWORD dst_unused:UNUSED_PAD src0_sel:WORD_1
	v_mfma_f32_16x16x16_f16 a[0:3], v[100:101], v[34:35], a[0:3]
	ds_read_u16 v100, v205 offset:64
	ds_read_u16 v101, v205 offset:592
	;; [unrolled: 1-line block ×4, first 2 shown]
	v_cvt_f32_f16_e32 v134, v89
	v_cvt_f32_f16_sdwa v89, v89 dst_sel:DWORD dst_unused:UNUSED_PAD src0_sel:WORD_1
	s_waitcnt lgkmcnt(2)
	v_perm_b32 v90, v101, v100, s96
	v_cvt_f32_f16_e32 v142, v126
	s_waitcnt lgkmcnt(0)
	v_perm_b32 v91, v102, v91, s96
	v_accvgpr_read_b32 v240, a0
	v_accvgpr_read_b32 v223, a1
	;; [unrolled: 1-line block ×4, first 2 shown]
	v_accvgpr_write_b32 a0, v128
	v_accvgpr_write_b32 a1, v133
	;; [unrolled: 1-line block ×4, first 2 shown]
	ds_read_u16 v101, v205 offset:16960
	ds_read_u16 v102, v205 offset:17488
	;; [unrolled: 1-line block ×4, first 2 shown]
	v_mfma_f32_16x16x16_f16 a[0:3], v[90:91], v[36:37], a[0:3]
	v_cvt_f32_f16_sdwa v145, v126 dst_sel:DWORD dst_unused:UNUSED_PAD src0_sel:WORD_1
	s_nop 6
	v_accvgpr_read_b32 v89, a0
	v_accvgpr_read_b32 v90, a1
	;; [unrolled: 1-line block ×4, first 2 shown]
	v_cvt_f16_f32_e32 v89, v89
	v_cvt_f16_f32_e32 v90, v90
	;; [unrolled: 1-line block ×4, first 2 shown]
	v_cvt_f32_f16_e32 v89, v89
	v_cvt_f32_f16_e32 v134, v90
	;; [unrolled: 1-line block ×4, first 2 shown]
	s_waitcnt lgkmcnt(0)
	v_perm_b32 v91, v133, v128, s96
	v_perm_b32 v90, v102, v101, s96
	v_accvgpr_write_b32 a0, v89
	v_accvgpr_write_b32 a1, v134
	;; [unrolled: 1-line block ×4, first 2 shown]
	v_cvt_f32_f16_e32 v133, v97
	v_cvt_f32_f16_sdwa v97, v97 dst_sel:DWORD dst_unused:UNUSED_PAD src0_sel:WORD_1
	v_mfma_f32_16x16x16_f16 a[0:3], v[90:91], v[34:35], a[0:3]
	ds_read_u16 v91, v205 offset:96
	ds_read_u16 v100, v205 offset:624
	;; [unrolled: 1-line block ×4, first 2 shown]
	v_cvt_f32_f16_e32 v134, v95
	v_cvt_f32_f16_sdwa v95, v95 dst_sel:DWORD dst_unused:UNUSED_PAD src0_sel:WORD_1
	s_waitcnt lgkmcnt(2)
	v_perm_b32 v146, v100, v91, s96
	v_cvt_f32_f16_sdwa v141, v127 dst_sel:DWORD dst_unused:UNUSED_PAD src0_sel:WORD_1
	s_waitcnt lgkmcnt(0)
	v_perm_b32 v147, v128, v102, s96
	v_accvgpr_read_b32 v219, a0
	v_accvgpr_read_b32 v101, a1
	;; [unrolled: 1-line block ×4, first 2 shown]
	v_accvgpr_write_b32 a0, v133
	v_accvgpr_write_b32 a1, v97
	v_accvgpr_write_b32 a2, v134
	v_accvgpr_write_b32 a3, v95
	ds_read_u16 v102, v205 offset:16992
	ds_read_u16 v128, v205 offset:17520
	;; [unrolled: 1-line block ×4, first 2 shown]
	v_mfma_f32_16x16x16_f16 a[0:3], v[146:147], v[36:37], a[0:3]
	v_cvt_pk_f16_f32 v89, v89, v90
	s_waitcnt lgkmcnt(2)
	v_perm_b32 v146, v128, v102, s96
	v_cvt_f32_f16_e32 v128, v51
	s_waitcnt lgkmcnt(0)
	v_perm_b32 v147, v134, v133, s96
	v_cvt_f32_f16_sdwa v51, v51 dst_sel:DWORD dst_unused:UNUSED_PAD src0_sel:WORD_1
	v_cvt_f32_f16_e32 v133, v1
	v_cvt_f32_f16_sdwa v1, v1 dst_sel:DWORD dst_unused:UNUSED_PAD src0_sel:WORD_1
	v_cvt_f32_f16_e32 v134, v127
	v_accvgpr_read_b32 v91, a0
	v_accvgpr_read_b32 v95, a1
	;; [unrolled: 1-line block ×3, first 2 shown]
	v_cvt_f16_f32_e32 v91, v91
	v_cvt_f16_f32_e32 v95, v95
	;; [unrolled: 1-line block ×3, first 2 shown]
	v_accvgpr_read_b32 v97, a2
	v_cvt_f16_f32_e32 v97, v97
	v_cvt_f32_f16_e32 v91, v91
	v_cvt_f32_f16_e32 v95, v95
	;; [unrolled: 1-line block ×4, first 2 shown]
	v_accvgpr_write_b32 a0, v91
	v_accvgpr_write_b32 a1, v95
	;; [unrolled: 1-line block ×3, first 2 shown]
	ds_read_u16 v91, v205 offset:128
	ds_read_u16 v95, v205 offset:656
	;; [unrolled: 1-line block ×4, first 2 shown]
	v_accvgpr_write_b32 a2, v97
	v_cvt_pk_f16_f32 v90, v222, v221
	s_nop 0
	v_mfma_f32_16x16x16_f16 a[0:3], v[146:147], v[34:35], a[0:3]
	s_waitcnt lgkmcnt(0)
	v_perm_b32 v147, v102, v100, s96
	v_perm_b32 v146, v95, v91, s96
	s_nop 4
	v_accvgpr_read_b32 v97, a0
	v_accvgpr_read_b32 v218, a1
	;; [unrolled: 1-line block ×4, first 2 shown]
	v_accvgpr_write_b32 a0, v128
	v_accvgpr_write_b32 a1, v51
	;; [unrolled: 1-line block ×4, first 2 shown]
	ds_read_u16 v100, v205 offset:17024
	ds_read_u16 v102, v205 offset:17552
	;; [unrolled: 1-line block ×4, first 2 shown]
	v_mfma_f32_16x16x16_f16 a[0:3], v[146:147], v[36:37], a[0:3]
	s_waitcnt lgkmcnt(2)
	v_perm_b32 v146, v102, v100, s96
	s_waitcnt lgkmcnt(0)
	v_perm_b32 v147, v133, v128, s96
	ds_read_u16 v100, v205 offset:160
	ds_read_u16 v102, v205 offset:688
	;; [unrolled: 1-line block ×4, first 2 shown]
	v_accvgpr_read_b32 v1, a0
	v_accvgpr_read_b32 v51, a1
	;; [unrolled: 1-line block ×4, first 2 shown]
	v_cvt_f16_f32_e32 v1, v1
	v_cvt_f16_f32_e32 v51, v51
	;; [unrolled: 1-line block ×4, first 2 shown]
	v_cvt_f32_f16_e32 v1, v1
	v_cvt_f32_f16_e32 v51, v51
	;; [unrolled: 1-line block ×4, first 2 shown]
	v_accvgpr_write_b32 a0, v1
	v_accvgpr_write_b32 a1, v51
	;; [unrolled: 1-line block ×4, first 2 shown]
	s_waitcnt lgkmcnt(0)
	v_perm_b32 v127, v133, v128, s96
	v_perm_b32 v126, v102, v100, s96
	v_mfma_f32_16x16x16_f16 a[0:3], v[146:147], v[34:35], a[0:3]
	v_cvt_f32_f16_e32 v146, v143
	v_cvt_f32_f16_sdwa v147, v143 dst_sel:DWORD dst_unused:UNUSED_PAD src0_sel:WORD_1
	s_nop 5
	v_accvgpr_read_b32 v91, a0
	v_accvgpr_read_b32 v1, a1
	;; [unrolled: 1-line block ×4, first 2 shown]
	v_accvgpr_write_b32 a0, v134
	v_accvgpr_write_b32 a1, v141
	;; [unrolled: 1-line block ×4, first 2 shown]
	ds_read_u16 v128, v205 offset:17056
	ds_read_u16 v133, v205 offset:17584
	;; [unrolled: 1-line block ×4, first 2 shown]
	v_mfma_f32_16x16x16_f16 a[0:3], v[126:127], v[36:37], a[0:3]
	v_cvt_pk_f16_f32 v91, v91, v1
	v_cvt_pk_f16_f32 v1, v51, v95
	;; [unrolled: 1-line block ×6, first 2 shown]
	s_nop 1
	v_accvgpr_read_b32 v100, a0
	v_accvgpr_read_b32 v102, a1
	v_cvt_f16_f32_e32 v100, v100
	v_cvt_f16_f32_e32 v102, v102
	v_accvgpr_read_b32 v126, a2
	v_accvgpr_read_b32 v127, a3
	v_cvt_f16_f32_e32 v126, v126
	v_cvt_f16_f32_e32 v127, v127
	v_cvt_f32_f16_e32 v100, v100
	v_cvt_f32_f16_e32 v102, v102
	;; [unrolled: 1-line block ×4, first 2 shown]
	s_waitcnt lgkmcnt(0)
	v_perm_b32 v127, v141, v134, s96
	v_perm_b32 v126, v133, v128, s96
	v_accvgpr_write_b32 a0, v100
	v_accvgpr_write_b32 a1, v102
	ds_read_u16 v100, v205 offset:192
	ds_read_u16 v102, v205 offset:720
	;; [unrolled: 1-line block ×4, first 2 shown]
	v_accvgpr_write_b32 a2, v142
	v_accvgpr_write_b32 a3, v145
	v_cvt_f32_f16_e32 v141, v132
	v_cvt_f32_f16_sdwa v142, v132 dst_sel:DWORD dst_unused:UNUSED_PAD src0_sel:WORD_1
	v_mfma_f32_16x16x16_f16 a[0:3], v[126:127], v[34:35], a[0:3]
	v_cvt_f32_f16_e32 v145, v131
	v_cvt_f32_f16_sdwa v131, v131 dst_sel:DWORD dst_unused:UNUSED_PAD src0_sel:WORD_1
	s_waitcnt lgkmcnt(0)
	v_perm_b32 v133, v134, v133, s96
	v_perm_b32 v132, v102, v100, s96
	s_nop 2
	v_accvgpr_read_b32 v217, a0
	v_accvgpr_read_b32 v126, a1
	;; [unrolled: 1-line block ×4, first 2 shown]
	v_accvgpr_write_b32 a0, v141
	v_accvgpr_write_b32 a1, v142
	;; [unrolled: 1-line block ×4, first 2 shown]
	s_nop 1
	v_mfma_f32_16x16x16_f16 a[0:3], v[132:133], v[36:37], a[0:3]
	ds_read_u16 v134, v205 offset:17088
	ds_read_u16 v141, v205 offset:17616
	;; [unrolled: 1-line block ×4, first 2 shown]
	s_waitcnt lgkmcnt(0)
	v_perm_b32 v133, v142, v133, s96
	s_nop 1
	v_accvgpr_read_b32 v100, a0
	v_accvgpr_read_b32 v102, a1
	v_cvt_f16_f32_e32 v100, v100
	v_cvt_f16_f32_e32 v102, v102
	v_accvgpr_read_b32 v131, a2
	v_accvgpr_read_b32 v132, a3
	v_cvt_f16_f32_e32 v131, v131
	v_cvt_f16_f32_e32 v132, v132
	v_cvt_f32_f16_e32 v100, v100
	v_cvt_f32_f16_e32 v102, v102
	;; [unrolled: 1-line block ×4, first 2 shown]
	v_perm_b32 v132, v141, v134, s96
	v_accvgpr_write_b32 a0, v100
	v_accvgpr_write_b32 a1, v102
	ds_read_u16 v100, v205 offset:224
	ds_read_u16 v102, v205 offset:752
	;; [unrolled: 1-line block ×4, first 2 shown]
	v_accvgpr_write_b32 a2, v131
	v_accvgpr_write_b32 a3, v145
	v_cvt_f32_f16_e32 v145, v144
	v_cvt_f32_f16_sdwa v144, v144 dst_sel:DWORD dst_unused:UNUSED_PAD src0_sel:WORD_1
	v_mfma_f32_16x16x16_f16 a[0:3], v[132:133], v[34:35], a[0:3]
	s_waitcnt lgkmcnt(0)
	v_perm_b32 v143, v142, v141, s96
	v_perm_b32 v142, v102, v100, s96
	s_nop 4
	v_accvgpr_read_b32 v131, a0
	v_accvgpr_read_b32 v132, a1
	;; [unrolled: 1-line block ×4, first 2 shown]
	v_accvgpr_write_b32 a0, v145
	v_accvgpr_write_b32 a1, v144
	;; [unrolled: 1-line block ×4, first 2 shown]
	v_cvt_pk_f16_f32 v132, v131, v132
	v_cvt_pk_f16_f32 v131, v133, v134
	v_mfma_f32_16x16x16_f16 a[0:3], v[142:143], v[36:37], a[0:3]
	v_cvt_pk_f16_f32 v133, v217, v126
	v_cvt_pk_f16_f32 v126, v127, v128
	;; [unrolled: 1-line block ×3, first 2 shown]
	s_nop 4
	v_accvgpr_read_b32 v100, a0
	v_cvt_f16_f32_e32 v141, v100
	v_accvgpr_read_b32 v100, a1
	v_cvt_f16_f32_e32 v142, v100
	;; [unrolled: 2-line block ×4, first 2 shown]
	ds_read_u16 v144, v205 offset:17120
	ds_read_u16 v146, v205 offset:17648
	;; [unrolled: 1-line block ×4, first 2 shown]
	v_cvt_f32_f16_e32 v141, v141
	v_cvt_f32_f16_e32 v147, v142
	;; [unrolled: 1-line block ×4, first 2 shown]
	s_waitcnt lgkmcnt(0)
	v_perm_b32 v143, v100, v102, s96
	v_perm_b32 v142, v146, v144, s96
	v_accvgpr_write_b32 a0, v141
	v_accvgpr_write_b32 a1, v147
	v_accvgpr_write_b32 a2, v148
	v_accvgpr_write_b32 a3, v145
	v_cvt_f32_f16_e32 v147, v140
	v_cvt_f32_f16_sdwa v148, v140 dst_sel:DWORD dst_unused:UNUSED_PAD src0_sel:WORD_1
	v_mfma_f32_16x16x16_f16 a[0:3], v[142:143], v[34:35], a[0:3]
	ds_read_u16 v100, v205 offset:256
	ds_read_u16 v102, v205 offset:784
	ds_read_u16 v141, v205 offset:1312
	ds_read_u16 v142, v206 offset:256
	s_waitcnt lgkmcnt(2)
	v_perm_b32 v140, v102, v100, s96
	s_waitcnt lgkmcnt(0)
	v_perm_b32 v141, v142, v141, s96
	v_accvgpr_read_b32 v143, a0
	v_accvgpr_read_b32 v144, a1
	;; [unrolled: 1-line block ×4, first 2 shown]
	v_accvgpr_write_b32 a0, v147
	v_accvgpr_write_b32 a1, v148
	;; [unrolled: 1-line block ×4, first 2 shown]
	s_nop 1
	v_mfma_f32_16x16x16_f16 a[0:3], v[140:141], v[36:37], a[0:3]
	ds_read_u16 v142, v205 offset:17152
	ds_read_u16 v147, v205 offset:17680
	;; [unrolled: 1-line block ×4, first 2 shown]
	s_waitcnt lgkmcnt(0)
	v_perm_b32 v141, v148, v141, s96
	s_nop 1
	v_accvgpr_read_b32 v100, a0
	v_accvgpr_read_b32 v102, a1
	;; [unrolled: 1-line block ×4, first 2 shown]
	v_cvt_f16_f32_e32 v100, v100
	v_cvt_f16_f32_e32 v102, v102
	;; [unrolled: 1-line block ×4, first 2 shown]
	v_cvt_f32_f16_e32 v100, v100
	v_cvt_f32_f16_e32 v102, v102
	;; [unrolled: 1-line block ×4, first 2 shown]
	v_perm_b32 v140, v147, v142, s96
	v_accvgpr_write_b32 a0, v100
	v_accvgpr_write_b32 a1, v102
	;; [unrolled: 1-line block ×4, first 2 shown]
	v_cvt_f32_f16_e32 v149, v138
	v_cvt_f32_f16_sdwa v138, v138 dst_sel:DWORD dst_unused:UNUSED_PAD src0_sel:WORD_1
	v_mfma_f32_16x16x16_f16 a[0:3], v[140:141], v[34:35], a[0:3]
	ds_read_u16 v100, v205 offset:288
	ds_read_u16 v102, v205 offset:816
	;; [unrolled: 1-line block ×4, first 2 shown]
	s_waitcnt lgkmcnt(2)
	v_perm_b32 v150, v102, v100, s96
	s_waitcnt lgkmcnt(0)
	v_perm_b32 v151, v142, v141, s96
	v_accvgpr_read_b32 v139, a0
	v_accvgpr_read_b32 v140, a1
	;; [unrolled: 1-line block ×4, first 2 shown]
	v_accvgpr_write_b32 a0, v149
	v_accvgpr_write_b32 a1, v138
	;; [unrolled: 1-line block ×4, first 2 shown]
	s_nop 1
	v_mfma_f32_16x16x16_f16 a[0:3], v[150:151], v[36:37], a[0:3]
	ds_read_u16 v141, v205 offset:17184
	ds_read_u16 v142, v205 offset:17712
	;; [unrolled: 1-line block ×4, first 2 shown]
	s_waitcnt lgkmcnt(0)
	v_perm_b32 v151, v150, v149, s96
	s_nop 1
	v_accvgpr_read_b32 v100, a0
	v_accvgpr_read_b32 v102, a1
	v_cvt_f16_f32_e32 v100, v100
	v_cvt_f16_f32_e32 v102, v102
	v_accvgpr_read_b32 v137, a2
	v_accvgpr_read_b32 v138, a3
	v_cvt_f16_f32_e32 v137, v137
	v_cvt_f16_f32_e32 v138, v138
	v_cvt_f32_f16_e32 v100, v100
	v_cvt_f32_f16_e32 v102, v102
	v_cvt_f32_f16_e32 v137, v137
	v_cvt_f32_f16_e32 v138, v138
	v_perm_b32 v150, v142, v141, s96
	v_accvgpr_write_b32 a0, v100
	v_accvgpr_write_b32 a1, v102
	ds_read_u16 v100, v205 offset:320
	ds_read_u16 v102, v205 offset:848
	;; [unrolled: 1-line block ×4, first 2 shown]
	v_accvgpr_write_b32 a2, v137
	v_accvgpr_write_b32 a3, v138
	s_waitcnt lgkmcnt(2)
	v_perm_b32 v152, v102, v100, s96
	s_waitcnt lgkmcnt(0)
	v_perm_b32 v153, v142, v141, s96
	v_mfma_f32_16x16x16_f16 a[0:3], v[150:151], v[34:35], a[0:3]
	v_cvt_f32_f16_e32 v151, v136
	v_cvt_f32_f16_sdwa v136, v136 dst_sel:DWORD dst_unused:UNUSED_PAD src0_sel:WORD_1
	s_nop 5
	v_accvgpr_read_b32 v137, a0
	v_accvgpr_read_b32 v138, a1
	;; [unrolled: 1-line block ×4, first 2 shown]
	v_accvgpr_write_b32 a0, v151
	v_accvgpr_write_b32 a1, v136
	;; [unrolled: 1-line block ×4, first 2 shown]
	v_cvt_pk_f16_f32 v137, v137, v138
	v_cvt_pk_f16_f32 v138, v147, v148
	v_mfma_f32_16x16x16_f16 a[0:3], v[152:153], v[36:37], a[0:3]
	ds_read_u16 v141, v205 offset:17216
	ds_read_u16 v142, v205 offset:17744
	;; [unrolled: 1-line block ×4, first 2 shown]
	s_waitcnt lgkmcnt(0)
	v_perm_b32 v153, v152, v151, s96
	s_nop 1
	v_accvgpr_read_b32 v100, a0
	v_accvgpr_read_b32 v102, a1
	v_cvt_f16_f32_e32 v100, v100
	v_cvt_f16_f32_e32 v102, v102
	v_accvgpr_read_b32 v135, a2
	v_accvgpr_read_b32 v136, a3
	v_cvt_f16_f32_e32 v135, v135
	v_cvt_f16_f32_e32 v136, v136
	v_cvt_f32_f16_e32 v100, v100
	v_cvt_f32_f16_e32 v102, v102
	;; [unrolled: 1-line block ×4, first 2 shown]
	v_perm_b32 v152, v142, v141, s96
	v_accvgpr_write_b32 a0, v100
	v_accvgpr_write_b32 a1, v102
	ds_read_u16 v100, v205 offset:352
	ds_read_u16 v102, v205 offset:880
	;; [unrolled: 1-line block ×4, first 2 shown]
	v_accvgpr_write_b32 a2, v135
	v_accvgpr_write_b32 a3, v136
	s_waitcnt lgkmcnt(2)
	v_perm_b32 v154, v102, v100, s96
	s_waitcnt lgkmcnt(0)
	v_perm_b32 v155, v142, v141, s96
	v_mfma_f32_16x16x16_f16 a[0:3], v[152:153], v[34:35], a[0:3]
	v_cvt_f32_f16_e32 v153, v130
	v_cvt_f32_f16_sdwa v130, v130 dst_sel:DWORD dst_unused:UNUSED_PAD src0_sel:WORD_1
	s_nop 5
	v_accvgpr_read_b32 v135, a0
	v_accvgpr_read_b32 v136, a1
	;; [unrolled: 1-line block ×4, first 2 shown]
	v_accvgpr_write_b32 a0, v153
	v_accvgpr_write_b32 a1, v130
	;; [unrolled: 1-line block ×4, first 2 shown]
	v_cvt_pk_f16_f32 v136, v135, v136
	v_cvt_pk_f16_f32 v135, v151, v152
	v_mfma_f32_16x16x16_f16 a[0:3], v[154:155], v[36:37], a[0:3]
	ds_read_u16 v141, v205 offset:17248
	ds_read_u16 v142, v205 offset:17776
	;; [unrolled: 1-line block ×4, first 2 shown]
	s_waitcnt lgkmcnt(0)
	v_perm_b32 v155, v154, v153, s96
	s_nop 1
	v_accvgpr_read_b32 v100, a0
	v_accvgpr_read_b32 v102, a1
	v_cvt_f16_f32_e32 v100, v100
	v_cvt_f16_f32_e32 v102, v102
	v_accvgpr_read_b32 v129, a2
	v_accvgpr_read_b32 v130, a3
	v_cvt_f16_f32_e32 v129, v129
	v_cvt_f16_f32_e32 v130, v130
	v_cvt_f32_f16_e32 v100, v100
	v_cvt_f32_f16_e32 v102, v102
	;; [unrolled: 1-line block ×4, first 2 shown]
	v_perm_b32 v154, v142, v141, s96
	v_accvgpr_write_b32 a0, v100
	v_accvgpr_write_b32 a1, v102
	ds_read_u16 v100, v205 offset:384
	ds_read_u16 v102, v205 offset:912
	;; [unrolled: 1-line block ×4, first 2 shown]
	v_accvgpr_write_b32 a2, v129
	v_accvgpr_write_b32 a3, v130
	s_waitcnt lgkmcnt(2)
	v_perm_b32 v156, v102, v100, s96
	s_waitcnt lgkmcnt(0)
	v_perm_b32 v157, v142, v141, s96
	v_mfma_f32_16x16x16_f16 a[0:3], v[154:155], v[34:35], a[0:3]
	v_cvt_f32_f16_e32 v155, v88
	v_cvt_f32_f16_sdwa v88, v88 dst_sel:DWORD dst_unused:UNUSED_PAD src0_sel:WORD_1
	s_nop 5
	v_accvgpr_read_b32 v129, a0
	v_accvgpr_read_b32 v130, a1
	;; [unrolled: 1-line block ×4, first 2 shown]
	v_accvgpr_write_b32 a0, v155
	v_accvgpr_write_b32 a1, v88
	;; [unrolled: 1-line block ×4, first 2 shown]
	v_cvt_f32_f16_sdwa v158, v113 dst_sel:DWORD dst_unused:UNUSED_PAD src0_sel:WORD_1
	v_cvt_pk_f16_f32 v130, v129, v130
	v_mfma_f32_16x16x16_f16 a[0:3], v[156:157], v[36:37], a[0:3]
	ds_read_u16 v141, v205 offset:17280
	ds_read_u16 v142, v205 offset:17808
	;; [unrolled: 1-line block ×4, first 2 shown]
	v_cvt_pk_f16_f32 v129, v153, v154
	s_waitcnt lgkmcnt(0)
	v_perm_b32 v157, v156, v155, s96
	s_nop 0
	v_accvgpr_read_b32 v100, a2
	v_accvgpr_read_b32 v102, a3
	v_cvt_f16_f32_e32 v100, v100
	v_cvt_f16_f32_e32 v102, v102
	v_accvgpr_read_b32 v88, a0
	v_accvgpr_read_b32 v99, a1
	v_cvt_f16_f32_e32 v88, v88
	v_cvt_f16_f32_e32 v99, v99
	v_cvt_f32_f16_e32 v100, v100
	v_cvt_f32_f16_e32 v102, v102
	v_cvt_f32_f16_e32 v88, v88
	v_cvt_f32_f16_e32 v99, v99
	v_perm_b32 v156, v142, v141, s96
	v_accvgpr_write_b32 a2, v100
	v_accvgpr_write_b32 a3, v102
	ds_read_u16 v100, v205 offset:416
	ds_read_u16 v102, v205 offset:944
	;; [unrolled: 1-line block ×4, first 2 shown]
	v_accvgpr_write_b32 a0, v88
	v_accvgpr_write_b32 a1, v99
	s_waitcnt lgkmcnt(2)
	v_perm_b32 v112, v102, v100, s96
	v_mfma_f32_16x16x16_f16 a[0:3], v[156:157], v[34:35], a[0:3]
	v_cvt_f32_f16_e32 v157, v113
	s_waitcnt lgkmcnt(0)
	v_perm_b32 v113, v142, v141, s96
	s_nop 4
	v_accvgpr_read_b32 v88, a0
	v_accvgpr_read_b32 v99, a1
	;; [unrolled: 1-line block ×4, first 2 shown]
	v_accvgpr_write_b32 a0, v157
	v_accvgpr_write_b32 a1, v158
	v_accvgpr_write_b32 a2, v159
	v_accvgpr_write_b32 a3, v225
	ds_read_u16 v141, v205 offset:17312
	ds_read_u16 v142, v205 offset:17840
	;; [unrolled: 1-line block ×4, first 2 shown]
	v_mfma_f32_16x16x16_f16 a[0:3], v[112:113], v[36:37], a[0:3]
	s_nop 7
	v_accvgpr_read_b32 v100, a0
	v_accvgpr_read_b32 v102, a1
	v_cvt_f16_f32_e32 v100, v100
	v_cvt_f16_f32_e32 v102, v102
	v_accvgpr_read_b32 v112, a2
	v_accvgpr_read_b32 v113, a3
	v_cvt_f16_f32_e32 v112, v112
	v_cvt_f16_f32_e32 v113, v113
	v_cvt_f32_f16_e32 v100, v100
	v_cvt_f32_f16_e32 v102, v102
	;; [unrolled: 1-line block ×4, first 2 shown]
	s_waitcnt lgkmcnt(0)
	v_perm_b32 v113, v158, v157, s96
	v_perm_b32 v112, v142, v141, s96
	v_accvgpr_write_b32 a0, v100
	v_accvgpr_write_b32 a1, v102
	ds_read_u16 v100, v205 offset:448
	ds_read_u16 v102, v205 offset:976
	;; [unrolled: 1-line block ×4, first 2 shown]
	v_accvgpr_write_b32 a2, v159
	v_accvgpr_write_b32 a3, v225
	v_cvt_f32_f16_e32 v225, v93
	v_cvt_f32_f16_sdwa v93, v93 dst_sel:DWORD dst_unused:UNUSED_PAD src0_sel:WORD_1
	v_mfma_f32_16x16x16_f16 a[0:3], v[112:113], v[34:35], a[0:3]
	s_waitcnt lgkmcnt(0)
	v_perm_b32 v159, v158, v141, s96
	v_perm_b32 v158, v102, v100, s96
	s_nop 4
	v_accvgpr_read_b32 v112, a0
	v_accvgpr_read_b32 v113, a1
	;; [unrolled: 1-line block ×4, first 2 shown]
	v_accvgpr_write_b32 a0, v225
	v_accvgpr_write_b32 a1, v93
	;; [unrolled: 1-line block ×4, first 2 shown]
	v_cvt_pk_f16_f32 v113, v112, v113
	v_cvt_pk_f16_f32 v112, v142, v157
	v_mfma_f32_16x16x16_f16 a[0:3], v[158:159], v[36:37], a[0:3]
	ds_read_u16 v141, v205 offset:17344
	ds_read_u16 v158, v205 offset:17872
	;; [unrolled: 1-line block ×4, first 2 shown]
	v_cvt_pk_f16_f32 v142, v88, v99
	v_cvt_pk_f16_f32 v88, v149, v150
	s_waitcnt lgkmcnt(2)
	v_perm_b32 v158, v158, v141, s96
	v_cvt_pk_f16_f32 v99, v139, v140
	v_accvgpr_read_b32 v100, a2
	v_accvgpr_read_b32 v102, a3
	v_cvt_f16_f32_e32 v100, v100
	v_cvt_f16_f32_e32 v102, v102
	v_accvgpr_read_b32 v43, a0
	v_accvgpr_read_b32 v93, a1
	v_cvt_f16_f32_e32 v43, v43
	v_cvt_f16_f32_e32 v93, v93
	v_cvt_f32_f16_e32 v100, v100
	v_cvt_f32_f16_e32 v102, v102
	;; [unrolled: 1-line block ×4, first 2 shown]
	s_waitcnt lgkmcnt(0)
	v_perm_b32 v159, v225, v159, s96
	v_accvgpr_write_b32 a2, v100
	v_accvgpr_write_b32 a3, v102
	ds_read_u16 v100, v205 offset:480
	ds_read_u16 v102, v205 offset:1008
	;; [unrolled: 1-line block ×4, first 2 shown]
	v_accvgpr_write_b32 a0, v43
	v_accvgpr_write_b32 a1, v93
	s_waitcnt lgkmcnt(2)
	v_perm_b32 v244, v102, v100, s96
	v_cvt_pk_f16_f32 v140, v143, v144
	v_mfma_f32_16x16x16_f16 a[0:3], v[158:159], v[34:35], a[0:3]
	s_waitcnt lgkmcnt(0)
	v_perm_b32 v245, v225, v141, s96
	v_cvt_pk_f16_f32 v139, v145, v146
	s_nop 4
	v_accvgpr_read_b32 v43, a0
	v_accvgpr_read_b32 v93, a1
	;; [unrolled: 1-line block ×4, first 2 shown]
	v_accvgpr_write_b32 a0, v92
	v_accvgpr_write_b32 a1, v227
	;; [unrolled: 1-line block ×4, first 2 shown]
	ds_read_u16 v227, v205 offset:17376
	ds_read_u16 v102, v205 offset:17904
	;; [unrolled: 1-line block ×4, first 2 shown]
	v_mfma_f32_16x16x16_f16 a[0:3], v[244:245], v[36:37], a[0:3]
	v_cvt_pk_f16_f32 v93, v43, v93
	v_cvt_pk_f16_f32 v43, v158, v159
	s_waitcnt lgkmcnt(0)
	s_barrier
	s_nop 3
	v_accvgpr_read_b32 v92, a2
	v_accvgpr_read_b32 v36, a0
	;; [unrolled: 1-line block ×3, first 2 shown]
	v_cvt_f16_f32_e32 v141, v92
	v_accvgpr_read_b32 v92, a3
	v_cvt_f16_f32_e32 v36, v36
	v_cvt_f16_f32_e32 v37, v37
	v_cvt_f16_f32_e32 v239, v92
	v_cvt_f32_f16_e32 v141, v141
	v_cvt_f32_f16_e32 v92, v36
	;; [unrolled: 1-line block ×4, first 2 shown]
	v_perm_b32 v37, v225, v100, s96
	v_perm_b32 v36, v102, v227, s96
	v_accvgpr_write_b32 a0, v92
	v_accvgpr_write_b32 a1, v232
	;; [unrolled: 1-line block ×4, first 2 shown]
	v_cvt_pk_f16_f32 v227, v155, v156
	s_nop 0
	v_mfma_f32_16x16x16_f16 a[0:3], v[36:37], v[34:35], a[0:3]
	s_nop 7
	v_accvgpr_read_b32 v34, a0
	v_accvgpr_read_b32 v35, a1
	;; [unrolled: 1-line block ×4, first 2 shown]
	v_cvt_pk_f16_f32 v141, v34, v35
	v_cvt_pk_f16_f32 v239, v36, v37
	s_cbranch_vccz .LBB32_281
; %bb.279:                              ;   in Loop: Header=BB32_246 Depth=2
	v_mov_b32_e32 v128, v39
	v_mov_b32_e32 v134, v38
	s_and_saveexec_b64 s[10:11], s[4:5]
	s_cbranch_execnz .LBB32_245
	s_branch .LBB32_246
.LBB32_280:                             ;   in Loop: Header=BB32_12 Depth=1
	v_mov_b32_e32 v38, 0xfeffffff
	v_mov_b32_e32 v39, 0
	;; [unrolled: 1-line block ×3, first 2 shown]
	v_mov_b64_e32 v[34:35], 0
	v_mov_b32_e32 v127, 0
	v_mov_b32_e32 v90, 0
	;; [unrolled: 1-line block ×31, first 2 shown]
	s_and_saveexec_b64 s[10:11], s[4:5]
	s_cbranch_execnz .LBB32_282
	s_branch .LBB32_283
.LBB32_281:                             ;   in Loop: Header=BB32_12 Depth=1
	v_lshlrev_b32_e32 v48, 6, v48
	v_mov_b64_e32 v[34:35], v[48:49]
	s_and_saveexec_b64 s[10:11], s[4:5]
	s_cbranch_execz .LBB32_283
.LBB32_282:                             ;   in Loop: Header=BB32_12 Depth=1
	v_lshlrev_b64 v[36:37], 1, v[34:35]
	v_or_b32_e32 v35, v117, v107
	v_mul_hi_u32 v40, s44, v35
	v_add_u32_e32 v40, v35, v40
	v_lshrrev_b32_e32 v40, s45, v40
	v_mul_lo_u32 v40, v40, s36
	v_sub_u32_e32 v35, v35, v40
	v_lshl_add_u64 v[36:37], v[168:169], 0, v[36:37]
	v_mad_i64_i32 v[40:41], s[14:15], v35, s46, 0
	v_lshl_add_u64 v[36:37], v[40:41], 1, v[36:37]
	v_lshlrev_b32_e32 v48, 1, v50
	v_lshl_add_u64 v[36:37], v[36:37], 0, v[48:49]
	global_load_dword v35, v[36:37], off
	s_waitcnt vmcnt(0)
	ds_write_b32 v210, v35 offset:33792
.LBB32_283:                             ;   in Loop: Header=BB32_12 Depth=1
	s_or_b64 exec, exec, s[10:11]
	v_mul_lo_u32 v35, v34, s39
	v_mul_hi_u32 v36, v34, s38
	v_add_u32_e32 v37, v36, v35
	v_mul_lo_u32 v36, v34, s38
	v_lshlrev_b64 v[36:37], 2, v[36:37]
	v_lshl_add_u64 v[36:37], v[166:167], 0, v[36:37]
	v_lshlrev_b32_e32 v48, 2, v46
	v_lshl_add_u64 v[144:145], v[54:55], 2, v[36:37]
	v_lshl_add_u64 v[148:149], v[144:145], 0, v[48:49]
	;; [unrolled: 1-line block ×14, first 2 shown]
	global_load_dwordx4 v[144:147], v[40:41], off
	v_lshl_add_u64 v[36:37], v[66:67], 2, v[36:37]
	v_lshl_add_u64 v[36:37], v[36:37], 0, v[48:49]
	v_add_u32_e32 v35, 0x4000, v115
	s_waitcnt vmcnt(0)
	ds_write_b128 v109, v[144:147]
	global_load_dwordx4 v[144:147], v[148:149], off
	s_waitcnt vmcnt(0)
	ds_write_b128 v254, v[144:147]
	global_load_dwordx4 v[144:147], v[150:151], off
	;; [unrolled: 3-line block ×7, first 2 shown]
	s_waitcnt vmcnt(0)
	ds_write_b128 v108, v[144:147]
	s_waitcnt lgkmcnt(0)
	s_barrier
	ds_read2_b64 v[144:147], v115 offset1:4
	s_waitcnt lgkmcnt(0)
	v_mfma_f32_16x16x16_f16 a[0:3], v[144:145], v[30:31], 0
	v_mfma_f32_16x16x16_f16 a[0:3], v[146:147], v[32:33], a[0:3]
	ds_read2_b64 v[144:147], v115 offset0:8 offset1:12
	s_waitcnt lgkmcnt(0)
	v_mfma_f32_16x16x16_f16 a[0:3], v[144:145], v[26:27], a[0:3]
	v_mfma_f32_16x16x16_f16 a[0:3], v[146:147], v[28:29], a[0:3]
	ds_read2_b64 v[144:147], v115 offset0:16 offset1:20
	;; [unrolled: 4-line block ×14, first 2 shown]
	s_waitcnt lgkmcnt(0)
	v_mfma_f32_16x16x16_f16 a[4:7], v[10:11], v[6:7], a[4:7]
	v_accvgpr_read_b32 v10, a0
	v_cmp_nlt_f32_e64 s[10:11], |v10|, s47
                                        ; implicit-def: $vgpr11
	v_mfma_f32_16x16x16_f16 a[4:7], v[12:13], v[8:9], a[4:7]
	ds_read2_b64 v[6:9], v35 offset0:120 offset1:124
	s_waitcnt lgkmcnt(0)
	s_barrier
	v_mfma_f32_16x16x16_f16 a[4:7], v[6:7], v[2:3], a[4:7]
	v_mfma_f32_16x16x16_f16 a[4:7], v[8:9], v[4:5], a[4:7]
	s_and_saveexec_b64 s[14:15], s[10:11]
	s_xor_b64 s[10:11], exec, s[14:15]
	s_cbranch_execz .LBB32_285
; %bb.284:                              ;   in Loop: Header=BB32_12 Depth=1
	v_add_f32_e64 v2, |v10|, |v10|
	v_mul_f32_e32 v3, 0x3fb8aa3b, v2
	v_rndne_f32_e32 v4, v3
	v_sub_f32_e32 v5, v3, v4
	v_fma_f32 v3, v2, s65, -v3
	v_fmac_f32_e32 v3, 0x32a5705f, v2
	v_add_f32_e32 v3, v5, v3
	v_cvt_i32_f32_e32 v4, v4
	v_exp_f32_e32 v3, v3
	v_cmp_ngt_f32_e32 vcc, s92, v2
	v_ldexp_f32 v3, v3, v4
	s_nop 0
	v_cndmask_b32_e32 v3, 0, v3, vcc
	v_cmp_nlt_f32_e32 vcc, s93, v2
	s_nop 1
	v_cndmask_b32_e32 v2, v224, v3, vcc
	v_add_f32_e32 v2, 1.0, v2
	v_rcp_f32_e32 v2, v2
	s_nop 0
	v_fma_f32 v11, v2, -2.0, 1.0
.LBB32_285:                             ;   in Loop: Header=BB32_12 Depth=1
	s_andn2_saveexec_b64 s[10:11], s[10:11]
; %bb.286:                              ;   in Loop: Header=BB32_12 Depth=1
	v_mul_f32_e32 v2, v10, v10
	v_fmamk_f32 v3, v2, 0xbbbac73d, v226
	v_fmaak_f32 v3, v2, v3, 0xbd5c1c4e
	v_fmaak_f32 v3, v2, v3, 0x3e088382
	;; [unrolled: 1-line block ×3, first 2 shown]
	v_mul_f32_e64 v3, |v10|, v3
	v_fma_f32 v11, v2, v3, |v10|
; %bb.287:                              ;   in Loop: Header=BB32_12 Depth=1
	s_or_b64 exec, exec, s[10:11]
	v_accvgpr_read_b32 v5, a3
	v_accvgpr_read_b32 v3, a1
	;; [unrolled: 1-line block ×4, first 2 shown]
	v_cmp_nlt_f32_e64 s[10:11], |v3|, s47
                                        ; implicit-def: $vgpr2
	s_and_saveexec_b64 s[14:15], s[10:11]
	s_xor_b64 s[10:11], exec, s[14:15]
	s_cbranch_execz .LBB32_289
; %bb.288:                              ;   in Loop: Header=BB32_12 Depth=1
	v_add_f32_e64 v2, |v3|, |v3|
	v_mul_f32_e32 v6, 0x3fb8aa3b, v2
	v_rndne_f32_e32 v7, v6
	v_sub_f32_e32 v8, v6, v7
	v_fma_f32 v6, v2, s65, -v6
	v_fmac_f32_e32 v6, 0x32a5705f, v2
	v_add_f32_e32 v6, v8, v6
	v_cvt_i32_f32_e32 v7, v7
	v_exp_f32_e32 v6, v6
	v_cmp_ngt_f32_e32 vcc, s92, v2
	v_ldexp_f32 v6, v6, v7
	s_nop 0
	v_cndmask_b32_e32 v6, 0, v6, vcc
	v_cmp_nlt_f32_e32 vcc, s93, v2
	s_nop 1
	v_cndmask_b32_e32 v2, v224, v6, vcc
	v_add_f32_e32 v2, 1.0, v2
	v_rcp_f32_e32 v2, v2
	s_nop 0
	v_fma_f32 v2, v2, -2.0, 1.0
.LBB32_289:                             ;   in Loop: Header=BB32_12 Depth=1
	s_andn2_saveexec_b64 s[10:11], s[10:11]
; %bb.290:                              ;   in Loop: Header=BB32_12 Depth=1
	v_mul_f32_e32 v2, v3, v3
	v_fmamk_f32 v6, v2, 0xbbbac73d, v226
	v_fmaak_f32 v6, v2, v6, 0xbd5c1c4e
	v_fmaak_f32 v6, v2, v6, 0x3e088382
	;; [unrolled: 1-line block ×3, first 2 shown]
	v_mul_f32_e64 v6, |v3|, v6
	v_fma_f32 v2, v2, v6, |v3|
; %bb.291:                              ;   in Loop: Header=BB32_12 Depth=1
	s_or_b64 exec, exec, s[10:11]
	v_cmp_nlt_f32_e64 s[10:11], |v4|, s47
                                        ; implicit-def: $vgpr12
	s_and_saveexec_b64 s[14:15], s[10:11]
	s_xor_b64 s[10:11], exec, s[14:15]
	s_cbranch_execz .LBB32_293
; %bb.292:                              ;   in Loop: Header=BB32_12 Depth=1
	v_add_f32_e64 v6, |v4|, |v4|
	v_mul_f32_e32 v7, 0x3fb8aa3b, v6
	v_rndne_f32_e32 v8, v7
	v_sub_f32_e32 v9, v7, v8
	v_fma_f32 v7, v6, s65, -v7
	v_fmac_f32_e32 v7, 0x32a5705f, v6
	v_add_f32_e32 v7, v9, v7
	v_cvt_i32_f32_e32 v8, v8
	v_exp_f32_e32 v7, v7
	v_cmp_ngt_f32_e32 vcc, s92, v6
	v_ldexp_f32 v7, v7, v8
	s_nop 0
	v_cndmask_b32_e32 v7, 0, v7, vcc
	v_cmp_nlt_f32_e32 vcc, s93, v6
	s_nop 1
	v_cndmask_b32_e32 v6, v224, v7, vcc
	v_add_f32_e32 v6, 1.0, v6
	v_rcp_f32_e32 v6, v6
	s_nop 0
	v_fma_f32 v12, v6, -2.0, 1.0
.LBB32_293:                             ;   in Loop: Header=BB32_12 Depth=1
	s_andn2_saveexec_b64 s[10:11], s[10:11]
; %bb.294:                              ;   in Loop: Header=BB32_12 Depth=1
	v_mul_f32_e32 v6, v4, v4
	v_fmamk_f32 v7, v6, 0xbbbac73d, v226
	v_fmaak_f32 v7, v6, v7, 0xbd5c1c4e
	v_fmaak_f32 v7, v6, v7, 0x3e088382
	;; [unrolled: 1-line block ×3, first 2 shown]
	v_mul_f32_e64 v7, |v4|, v7
	v_fma_f32 v12, v6, v7, |v4|
; %bb.295:                              ;   in Loop: Header=BB32_12 Depth=1
	s_or_b64 exec, exec, s[10:11]
	v_cmp_nlt_f32_e64 s[10:11], |v5|, s47
                                        ; implicit-def: $vgpr13
	s_and_saveexec_b64 s[14:15], s[10:11]
	s_xor_b64 s[10:11], exec, s[14:15]
	s_cbranch_execz .LBB32_297
; %bb.296:                              ;   in Loop: Header=BB32_12 Depth=1
	v_add_f32_e64 v6, |v5|, |v5|
	v_mul_f32_e32 v7, 0x3fb8aa3b, v6
	v_rndne_f32_e32 v8, v7
	v_sub_f32_e32 v9, v7, v8
	v_fma_f32 v7, v6, s65, -v7
	v_fmac_f32_e32 v7, 0x32a5705f, v6
	v_add_f32_e32 v7, v9, v7
	v_cvt_i32_f32_e32 v8, v8
	v_exp_f32_e32 v7, v7
	v_cmp_ngt_f32_e32 vcc, s92, v6
	v_ldexp_f32 v7, v7, v8
	s_nop 0
	v_cndmask_b32_e32 v7, 0, v7, vcc
	v_cmp_nlt_f32_e32 vcc, s93, v6
	s_nop 1
	v_cndmask_b32_e32 v6, v224, v7, vcc
	v_add_f32_e32 v6, 1.0, v6
	v_rcp_f32_e32 v6, v6
	s_nop 0
	v_fma_f32 v13, v6, -2.0, 1.0
.LBB32_297:                             ;   in Loop: Header=BB32_12 Depth=1
	s_andn2_saveexec_b64 s[10:11], s[10:11]
; %bb.298:                              ;   in Loop: Header=BB32_12 Depth=1
	v_mul_f32_e32 v6, v5, v5
	v_fmamk_f32 v7, v6, 0xbbbac73d, v226
	v_fmaak_f32 v7, v6, v7, 0xbd5c1c4e
	v_fmaak_f32 v7, v6, v7, 0x3e088382
	v_fmaak_f32 v7, v6, v7, 0xbeaaaa99
	v_mul_f32_e64 v7, |v5|, v7
	v_fma_f32 v13, v6, v7, |v5|
; %bb.299:                              ;   in Loop: Header=BB32_12 Depth=1
	s_or_b64 exec, exec, s[10:11]
	v_accvgpr_read_b32 v9, a7
	v_accvgpr_read_b32 v6, a4
	v_accvgpr_read_b32 v8, a6
	v_accvgpr_read_b32 v7, a5
	v_cmp_nlt_f32_e64 s[10:11], |v6|, s47
                                        ; implicit-def: $vgpr14
	s_and_saveexec_b64 s[14:15], s[10:11]
	s_xor_b64 s[10:11], exec, s[14:15]
	s_cbranch_execz .LBB32_301
; %bb.300:                              ;   in Loop: Header=BB32_12 Depth=1
	v_add_f32_e64 v14, |v6|, |v6|
	v_mul_f32_e32 v15, 0x3fb8aa3b, v14
	v_rndne_f32_e32 v16, v15
	v_sub_f32_e32 v17, v15, v16
	v_fma_f32 v15, v14, s65, -v15
	v_fmac_f32_e32 v15, 0x32a5705f, v14
	v_add_f32_e32 v15, v17, v15
	v_cvt_i32_f32_e32 v16, v16
	v_exp_f32_e32 v15, v15
	v_cmp_ngt_f32_e32 vcc, s92, v14
	v_ldexp_f32 v15, v15, v16
	s_nop 0
	v_cndmask_b32_e32 v15, 0, v15, vcc
	v_cmp_nlt_f32_e32 vcc, s93, v14
	s_nop 1
	v_cndmask_b32_e32 v14, v224, v15, vcc
	v_add_f32_e32 v14, 1.0, v14
	v_rcp_f32_e32 v14, v14
	s_nop 0
	v_fma_f32 v14, v14, -2.0, 1.0
.LBB32_301:                             ;   in Loop: Header=BB32_12 Depth=1
	s_andn2_saveexec_b64 s[10:11], s[10:11]
; %bb.302:                              ;   in Loop: Header=BB32_12 Depth=1
	v_mul_f32_e32 v14, v6, v6
	v_fmamk_f32 v15, v14, 0xbbbac73d, v226
	v_fmaak_f32 v15, v14, v15, 0xbd5c1c4e
	v_fmaak_f32 v15, v14, v15, 0x3e088382
	;; [unrolled: 1-line block ×3, first 2 shown]
	v_mul_f32_e64 v15, |v6|, v15
	v_fma_f32 v14, v14, v15, |v6|
; %bb.303:                              ;   in Loop: Header=BB32_12 Depth=1
	s_or_b64 exec, exec, s[10:11]
	v_cmp_nlt_f32_e64 s[10:11], |v7|, s47
                                        ; implicit-def: $vgpr15
	s_and_saveexec_b64 s[14:15], s[10:11]
	s_xor_b64 s[10:11], exec, s[14:15]
	s_cbranch_execz .LBB32_305
; %bb.304:                              ;   in Loop: Header=BB32_12 Depth=1
	v_add_f32_e64 v15, |v7|, |v7|
	v_mul_f32_e32 v16, 0x3fb8aa3b, v15
	v_rndne_f32_e32 v17, v16
	v_sub_f32_e32 v18, v16, v17
	v_fma_f32 v16, v15, s65, -v16
	v_fmac_f32_e32 v16, 0x32a5705f, v15
	v_add_f32_e32 v16, v18, v16
	v_cvt_i32_f32_e32 v17, v17
	v_exp_f32_e32 v16, v16
	v_cmp_ngt_f32_e32 vcc, s92, v15
	v_ldexp_f32 v16, v16, v17
	s_nop 0
	v_cndmask_b32_e32 v16, 0, v16, vcc
	v_cmp_nlt_f32_e32 vcc, s93, v15
	s_nop 1
	v_cndmask_b32_e32 v15, v224, v16, vcc
	v_add_f32_e32 v15, 1.0, v15
	v_rcp_f32_e32 v15, v15
	s_nop 0
	v_fma_f32 v15, v15, -2.0, 1.0
.LBB32_305:                             ;   in Loop: Header=BB32_12 Depth=1
	s_andn2_saveexec_b64 s[10:11], s[10:11]
; %bb.306:                              ;   in Loop: Header=BB32_12 Depth=1
	v_mul_f32_e32 v15, v7, v7
	v_fmamk_f32 v16, v15, 0xbbbac73d, v226
	v_fmaak_f32 v16, v15, v16, 0xbd5c1c4e
	v_fmaak_f32 v16, v15, v16, 0x3e088382
	;; [unrolled: 1-line block ×3, first 2 shown]
	v_mul_f32_e64 v16, |v7|, v16
	v_fma_f32 v15, v15, v16, |v7|
; %bb.307:                              ;   in Loop: Header=BB32_12 Depth=1
	s_or_b64 exec, exec, s[10:11]
	v_cmp_nlt_f32_e64 s[10:11], |v8|, s47
                                        ; implicit-def: $vgpr16
	s_and_saveexec_b64 s[14:15], s[10:11]
	s_xor_b64 s[10:11], exec, s[14:15]
	s_cbranch_execz .LBB32_309
; %bb.308:                              ;   in Loop: Header=BB32_12 Depth=1
	v_add_f32_e64 v16, |v8|, |v8|
	v_mul_f32_e32 v17, 0x3fb8aa3b, v16
	v_rndne_f32_e32 v18, v17
	v_sub_f32_e32 v19, v17, v18
	v_fma_f32 v17, v16, s65, -v17
	v_fmac_f32_e32 v17, 0x32a5705f, v16
	v_add_f32_e32 v17, v19, v17
	v_cvt_i32_f32_e32 v18, v18
	v_exp_f32_e32 v17, v17
	v_cmp_ngt_f32_e32 vcc, s92, v16
	v_ldexp_f32 v17, v17, v18
	s_nop 0
	v_cndmask_b32_e32 v17, 0, v17, vcc
	v_cmp_nlt_f32_e32 vcc, s93, v16
	s_nop 1
	v_cndmask_b32_e32 v16, v224, v17, vcc
	v_add_f32_e32 v16, 1.0, v16
	v_rcp_f32_e32 v16, v16
	s_nop 0
	v_fma_f32 v16, v16, -2.0, 1.0
.LBB32_309:                             ;   in Loop: Header=BB32_12 Depth=1
	s_andn2_saveexec_b64 s[10:11], s[10:11]
; %bb.310:                              ;   in Loop: Header=BB32_12 Depth=1
	v_mul_f32_e32 v16, v8, v8
	v_fmamk_f32 v17, v16, 0xbbbac73d, v226
	v_fmaak_f32 v17, v16, v17, 0xbd5c1c4e
	v_fmaak_f32 v17, v16, v17, 0x3e088382
	;; [unrolled: 1-line block ×3, first 2 shown]
	v_mul_f32_e64 v17, |v8|, v17
	v_fma_f32 v16, v16, v17, |v8|
; %bb.311:                              ;   in Loop: Header=BB32_12 Depth=1
	s_or_b64 exec, exec, s[10:11]
	v_cmp_nlt_f32_e64 s[10:11], |v9|, s47
                                        ; implicit-def: $vgpr17
	s_and_saveexec_b64 s[14:15], s[10:11]
	s_xor_b64 s[10:11], exec, s[14:15]
	s_cbranch_execz .LBB32_313
; %bb.312:                              ;   in Loop: Header=BB32_12 Depth=1
	v_add_f32_e64 v17, |v9|, |v9|
	v_mul_f32_e32 v18, 0x3fb8aa3b, v17
	v_rndne_f32_e32 v19, v18
	v_sub_f32_e32 v20, v18, v19
	v_fma_f32 v18, v17, s65, -v18
	v_fmac_f32_e32 v18, 0x32a5705f, v17
	v_add_f32_e32 v18, v20, v18
	v_cvt_i32_f32_e32 v19, v19
	v_exp_f32_e32 v18, v18
	v_cmp_ngt_f32_e32 vcc, s92, v17
	v_ldexp_f32 v18, v18, v19
	s_nop 0
	v_cndmask_b32_e32 v18, 0, v18, vcc
	v_cmp_nlt_f32_e32 vcc, s93, v17
	s_nop 1
	v_cndmask_b32_e32 v17, v224, v18, vcc
	v_add_f32_e32 v17, 1.0, v17
	v_rcp_f32_e32 v17, v17
	s_nop 0
	v_fma_f32 v17, v17, -2.0, 1.0
.LBB32_313:                             ;   in Loop: Header=BB32_12 Depth=1
	s_andn2_saveexec_b64 s[10:11], s[10:11]
; %bb.314:                              ;   in Loop: Header=BB32_12 Depth=1
	v_mul_f32_e32 v17, v9, v9
	v_fmamk_f32 v18, v17, 0xbbbac73d, v226
	v_fmaak_f32 v18, v17, v18, 0xbd5c1c4e
	v_fmaak_f32 v18, v17, v18, 0x3e088382
	v_fmaak_f32 v18, v17, v18, 0xbeaaaa99
	v_mul_f32_e64 v18, |v9|, v18
	v_fma_f32 v17, v17, v18, |v9|
; %bb.315:                              ;   in Loop: Header=BB32_12 Depth=1
	s_or_b64 exec, exec, s[10:11]
	v_bfi_b32 v10, s94, v11, v10
	v_bfi_b32 v11, s94, v2, v3
	v_add_u32_e32 v2, 0x8400, v204
	ds_read2_b32 v[2:3], v2 offset1:1
	v_bfi_b32 v5, s94, v13, v5
	v_bfi_b32 v4, s94, v12, v4
	;; [unrolled: 1-line block ×4, first 2 shown]
	s_waitcnt lgkmcnt(0)
	v_fma_mix_f32 v4, s3, v4, v3 op_sel_hi:[0,0,1]
	v_fma_mix_f32 v3, s3, v5, v3 op_sel:[0,0,1] op_sel_hi:[0,0,1]
	ds_read_b32 v5, v211 offset:33792
	v_bfi_b32 v8, s94, v16, v8
	v_bfi_b32 v9, s94, v17, v9
	v_fma_mix_f32 v10, s3, v10, v2 op_sel_hi:[0,0,1]
	v_fma_mix_f32 v2, s3, v11, v2 op_sel:[0,0,1] op_sel_hi:[0,0,1]
	s_waitcnt lgkmcnt(0)
	v_fma_mix_f32 v14, s3, v6, v5 op_sel_hi:[0,0,1]
	ds_read_b32 v6, v212 offset:33792
	v_fma_mix_f32 v5, s3, v7, v5 op_sel:[0,0,1] op_sel_hi:[0,0,1]
	v_add_f32_e32 v7, 0x40051340, v2
	s_waitcnt lgkmcnt(0)
	v_fma_mix_f32 v16, s3, v8, v6 op_sel_hi:[0,0,1]
	v_fma_mix_f32 v9, s3, v9, v6 op_sel:[0,0,1] op_sel_hi:[0,0,1]
	v_add_f32_e32 v6, 0x40051340, v10
	v_max3_f32 v6, v38, v6, v7
	v_add_f32_e32 v7, 0x40051340, v4
	v_add_f32_e32 v8, 0x40051340, v3
	v_max3_f32 v6, v6, v7, v8
	v_add_f32_e32 v7, 0x40051340, v14
	;; [unrolled: 3-line block ×3, first 2 shown]
	v_add_f32_e32 v8, 0x40051340, v9
	v_max3_f32 v6, v6, v7, v8
	v_and_b32_e32 v7, 64, v252
	v_add_u32_e32 v8, 64, v7
	v_xor_b32_e32 v7, 32, v252
	v_cmp_lt_i32_e32 vcc, v7, v8
	s_nop 1
	v_cndmask_b32_e32 v7, v252, v7, vcc
	v_lshlrev_b32_e32 v7, 2, v7
	ds_bpermute_b32 v11, v7, v6
	s_waitcnt lgkmcnt(0)
	v_max_f32_e32 v11, v11, v11
	v_max_f32_e32 v6, v6, v11
	v_xor_b32_e32 v11, 16, v252
	v_cmp_lt_i32_e32 vcc, v11, v8
	s_nop 1
	v_cndmask_b32_e32 v8, v252, v11, vcc
	v_lshlrev_b32_e32 v8, 2, v8
	ds_bpermute_b32 v11, v8, v6
	s_waitcnt lgkmcnt(0)
	v_max_f32_e32 v11, v11, v11
	v_max_f32_e32 v6, v6, v11
	v_sub_f32_e32 v10, v10, v6
	v_mul_f32_e32 v11, 0x3fb8aa3b, v10
	v_fma_f32 v12, v10, s65, -v11
	v_rndne_f32_e32 v13, v11
	v_fmac_f32_e32 v12, 0x32a5705f, v10
	v_sub_f32_e32 v11, v11, v13
	v_add_f32_e32 v11, v11, v12
	v_exp_f32_e32 v11, v11
	v_cvt_i32_f32_e32 v12, v13
	v_cmp_ngt_f32_e32 vcc, s92, v10
	v_sub_f32_e32 v2, v2, v6
	v_sub_f32_e32 v4, v4, v6
	v_ldexp_f32 v11, v11, v12
	v_cndmask_b32_e32 v11, 0, v11, vcc
	v_cmp_nlt_f32_e32 vcc, s93, v10
	v_sub_f32_e32 v3, v3, v6
	s_nop 0
	v_cndmask_b32_e32 v10, v224, v11, vcc
	v_mul_f32_e32 v11, 0x3fb8aa3b, v2
	v_fma_f32 v12, v2, s65, -v11
	v_rndne_f32_e32 v13, v11
	v_fmac_f32_e32 v12, 0x32a5705f, v2
	v_sub_f32_e32 v11, v11, v13
	v_add_f32_e32 v11, v11, v12
	v_exp_f32_e32 v11, v11
	v_cvt_i32_f32_e32 v12, v13
	v_cmp_ngt_f32_e32 vcc, s92, v2
	v_ldexp_f32 v11, v11, v12
	v_mul_f32_e32 v12, 0x3fb8aa3b, v4
	v_fma_f32 v13, v4, s65, -v12
	v_rndne_f32_e32 v15, v12
	v_fmac_f32_e32 v13, 0x32a5705f, v4
	v_sub_f32_e32 v12, v12, v15
	v_add_f32_e32 v12, v12, v13
	v_exp_f32_e32 v12, v12
	v_cvt_i32_f32_e32 v13, v15
	v_cndmask_b32_e32 v11, 0, v11, vcc
	v_cmp_nlt_f32_e32 vcc, s93, v2
	v_ldexp_f32 v12, v12, v13
	s_nop 0
	v_cndmask_b32_e32 v11, v224, v11, vcc
	v_cmp_ngt_f32_e32 vcc, s92, v4
	v_add_f32_e32 v2, v10, v11
	s_nop 0
	v_cndmask_b32_e32 v12, 0, v12, vcc
	v_cmp_nlt_f32_e32 vcc, s93, v4
	v_mul_f32_e32 v4, 0x3fb8aa3b, v3
	v_fma_f32 v13, v3, s65, -v4
	v_rndne_f32_e32 v15, v4
	v_fmac_f32_e32 v13, 0x32a5705f, v3
	v_sub_f32_e32 v4, v4, v15
	v_add_f32_e32 v4, v4, v13
	v_exp_f32_e32 v4, v4
	v_cvt_i32_f32_e32 v13, v15
	v_cndmask_b32_e32 v12, v224, v12, vcc
	v_cmp_ngt_f32_e32 vcc, s92, v3
	v_add_f32_e32 v2, v12, v2
	v_ldexp_f32 v4, v4, v13
	v_cndmask_b32_e32 v4, 0, v4, vcc
	v_cmp_nlt_f32_e32 vcc, s93, v3
	v_sub_f32_e32 v3, v14, v6
	s_nop 0
	v_cndmask_b32_e32 v13, v224, v4, vcc
	v_mul_f32_e32 v4, 0x3fb8aa3b, v3
	v_fma_f32 v14, v3, s65, -v4
	v_rndne_f32_e32 v15, v4
	v_fmac_f32_e32 v14, 0x32a5705f, v3
	v_sub_f32_e32 v4, v4, v15
	v_add_f32_e32 v4, v4, v14
	v_exp_f32_e32 v4, v4
	v_cvt_i32_f32_e32 v14, v15
	v_cmp_ngt_f32_e32 vcc, s92, v3
	v_add_f32_e32 v2, v13, v2
	v_ldexp_f32 v4, v4, v14
	v_cndmask_b32_e32 v4, 0, v4, vcc
	v_cmp_nlt_f32_e32 vcc, s93, v3
	v_sub_f32_e32 v3, v5, v6
	s_nop 0
	v_cndmask_b32_e32 v14, v224, v4, vcc
	v_mul_f32_e32 v4, 0x3fb8aa3b, v3
	v_fma_f32 v5, v3, s65, -v4
	v_rndne_f32_e32 v15, v4
	v_fmac_f32_e32 v5, 0x32a5705f, v3
	v_sub_f32_e32 v4, v4, v15
	v_add_f32_e32 v4, v4, v5
	v_exp_f32_e32 v4, v4
	v_cvt_i32_f32_e32 v5, v15
	v_cmp_ngt_f32_e32 vcc, s92, v3
	v_add_f32_e32 v2, v14, v2
	v_ldexp_f32 v4, v4, v5
	v_cndmask_b32_e32 v4, 0, v4, vcc
	v_cmp_nlt_f32_e32 vcc, s93, v3
	v_sub_f32_e32 v3, v16, v6
	s_nop 0
	v_cndmask_b32_e32 v15, v224, v4, vcc
	v_mul_f32_e32 v4, 0x3fb8aa3b, v3
	v_fma_f32 v5, v3, s65, -v4
	v_rndne_f32_e32 v16, v4
	v_fmac_f32_e32 v5, 0x32a5705f, v3
	v_sub_f32_e32 v4, v4, v16
	v_add_f32_e32 v4, v4, v5
	v_exp_f32_e32 v4, v4
	v_cvt_i32_f32_e32 v5, v16
	v_cmp_ngt_f32_e32 vcc, s92, v3
	v_add_f32_e32 v2, v15, v2
	v_ldexp_f32 v4, v4, v5
	v_cndmask_b32_e32 v4, 0, v4, vcc
	v_cmp_nlt_f32_e32 vcc, s93, v3
	v_sub_f32_e32 v3, v9, v6
	s_nop 0
	v_cndmask_b32_e32 v20, v224, v4, vcc
	v_mul_f32_e32 v4, 0x3fb8aa3b, v3
	v_fma_f32 v5, v3, s65, -v4
	v_rndne_f32_e32 v9, v4
	v_fmac_f32_e32 v5, 0x32a5705f, v3
	v_sub_f32_e32 v4, v4, v9
	v_add_f32_e32 v4, v4, v5
	v_exp_f32_e32 v4, v4
	v_cvt_i32_f32_e32 v5, v9
	v_cmp_ngt_f32_e32 vcc, s92, v3
	v_add_f32_e32 v2, v20, v2
	v_ldexp_f32 v4, v4, v5
	v_cndmask_b32_e32 v4, 0, v4, vcc
	v_cmp_nlt_f32_e32 vcc, s93, v3
	s_nop 1
	v_cndmask_b32_e32 v21, v224, v4, vcc
	v_add_f32_e32 v9, v21, v2
	v_sub_f32_e32 v2, v38, v6
	v_mul_f32_e32 v3, 0x3fb8aa3b, v2
	v_fma_f32 v4, v2, s65, -v3
	v_rndne_f32_e32 v5, v3
	v_fmac_f32_e32 v4, 0x32a5705f, v2
	v_sub_f32_e32 v3, v3, v5
	v_add_f32_e32 v3, v3, v4
	v_exp_f32_e32 v3, v3
	v_cvt_i32_f32_e32 v4, v5
	v_cmp_ngt_f32_e32 vcc, s92, v2
	v_ldexp_f32 v3, v3, v4
	s_nop 0
	v_cndmask_b32_e32 v3, 0, v3, vcc
	v_cmp_nlt_f32_e32 vcc, s93, v2
	s_nop 1
	v_cndmask_b32_e32 v3, v224, v3, vcc
	v_cmp_le_f32_e32 vcc, s95, v2
	s_nop 1
	v_cndmask_b32_e32 v2, 0, v3, vcc
	v_fmac_f32_e32 v9, v39, v2
	v_cvt_f16_f32_e32 v2, v2
	v_mul_hi_u32 v3, v34, s34
	ds_bpermute_b32 v7, v7, v9
	v_cmp_ne_u64_e32 vcc, 0, v[162:163]
	v_mul_u32_u24_e32 v2, 0x10001, v2
	v_pk_mul_f16 v25, v127, v2
	v_pk_mul_f16 v23, v125, v2
	;; [unrolled: 1-line block ×32, first 2 shown]
	v_mul_lo_u32 v2, v34, s35
	v_add_u32_e32 v3, v3, v2
	v_mul_lo_u32 v2, v34, s34
	v_lshlrev_b64 v[2:3], 2, v[2:3]
	v_lshl_add_u64 v[2:3], v[164:165], 0, v[2:3]
	v_lshl_add_u64 v[4:5], v[68:69], 2, v[2:3]
	;; [unrolled: 1-line block ×11, first 2 shown]
	global_load_dwordx4 v[2:5], v[4:5], off
	v_lshl_add_u64 v[32:33], v[32:33], 0, v[48:49]
	v_lshl_add_u64 v[112:113], v[112:113], 0, v[48:49]
	;; [unrolled: 1-line block ×6, first 2 shown]
	v_cvt_f32_f16_e32 v26, v25
	v_cvt_f32_f16_sdwa v25, v25 dst_sel:DWORD dst_unused:UNUSED_PAD src0_sel:WORD_1
	v_cvt_f32_f16_e32 v30, v23
	v_cvt_f32_f16_sdwa v23, v23 dst_sel:DWORD dst_unused:UNUSED_PAD src0_sel:WORD_1
	v_accvgpr_write_b32 a0, v26
	v_accvgpr_write_b32 a1, v25
	;; [unrolled: 1-line block ×4, first 2 shown]
	v_cvt_f32_f16_e32 v40, v19
	v_cvt_f32_f16_sdwa v19, v19 dst_sel:DWORD dst_unused:UNUSED_PAD src0_sel:WORD_1
	v_cvt_f32_f16_e32 v48, v37
	v_cvt_f32_f16_sdwa v37, v37 dst_sel:DWORD dst_unused:UNUSED_PAD src0_sel:WORD_1
	;; [unrolled: 2-line block ×7, first 2 shown]
	v_cvt_f32_f16_sdwa v142, v166 dst_sel:DWORD dst_unused:UNUSED_PAD src0_sel:WORD_1
	v_cvt_f32_f16_e32 v143, v97
	v_cvt_f32_f16_sdwa v97, v97 dst_sel:DWORD dst_unused:UNUSED_PAD src0_sel:WORD_1
	v_cvt_f32_f16_e32 v144, v90
	;; [unrolled: 2-line block ×9, first 2 shown]
	v_cvt_f32_f16_sdwa v27, v27 dst_sel:DWORD dst_unused:UNUSED_PAD src0_sel:WORD_1
	s_waitcnt lgkmcnt(0)
	v_add_f32_e32 v7, v9, v7
	ds_bpermute_b32 v9, v8, v7
	s_and_b64 s[14:15], s[0:1], vcc
	s_waitcnt lgkmcnt(0)
	v_add_f32_e32 v7, v7, v9
	s_waitcnt vmcnt(0)
	ds_write_b128 v109, v[2:5]
	global_load_dwordx4 v[2:5], v[32:33], off
	s_waitcnt vmcnt(0)
	ds_write_b128 v254, v[2:5]
	global_load_dwordx4 v[2:5], v[112:113], off
	;; [unrolled: 3-line block ×3, first 2 shown]
	v_cvt_f32_f16_e32 v128, v127
	v_cvt_f32_f16_sdwa v127, v127 dst_sel:DWORD dst_unused:UNUSED_PAD src0_sel:WORD_1
	v_cvt_f32_f16_e32 v129, v126
	v_cvt_f32_f16_sdwa v126, v126 dst_sel:DWORD dst_unused:UNUSED_PAD src0_sel:WORD_1
	s_waitcnt vmcnt(0)
	ds_write_b128 v251, v[2:5]
	global_load_dwordx4 v[2:5], v[130:131], off
	s_waitcnt vmcnt(0)
	ds_write_b128 v250, v[2:5]
	global_load_dwordx4 v[2:5], v[132:133], off
	v_cvt_f32_f16_e32 v132, v99
	v_cvt_f32_f16_sdwa v99, v99 dst_sel:DWORD dst_unused:UNUSED_PAD src0_sel:WORD_1
	v_cvt_f32_f16_e32 v133, v95
	v_cvt_f32_f16_sdwa v95, v95 dst_sel:DWORD dst_unused:UNUSED_PAD src0_sel:WORD_1
	s_waitcnt vmcnt(0)
	ds_write_b128 v249, v[2:5]
	global_load_dwordx4 v[2:5], v[134:135], off
	v_cvt_f32_f16_e32 v134, v91
	v_cvt_f32_f16_sdwa v91, v91 dst_sel:DWORD dst_unused:UNUSED_PAD src0_sel:WORD_1
	v_cvt_f32_f16_e32 v135, v88
	v_cvt_f32_f16_sdwa v88, v88 dst_sel:DWORD dst_unused:UNUSED_PAD src0_sel:WORD_1
	s_waitcnt vmcnt(0)
	ds_write_b128 v230, v[2:5]
	global_load_dwordx4 v[2:5], v[136:137], off
	s_waitcnt vmcnt(0)
	ds_write_b128 v108, v[2:5]
	s_waitcnt lgkmcnt(0)
	s_barrier
	ds_read_u16 v2, v205 offset:528
	ds_read_u16 v3, v205 offset:1056
	ds_read_u16 v4, v206
	ds_read_u16 v32, v206 offset:32
	v_cvt_pk_f16_f32 v5, v12, v13
	s_waitcnt lgkmcnt(1)
	v_perm_b32 v3, v4, v3, s96
	ds_read_u16 v4, v205
	ds_read_u16 v33, v205 offset:32
	ds_read_u16 v12, v205 offset:16896
	;; [unrolled: 1-line block ×5, first 2 shown]
	s_waitcnt lgkmcnt(5)
	v_perm_b32 v2, v2, v4, s96
	v_cvt_pk_f16_f32 v4, v10, v11
	s_nop 1
	v_mfma_f32_16x16x16_f16 a[0:3], v[2:3], v[4:5], a[0:3]
	s_nop 7
	v_accvgpr_read_b32 v2, a0
	v_accvgpr_read_b32 v3, a1
	;; [unrolled: 1-line block ×4, first 2 shown]
	v_cvt_f16_f32_e32 v2, v2
	v_cvt_f16_f32_e32 v3, v3
	;; [unrolled: 1-line block ×4, first 2 shown]
	v_cvt_f32_f16_e32 v26, v2
	v_cvt_f32_f16_e32 v30, v3
	;; [unrolled: 1-line block ×4, first 2 shown]
	s_waitcnt lgkmcnt(0)
	v_perm_b32 v11, v25, v23, s96
	v_perm_b32 v10, v13, v12, s96
	v_cvt_pk_f16_f32 v3, v20, v21
	v_cvt_pk_f16_f32 v2, v14, v15
	v_accvgpr_write_b32 a0, v26
	v_accvgpr_write_b32 a1, v30
	;; [unrolled: 1-line block ×4, first 2 shown]
	v_cvt_f32_f16_e32 v23, v18
	v_cvt_f32_f16_sdwa v18, v18 dst_sel:DWORD dst_unused:UNUSED_PAD src0_sel:WORD_1
	v_mfma_f32_16x16x16_f16 a[0:3], v[10:11], v[2:3], a[0:3]
	v_cvt_f32_f16_e32 v25, v17
	v_cvt_f32_f16_sdwa v17, v17 dst_sel:DWORD dst_unused:UNUSED_PAD src0_sel:WORD_1
	v_cvt_f32_f16_e32 v34, v16
	v_cvt_f32_f16_sdwa v16, v16 dst_sel:DWORD dst_unused:UNUSED_PAD src0_sel:WORD_1
	s_nop 3
	v_accvgpr_read_b32 v10, a2
	v_accvgpr_read_b32 v11, a3
	v_cvt_f16_f32_e32 v10, v10
	v_cvt_f16_f32_e32 v11, v11
	v_accvgpr_read_b32 v12, a0
	v_accvgpr_read_b32 v13, a1
	v_accvgpr_write_b32 a0, v23
	v_perm_b32 v10, v11, v10, s96
	ds_read_u16 v11, v205 offset:560
	ds_read_u16 v20, v205 offset:1088
	v_accvgpr_write_b32 a1, v18
	v_accvgpr_write_b32 a2, v25
	;; [unrolled: 1-line block ×3, first 2 shown]
	v_cvt_f16_f32_e32 v14, v12
	s_waitcnt lgkmcnt(0)
	v_perm_b32 v21, v32, v20, s96
	v_perm_b32 v20, v11, v33, s96
	v_cvt_f32_f16_e32 v32, v22
	v_cvt_f32_f16_sdwa v33, v22 dst_sel:DWORD dst_unused:UNUSED_PAD src0_sel:WORD_1
	v_mfma_f32_16x16x16_f16 a[0:3], v[20:21], v[4:5], a[0:3]
	ds_read_u16 v23, v205 offset:16928
	ds_read_u16 v25, v205 offset:17456
	;; [unrolled: 1-line block ×4, first 2 shown]
	v_cvt_f16_f32_e32 v15, v13
	s_waitcnt lgkmcnt(0)
	v_perm_b32 v21, v26, v21, s96
	s_nop 0
	v_accvgpr_read_b32 v11, a0
	v_accvgpr_read_b32 v17, a1
	v_accvgpr_read_b32 v18, a2
	v_accvgpr_read_b32 v20, a3
	v_cvt_f16_f32_e32 v11, v11
	v_cvt_f16_f32_e32 v17, v17
	;; [unrolled: 1-line block ×4, first 2 shown]
	v_cvt_f32_f16_e32 v11, v11
	v_cvt_f32_f16_e32 v17, v17
	;; [unrolled: 1-line block ×4, first 2 shown]
	v_perm_b32 v20, v25, v23, s96
	v_accvgpr_write_b32 a0, v11
	v_accvgpr_write_b32 a1, v17
	;; [unrolled: 1-line block ×4, first 2 shown]
	v_perm_b32 v14, v15, v14, s96
	s_nop 0
	v_mfma_f32_16x16x16_f16 a[0:3], v[20:21], v[2:3], a[0:3]
	s_nop 7
	v_accvgpr_read_b32 v11, a2
	v_accvgpr_read_b32 v23, a3
	v_cvt_f16_f32_e32 v11, v11
	v_cvt_f16_f32_e32 v23, v23
	v_accvgpr_read_b32 v17, a0
	v_accvgpr_read_b32 v18, a1
	v_accvgpr_write_b32 a0, v32
	v_perm_b32 v11, v23, v11, s96
	ds_read_u16 v25, v205 offset:64
	ds_read_u16 v26, v205 offset:592
	;; [unrolled: 1-line block ×4, first 2 shown]
	v_accvgpr_write_b32 a1, v33
	v_accvgpr_write_b32 a2, v34
	s_waitcnt lgkmcnt(2)
	v_perm_b32 v22, v26, v25, s96
	v_accvgpr_write_b32 a3, v16
	s_waitcnt lgkmcnt(0)
	v_perm_b32 v23, v30, v23, s96
	ds_read_u16 v26, v205 offset:16960
	ds_read_u16 v30, v205 offset:17488
	ds_read_u16 v32, v205 offset:18016
	ds_read_u16 v33, v206 offset:16960
	v_mfma_f32_16x16x16_f16 a[0:3], v[22:23], v[4:5], a[0:3]
	v_cvt_f16_f32_e32 v20, v17
	v_cvt_f16_f32_e32 v21, v18
	v_perm_b32 v20, v21, v20, s96
	s_nop 4
	v_accvgpr_read_b32 v16, a0
	v_accvgpr_read_b32 v22, a1
	;; [unrolled: 1-line block ×4, first 2 shown]
	v_cvt_f16_f32_e32 v16, v16
	v_cvt_f16_f32_e32 v22, v22
	;; [unrolled: 1-line block ×4, first 2 shown]
	v_cvt_f32_f16_e32 v16, v16
	v_cvt_f32_f16_e32 v34, v22
	;; [unrolled: 1-line block ×4, first 2 shown]
	s_waitcnt lgkmcnt(0)
	v_perm_b32 v23, v33, v32, s96
	v_perm_b32 v22, v30, v26, s96
	v_accvgpr_write_b32 a0, v16
	v_accvgpr_write_b32 a1, v34
	;; [unrolled: 1-line block ×4, first 2 shown]
	v_cvt_f32_f16_e32 v39, v29
	v_cvt_f32_f16_sdwa v29, v29 dst_sel:DWORD dst_unused:UNUSED_PAD src0_sel:WORD_1
	v_mfma_f32_16x16x16_f16 a[0:3], v[22:23], v[2:3], a[0:3]
	s_nop 7
	v_accvgpr_read_b32 v16, a2
	v_accvgpr_read_b32 v30, a3
	v_cvt_f16_f32_e32 v16, v16
	v_cvt_f16_f32_e32 v30, v30
	v_accvgpr_read_b32 v22, a0
	v_accvgpr_read_b32 v23, a1
	v_accvgpr_write_b32 a0, v39
	v_perm_b32 v16, v30, v16, s96
	ds_read_u16 v30, v205 offset:96
	ds_read_u16 v32, v205 offset:624
	;; [unrolled: 1-line block ×4, first 2 shown]
	v_accvgpr_write_b32 a1, v29
	v_accvgpr_write_b32 a2, v40
	s_waitcnt lgkmcnt(2)
	v_perm_b32 v32, v32, v30, s96
	v_accvgpr_write_b32 a3, v19
	s_waitcnt lgkmcnt(0)
	v_perm_b32 v33, v34, v33, s96
	v_cvt_f16_f32_e32 v25, v22
	v_cvt_f16_f32_e32 v26, v23
	v_mfma_f32_16x16x16_f16 a[0:3], v[32:33], v[4:5], a[0:3]
	ds_read_u16 v34, v205 offset:16992
	ds_read_u16 v39, v205 offset:17520
	;; [unrolled: 1-line block ×4, first 2 shown]
	v_perm_b32 v25, v26, v25, s96
	s_waitcnt lgkmcnt(0)
	v_perm_b32 v33, v40, v33, s96
	s_nop 0
	v_accvgpr_read_b32 v19, a0
	v_accvgpr_read_b32 v29, a1
	;; [unrolled: 1-line block ×4, first 2 shown]
	v_cvt_f16_f32_e32 v19, v19
	v_cvt_f16_f32_e32 v29, v29
	;; [unrolled: 1-line block ×4, first 2 shown]
	v_cvt_f32_f16_e32 v19, v19
	v_cvt_f32_f16_e32 v29, v29
	;; [unrolled: 1-line block ×4, first 2 shown]
	v_perm_b32 v32, v39, v34, s96
	v_accvgpr_write_b32 a0, v19
	v_accvgpr_write_b32 a1, v29
	v_accvgpr_write_b32 a2, v30
	v_accvgpr_write_b32 a3, v43
	s_nop 1
	v_mfma_f32_16x16x16_f16 a[0:3], v[32:33], v[2:3], a[0:3]
	s_nop 7
	v_accvgpr_read_b32 v19, a2
	v_accvgpr_read_b32 v34, a3
	v_cvt_f16_f32_e32 v19, v19
	v_cvt_f16_f32_e32 v34, v34
	v_accvgpr_read_b32 v29, a0
	v_accvgpr_read_b32 v30, a1
	v_accvgpr_write_b32 a0, v48
	v_perm_b32 v19, v34, v19, s96
	ds_read_u16 v34, v205 offset:128
	ds_read_u16 v39, v205 offset:656
	;; [unrolled: 1-line block ×4, first 2 shown]
	v_accvgpr_write_b32 a1, v37
	v_accvgpr_write_b32 a2, v92
	s_waitcnt lgkmcnt(2)
	v_perm_b32 v112, v39, v34, s96
	v_accvgpr_write_b32 a3, v24
	s_waitcnt lgkmcnt(0)
	v_perm_b32 v113, v43, v40, s96
	ds_read_u16 v40, v205 offset:17024
	ds_read_u16 v43, v205 offset:17552
	;; [unrolled: 1-line block ×4, first 2 shown]
	v_mfma_f32_16x16x16_f16 a[0:3], v[112:113], v[4:5], a[0:3]
	s_waitcnt lgkmcnt(0)
	v_perm_b32 v113, v92, v48, s96
	v_perm_b32 v112, v43, v40, s96
	v_cvt_f16_f32_e32 v32, v29
	v_cvt_f16_f32_e32 v33, v30
	v_perm_b32 v32, v33, v32, s96
	s_nop 1
	v_accvgpr_read_b32 v24, a0
	v_accvgpr_read_b32 v34, a1
	;; [unrolled: 1-line block ×4, first 2 shown]
	v_cvt_f16_f32_e32 v24, v24
	v_cvt_f16_f32_e32 v34, v34
	;; [unrolled: 1-line block ×4, first 2 shown]
	v_cvt_f32_f16_e32 v24, v24
	v_cvt_f32_f16_e32 v34, v34
	;; [unrolled: 1-line block ×4, first 2 shown]
	v_accvgpr_write_b32 a0, v24
	v_accvgpr_write_b32 a1, v34
	;; [unrolled: 1-line block ×4, first 2 shown]
	s_nop 1
	v_mfma_f32_16x16x16_f16 a[0:3], v[112:113], v[2:3], a[0:3]
	s_nop 7
	v_accvgpr_read_b32 v24, a2
	v_accvgpr_read_b32 v43, a3
	v_cvt_f16_f32_e32 v24, v24
	v_cvt_f16_f32_e32 v43, v43
	v_accvgpr_read_b32 v34, a0
	v_accvgpr_read_b32 v37, a1
	v_accvgpr_write_b32 a0, v100
	v_perm_b32 v24, v43, v24, s96
	ds_read_u16 v43, v205 offset:160
	ds_read_u16 v48, v205 offset:688
	;; [unrolled: 1-line block ×4, first 2 shown]
	v_accvgpr_write_b32 a1, v102
	v_accvgpr_write_b32 a2, v121
	s_waitcnt lgkmcnt(2)
	v_perm_b32 v112, v48, v43, s96
	v_accvgpr_write_b32 a3, v31
	s_waitcnt lgkmcnt(0)
	v_perm_b32 v113, v93, v92, s96
	v_cvt_f16_f32_e32 v39, v34
	v_cvt_f16_f32_e32 v40, v37
	v_mfma_f32_16x16x16_f16 a[0:3], v[112:113], v[4:5], a[0:3]
	ds_read_u16 v93, v205 offset:17056
	ds_read_u16 v100, v205 offset:17584
	;; [unrolled: 1-line block ×4, first 2 shown]
	v_perm_b32 v39, v40, v39, s96
	s_waitcnt lgkmcnt(0)
	v_perm_b32 v113, v112, v102, s96
	s_nop 0
	v_accvgpr_read_b32 v31, a0
	v_accvgpr_read_b32 v43, a1
	;; [unrolled: 1-line block ×4, first 2 shown]
	v_cvt_f16_f32_e32 v31, v31
	v_cvt_f16_f32_e32 v43, v43
	v_cvt_f16_f32_e32 v48, v48
	v_cvt_f16_f32_e32 v92, v92
	v_cvt_f32_f16_e32 v31, v31
	v_cvt_f32_f16_e32 v43, v43
	;; [unrolled: 1-line block ×4, first 2 shown]
	v_perm_b32 v112, v100, v93, s96
	v_accvgpr_write_b32 a0, v31
	v_accvgpr_write_b32 a1, v43
	;; [unrolled: 1-line block ×4, first 2 shown]
	v_cvt_f32_f16_e32 v102, v101
	s_nop 0
	v_mfma_f32_16x16x16_f16 a[0:3], v[112:113], v[2:3], a[0:3]
	v_cvt_f32_f16_sdwa v112, v101 dst_sel:DWORD dst_unused:UNUSED_PAD src0_sel:WORD_1
	v_cvt_f32_f16_e32 v113, v38
	v_cvt_f32_f16_sdwa v38, v38 dst_sel:DWORD dst_unused:UNUSED_PAD src0_sel:WORD_1
	s_nop 4
	v_accvgpr_read_b32 v31, a2
	v_accvgpr_read_b32 v43, a3
	v_cvt_f16_f32_e32 v31, v31
	v_cvt_f16_f32_e32 v43, v43
	v_accvgpr_read_b32 v48, a0
	v_accvgpr_read_b32 v121, a1
	v_accvgpr_write_b32 a0, v102
	v_perm_b32 v31, v43, v31, s96
	ds_read_u16 v43, v205 offset:192
	ds_read_u16 v92, v205 offset:720
	;; [unrolled: 1-line block ×4, first 2 shown]
	v_accvgpr_write_b32 a1, v112
	v_accvgpr_write_b32 a2, v113
	;; [unrolled: 1-line block ×3, first 2 shown]
	v_cvt_f16_f32_e32 v123, v48
	s_waitcnt lgkmcnt(0)
	v_perm_b32 v101, v100, v93, s96
	v_perm_b32 v100, v92, v43, s96
	v_cvt_f16_f32_e32 v125, v121
	s_nop 0
	v_mfma_f32_16x16x16_f16 a[0:3], v[100:101], v[4:5], a[0:3]
	ds_read_u16 v100, v205 offset:17088
	ds_read_u16 v102, v205 offset:17616
	;; [unrolled: 1-line block ×4, first 2 shown]
	s_waitcnt lgkmcnt(2)
	v_perm_b32 v100, v102, v100, s96
	s_nop 1
	v_accvgpr_read_b32 v38, a0
	v_accvgpr_read_b32 v43, a1
	;; [unrolled: 1-line block ×4, first 2 shown]
	v_cvt_f16_f32_e32 v38, v38
	v_cvt_f16_f32_e32 v43, v43
	;; [unrolled: 1-line block ×4, first 2 shown]
	v_cvt_f32_f16_e32 v38, v38
	v_cvt_f32_f16_e32 v43, v43
	;; [unrolled: 1-line block ×4, first 2 shown]
	s_waitcnt lgkmcnt(0)
	v_perm_b32 v101, v112, v101, s96
	v_accvgpr_write_b32 a0, v38
	v_accvgpr_write_b32 a1, v43
	;; [unrolled: 1-line block ×4, first 2 shown]
	s_nop 1
	v_mfma_f32_16x16x16_f16 a[0:3], v[100:101], v[2:3], a[0:3]
	s_nop 7
	v_accvgpr_read_b32 v38, a2
	v_accvgpr_read_b32 v92, a3
	v_cvt_f16_f32_e32 v38, v38
	v_cvt_f16_f32_e32 v92, v92
	v_accvgpr_read_b32 v101, a0
	v_accvgpr_read_b32 v164, a1
	v_accvgpr_write_b32 a0, v128
	v_perm_b32 v38, v92, v38, s96
	ds_read_u16 v92, v205 offset:224
	ds_read_u16 v100, v205 offset:752
	;; [unrolled: 1-line block ×4, first 2 shown]
	v_accvgpr_write_b32 a1, v127
	v_accvgpr_write_b32 a2, v129
	;; [unrolled: 1-line block ×3, first 2 shown]
	v_cvt_f16_f32_e32 v43, v101
	s_waitcnt lgkmcnt(0)
	v_perm_b32 v113, v112, v102, s96
	v_perm_b32 v112, v100, v92, s96
	ds_read_u16 v127, v205 offset:17120
	ds_read_u16 v129, v205 offset:17648
	;; [unrolled: 1-line block ×4, first 2 shown]
	v_mfma_f32_16x16x16_f16 a[0:3], v[112:113], v[4:5], a[0:3]
	v_cvt_f16_f32_e32 v93, v164
	v_perm_b32 v43, v93, v43, s96
	s_nop 5
	v_accvgpr_read_b32 v92, a0
	v_cvt_f16_f32_e32 v112, v92
	v_accvgpr_read_b32 v92, a1
	v_cvt_f16_f32_e32 v113, v92
	;; [unrolled: 2-line block ×4, first 2 shown]
	v_cvt_f32_f16_e32 v92, v112
	v_cvt_f32_f16_e32 v100, v113
	;; [unrolled: 1-line block ×4, first 2 shown]
	s_waitcnt lgkmcnt(0)
	v_perm_b32 v113, v130, v102, s96
	v_perm_b32 v112, v129, v127, s96
	v_accvgpr_write_b32 a0, v92
	v_accvgpr_write_b32 a1, v100
	;; [unrolled: 1-line block ×4, first 2 shown]
	v_perm_b32 v93, v125, v123, s96
	s_nop 0
	v_mfma_f32_16x16x16_f16 a[0:3], v[112:113], v[2:3], a[0:3]
	s_nop 7
	v_accvgpr_read_b32 v92, a2
	v_accvgpr_read_b32 v100, a3
	v_cvt_f16_f32_e32 v92, v92
	v_cvt_f16_f32_e32 v100, v100
	v_accvgpr_read_b32 v113, a0
	v_accvgpr_read_b32 v126, a1
	v_accvgpr_write_b32 a0, v132
	v_perm_b32 v112, v100, v92, s96
	ds_read_u16 v92, v205 offset:256
	ds_read_u16 v100, v205 offset:784
	;; [unrolled: 1-line block ×4, first 2 shown]
	v_accvgpr_write_b32 a1, v99
	v_accvgpr_write_b32 a2, v133
	s_waitcnt lgkmcnt(2)
	v_perm_b32 v130, v100, v92, s96
	v_accvgpr_write_b32 a3, v95
	s_waitcnt lgkmcnt(0)
	v_perm_b32 v131, v129, v102, s96
	v_cvt_f16_f32_e32 v127, v113
	v_cvt_f16_f32_e32 v128, v126
	v_mfma_f32_16x16x16_f16 a[0:3], v[130:131], v[4:5], a[0:3]
	ds_read_u16 v102, v205 offset:17152
	ds_read_u16 v129, v205 offset:17680
	;; [unrolled: 1-line block ×4, first 2 shown]
	v_perm_b32 v127, v128, v127, s96
	s_waitcnt lgkmcnt(0)
	v_perm_b32 v131, v131, v130, s96
	s_nop 0
	v_accvgpr_read_b32 v92, a0
	v_accvgpr_read_b32 v95, a1
	;; [unrolled: 1-line block ×4, first 2 shown]
	v_cvt_f16_f32_e32 v92, v92
	v_cvt_f16_f32_e32 v95, v95
	;; [unrolled: 1-line block ×4, first 2 shown]
	v_cvt_f32_f16_e32 v92, v92
	v_cvt_f32_f16_e32 v95, v95
	;; [unrolled: 1-line block ×4, first 2 shown]
	v_perm_b32 v130, v129, v102, s96
	v_accvgpr_write_b32 a0, v92
	v_accvgpr_write_b32 a1, v95
	;; [unrolled: 1-line block ×4, first 2 shown]
	s_nop 1
	v_mfma_f32_16x16x16_f16 a[0:3], v[130:131], v[2:3], a[0:3]
	s_nop 7
	v_accvgpr_read_b32 v92, a2
	v_accvgpr_read_b32 v95, a3
	v_cvt_f16_f32_e32 v92, v92
	v_cvt_f16_f32_e32 v95, v95
	v_accvgpr_read_b32 v99, a0
	v_accvgpr_read_b32 v129, a1
	v_accvgpr_write_b32 a0, v134
	v_perm_b32 v95, v95, v92, s96
	ds_read_u16 v92, v205 offset:288
	ds_read_u16 v100, v205 offset:816
	;; [unrolled: 1-line block ×4, first 2 shown]
	v_accvgpr_write_b32 a1, v91
	v_accvgpr_write_b32 a2, v135
	;; [unrolled: 1-line block ×3, first 2 shown]
	v_cvt_f16_f32_e32 v130, v99
	s_waitcnt lgkmcnt(0)
	v_perm_b32 v133, v132, v102, s96
	v_perm_b32 v132, v100, v92, s96
	v_cvt_f16_f32_e32 v131, v129
	v_perm_b32 v130, v131, v130, s96
	v_mfma_f32_16x16x16_f16 a[0:3], v[132:133], v[4:5], a[0:3]
	ds_read_u16 v102, v205 offset:17184
	ds_read_u16 v132, v205 offset:17712
	;; [unrolled: 1-line block ×4, first 2 shown]
	s_waitcnt lgkmcnt(2)
	v_perm_b32 v132, v132, v102, s96
	s_waitcnt lgkmcnt(0)
	v_perm_b32 v133, v134, v133, s96
	v_accvgpr_read_b32 v88, a0
	v_accvgpr_read_b32 v91, a1
	v_accvgpr_read_b32 v92, a2
	v_accvgpr_read_b32 v100, a3
	v_cvt_f16_f32_e32 v88, v88
	v_cvt_f16_f32_e32 v91, v91
	;; [unrolled: 1-line block ×4, first 2 shown]
	v_cvt_f32_f16_e32 v88, v88
	v_cvt_f32_f16_e32 v91, v91
	;; [unrolled: 1-line block ×4, first 2 shown]
	v_accvgpr_write_b32 a0, v88
	v_accvgpr_write_b32 a1, v91
	;; [unrolled: 1-line block ×4, first 2 shown]
	s_nop 1
	v_mfma_f32_16x16x16_f16 a[0:3], v[132:133], v[2:3], a[0:3]
	s_nop 7
	v_accvgpr_read_b32 v88, a2
	v_accvgpr_read_b32 v92, a3
	v_cvt_f16_f32_e32 v88, v88
	v_cvt_f16_f32_e32 v92, v92
	v_accvgpr_read_b32 v91, a0
	v_accvgpr_read_b32 v132, a1
	v_accvgpr_write_b32 a0, v138
	v_perm_b32 v88, v92, v88, s96
	ds_read_u16 v92, v205 offset:320
	ds_read_u16 v100, v205 offset:848
	ds_read_u16 v102, v205 offset:1376
	ds_read_u16 v135, v206 offset:320
	v_accvgpr_write_b32 a1, v51
	v_accvgpr_write_b32 a2, v139
	s_waitcnt lgkmcnt(2)
	v_perm_b32 v136, v100, v92, s96
	v_accvgpr_write_b32 a3, v1
	s_waitcnt lgkmcnt(0)
	v_perm_b32 v137, v135, v102, s96
	v_cvt_f32_f16_e32 v139, v166
	v_cvt_f16_f32_e32 v133, v91
	v_mfma_f32_16x16x16_f16 a[0:3], v[136:137], v[4:5], a[0:3]
	ds_read_u16 v102, v205 offset:17216
	ds_read_u16 v135, v205 offset:17744
	;; [unrolled: 1-line block ×4, first 2 shown]
	v_cvt_f16_f32_e32 v134, v132
	s_waitcnt lgkmcnt(0)
	v_perm_b32 v137, v137, v136, s96
	s_nop 0
	v_accvgpr_read_b32 v1, a0
	v_accvgpr_read_b32 v51, a1
	;; [unrolled: 1-line block ×4, first 2 shown]
	v_cvt_f16_f32_e32 v1, v1
	v_cvt_f16_f32_e32 v51, v51
	;; [unrolled: 1-line block ×4, first 2 shown]
	v_cvt_f32_f16_e32 v1, v1
	v_cvt_f32_f16_e32 v51, v51
	v_cvt_f32_f16_e32 v92, v92
	v_cvt_f32_f16_e32 v100, v100
	v_perm_b32 v136, v135, v102, s96
	v_accvgpr_write_b32 a0, v1
	v_accvgpr_write_b32 a1, v51
	;; [unrolled: 1-line block ×4, first 2 shown]
	v_perm_b32 v133, v134, v133, s96
	s_nop 0
	v_mfma_f32_16x16x16_f16 a[0:3], v[136:137], v[2:3], a[0:3]
	s_nop 7
	v_accvgpr_read_b32 v1, a2
	v_accvgpr_read_b32 v51, a3
	v_cvt_f16_f32_e32 v1, v1
	v_cvt_f16_f32_e32 v51, v51
	v_accvgpr_read_b32 v135, a0
	v_accvgpr_read_b32 v136, a1
	v_accvgpr_write_b32 a0, v139
	v_perm_b32 v1, v51, v1, s96
	ds_read_u16 v51, v205 offset:352
	ds_read_u16 v92, v205 offset:880
	;; [unrolled: 1-line block ×4, first 2 shown]
	v_accvgpr_write_b32 a1, v142
	v_accvgpr_write_b32 a2, v143
	s_waitcnt lgkmcnt(2)
	v_perm_b32 v140, v92, v51, s96
	v_accvgpr_write_b32 a3, v97
	s_waitcnt lgkmcnt(0)
	v_perm_b32 v141, v102, v100, s96
	v_cvt_f16_f32_e32 v137, v135
	v_cvt_f16_f32_e32 v138, v136
	v_mfma_f32_16x16x16_f16 a[0:3], v[140:141], v[4:5], a[0:3]
	ds_read_u16 v102, v205 offset:17248
	ds_read_u16 v139, v205 offset:17776
	;; [unrolled: 1-line block ×4, first 2 shown]
	s_waitcnt lgkmcnt(0)
	v_perm_b32 v141, v141, v140, s96
	s_nop 1
	v_accvgpr_read_b32 v51, a0
	v_accvgpr_read_b32 v92, a1
	;; [unrolled: 1-line block ×4, first 2 shown]
	v_cvt_f16_f32_e32 v51, v51
	v_cvt_f16_f32_e32 v92, v92
	;; [unrolled: 1-line block ×4, first 2 shown]
	v_cvt_f32_f16_e32 v51, v51
	v_cvt_f32_f16_e32 v92, v92
	;; [unrolled: 1-line block ×4, first 2 shown]
	v_perm_b32 v140, v139, v102, s96
	v_accvgpr_write_b32 a0, v51
	v_accvgpr_write_b32 a1, v92
	;; [unrolled: 1-line block ×4, first 2 shown]
	s_nop 1
	v_mfma_f32_16x16x16_f16 a[0:3], v[140:141], v[2:3], a[0:3]
	s_nop 7
	v_accvgpr_read_b32 v51, a2
	v_accvgpr_read_b32 v92, a3
	v_cvt_f16_f32_e32 v51, v51
	v_cvt_f16_f32_e32 v92, v92
	v_accvgpr_read_b32 v97, a0
	v_accvgpr_read_b32 v139, a1
	v_accvgpr_write_b32 a0, v144
	v_perm_b32 v51, v92, v51, s96
	ds_read_u16 v92, v205 offset:384
	ds_read_u16 v100, v205 offset:912
	;; [unrolled: 1-line block ×4, first 2 shown]
	v_accvgpr_write_b32 a1, v90
	v_accvgpr_write_b32 a2, v145
	;; [unrolled: 1-line block ×3, first 2 shown]
	v_cvt_f16_f32_e32 v140, v97
	s_waitcnt lgkmcnt(0)
	v_perm_b32 v143, v142, v102, s96
	v_perm_b32 v142, v100, v92, s96
	v_cvt_f16_f32_e32 v141, v139
	s_nop 0
	v_mfma_f32_16x16x16_f16 a[0:3], v[142:143], v[4:5], a[0:3]
	ds_read_u16 v102, v205 offset:17280
	ds_read_u16 v142, v205 offset:17808
	;; [unrolled: 1-line block ×4, first 2 shown]
	s_waitcnt lgkmcnt(2)
	v_perm_b32 v142, v142, v102, s96
	s_nop 1
	v_accvgpr_read_b32 v89, a0
	v_accvgpr_read_b32 v90, a1
	;; [unrolled: 1-line block ×4, first 2 shown]
	v_cvt_f16_f32_e32 v89, v89
	v_cvt_f16_f32_e32 v90, v90
	;; [unrolled: 1-line block ×4, first 2 shown]
	v_cvt_f32_f16_e32 v89, v89
	v_cvt_f32_f16_e32 v90, v90
	v_cvt_f32_f16_e32 v92, v92
	v_cvt_f32_f16_e32 v100, v100
	s_waitcnt lgkmcnt(0)
	v_perm_b32 v143, v144, v143, s96
	v_accvgpr_write_b32 a0, v89
	v_accvgpr_write_b32 a1, v90
	;; [unrolled: 1-line block ×4, first 2 shown]
	s_nop 1
	v_mfma_f32_16x16x16_f16 a[0:3], v[142:143], v[2:3], a[0:3]
	s_nop 7
	v_accvgpr_read_b32 v89, a2
	v_accvgpr_read_b32 v92, a3
	v_cvt_f16_f32_e32 v89, v89
	v_cvt_f16_f32_e32 v92, v92
	v_accvgpr_read_b32 v90, a0
	v_accvgpr_read_b32 v142, a1
	v_accvgpr_write_b32 a0, v148
	v_perm_b32 v89, v92, v89, s96
	ds_read_u16 v92, v205 offset:416
	ds_read_u16 v100, v205 offset:944
	;; [unrolled: 1-line block ×4, first 2 shown]
	v_accvgpr_write_b32 a1, v119
	v_accvgpr_write_b32 a2, v149
	s_waitcnt lgkmcnt(2)
	v_perm_b32 v146, v100, v92, s96
	v_accvgpr_write_b32 a3, v41
	s_waitcnt lgkmcnt(0)
	v_perm_b32 v147, v145, v102, s96
	v_cvt_f16_f32_e32 v143, v90
	v_cvt_f16_f32_e32 v144, v142
	v_mfma_f32_16x16x16_f16 a[0:3], v[146:147], v[4:5], a[0:3]
	ds_read_u16 v119, v205 offset:17312
	ds_read_u16 v145, v205 offset:17840
	;; [unrolled: 1-line block ×4, first 2 shown]
	s_waitcnt lgkmcnt(0)
	v_perm_b32 v147, v147, v146, s96
	s_nop 1
	v_accvgpr_read_b32 v41, a0
	v_accvgpr_read_b32 v92, a1
	;; [unrolled: 1-line block ×4, first 2 shown]
	v_cvt_f16_f32_e32 v41, v41
	v_cvt_f16_f32_e32 v92, v92
	;; [unrolled: 1-line block ×4, first 2 shown]
	v_cvt_f32_f16_e32 v41, v41
	v_cvt_f32_f16_e32 v92, v92
	;; [unrolled: 1-line block ×4, first 2 shown]
	v_perm_b32 v146, v145, v119, s96
	v_accvgpr_write_b32 a0, v41
	v_accvgpr_write_b32 a1, v92
	;; [unrolled: 1-line block ×4, first 2 shown]
	s_nop 1
	v_mfma_f32_16x16x16_f16 a[0:3], v[146:147], v[2:3], a[0:3]
	s_nop 7
	v_accvgpr_read_b32 v41, a2
	v_accvgpr_read_b32 v92, a3
	v_cvt_f16_f32_e32 v41, v41
	v_cvt_f16_f32_e32 v92, v92
	v_accvgpr_read_b32 v119, a0
	v_accvgpr_read_b32 v145, a1
	v_accvgpr_write_b32 a0, v150
	v_perm_b32 v41, v92, v41, s96
	ds_read_u16 v92, v205 offset:448
	ds_read_u16 v100, v205 offset:976
	;; [unrolled: 1-line block ×4, first 2 shown]
	v_accvgpr_write_b32 a1, v36
	v_accvgpr_write_b32 a2, v151
	v_accvgpr_write_b32 a3, v35
	v_cvt_f16_f32_e32 v146, v119
	s_waitcnt lgkmcnt(0)
	v_perm_b32 v149, v148, v102, s96
	v_perm_b32 v148, v100, v92, s96
	v_cvt_f16_f32_e32 v147, v145
	s_nop 0
	v_mfma_f32_16x16x16_f16 a[0:3], v[148:149], v[4:5], a[0:3]
	ds_read_u16 v102, v205 offset:17344
	ds_read_u16 v148, v205 offset:17872
	;; [unrolled: 1-line block ×4, first 2 shown]
	s_waitcnt lgkmcnt(2)
	v_perm_b32 v148, v148, v102, s96
	s_nop 1
	v_accvgpr_read_b32 v35, a0
	v_accvgpr_read_b32 v36, a1
	;; [unrolled: 1-line block ×4, first 2 shown]
	v_cvt_f16_f32_e32 v35, v35
	v_cvt_f16_f32_e32 v36, v36
	;; [unrolled: 1-line block ×4, first 2 shown]
	v_cvt_f32_f16_e32 v35, v35
	v_cvt_f32_f16_e32 v36, v36
	;; [unrolled: 1-line block ×4, first 2 shown]
	s_waitcnt lgkmcnt(0)
	v_perm_b32 v149, v150, v149, s96
	v_accvgpr_write_b32 a0, v35
	v_accvgpr_write_b32 a1, v36
	v_accvgpr_write_b32 a2, v92
	v_accvgpr_write_b32 a3, v100
	s_nop 1
	v_mfma_f32_16x16x16_f16 a[0:3], v[148:149], v[2:3], a[0:3]
	s_nop 7
	v_accvgpr_read_b32 v35, a2
	v_accvgpr_read_b32 v92, a3
	v_cvt_f16_f32_e32 v35, v35
	v_cvt_f16_f32_e32 v92, v92
	v_accvgpr_read_b32 v36, a0
	v_accvgpr_read_b32 v148, a1
	v_accvgpr_write_b32 a0, v154
	v_perm_b32 v35, v92, v35, s96
	ds_read_u16 v92, v205 offset:480
	ds_read_u16 v100, v205 offset:1008
	;; [unrolled: 1-line block ×4, first 2 shown]
	v_accvgpr_write_b32 a1, v28
	v_accvgpr_write_b32 a2, v155
	s_waitcnt lgkmcnt(2)
	v_perm_b32 v152, v100, v92, s96
	v_accvgpr_write_b32 a3, v27
	s_waitcnt lgkmcnt(0)
	v_perm_b32 v153, v151, v102, s96
	v_cvt_f16_f32_e32 v149, v36
	v_cvt_f16_f32_e32 v150, v148
	v_mfma_f32_16x16x16_f16 a[0:3], v[152:153], v[4:5], a[0:3]
	v_perm_b32 v9, v150, v149, s96
	s_nop 6
	v_accvgpr_read_b32 v28, a3
	v_accvgpr_read_b32 v4, a0
	;; [unrolled: 1-line block ×4, first 2 shown]
	v_cvt_f16_f32_e32 v151, v28
	ds_read_u16 v28, v205 offset:17376
	ds_read_u16 v152, v205 offset:17904
	ds_read_u16 v102, v205 offset:18432
	ds_read_u16 v153, v206 offset:17376
	v_cvt_f16_f32_e32 v4, v4
	v_cvt_f16_f32_e32 v5, v5
	;; [unrolled: 1-line block ×3, first 2 shown]
	v_cvt_f32_f16_e32 v151, v151
	v_cvt_f32_f16_e32 v92, v4
	;; [unrolled: 1-line block ×4, first 2 shown]
	s_waitcnt lgkmcnt(0)
	v_perm_b32 v5, v153, v102, s96
	v_perm_b32 v4, v152, v28, s96
	v_accvgpr_write_b32 a0, v92
	v_accvgpr_write_b32 a1, v100
	;; [unrolled: 1-line block ×4, first 2 shown]
	v_perm_b32 v100, v141, v140, s96
	v_perm_b32 v102, v138, v137, s96
	v_mfma_f32_16x16x16_f16 a[0:3], v[4:5], v[2:3], a[0:3]
	s_barrier
	s_nop 6
	v_accvgpr_read_b32 v2, a0
	v_accvgpr_read_b32 v3, a1
	v_accvgpr_read_b32 v4, a2
	v_accvgpr_read_b32 v28, a3
	v_cvt_f16_f32_e32 v5, v2
	v_cvt_f16_f32_e32 v27, v3
	;; [unrolled: 1-line block ×4, first 2 shown]
	v_perm_b32 v5, v27, v5, s96
	v_perm_b32 v27, v147, v146, s96
	;; [unrolled: 1-line block ×4, first 2 shown]
	s_and_saveexec_b64 s[10:11], s[14:15]
	s_cbranch_execz .LBB32_317
; %bb.316:                              ;   in Loop: Header=BB32_12 Depth=1
	v_lshlrev_b32_e32 v5, 2, v110
	v_readfirstlane_b32 s14, v162
	v_readfirstlane_b32 s15, v163
	v_cvt_pk_f16_f32 v9, v12, v13
	v_max_f32_e32 v12, v6, v6
	v_cvt_pk_f16_f32 v21, v34, v37
	v_cvt_pk_f16_f32 v2, v2, v3
	;; [unrolled: 1-line block ×3, first 2 shown]
	global_load_dword v5, v5, s[14:15]
	v_cvt_pk_f16_f32 v17, v22, v23
	v_cvt_pk_f16_f32 v18, v29, v30
	;; [unrolled: 1-line block ×12, first 2 shown]
	s_waitcnt vmcnt(0)
	v_max_f32_e32 v13, v5, v5
	v_max_f32_e32 v12, v12, v13
	v_sub_f32_e32 v6, v6, v12
	v_sub_f32_e32 v5, v5, v12
	v_mul_f32_e32 v13, 0x3fb8aa3b, v6
	v_mul_f32_e32 v14, 0x3fb8aa3b, v5
	v_fma_f32 v20, v6, s65, -v13
	v_rndne_f32_e32 v25, v13
	v_fma_f32 v32, v5, s65, -v14
	v_rndne_f32_e32 v37, v14
	v_fmac_f32_e32 v20, 0x32a5705f, v6
	v_sub_f32_e32 v13, v13, v25
	v_fmac_f32_e32 v32, 0x32a5705f, v5
	v_sub_f32_e32 v14, v14, v37
	v_add_f32_e32 v13, v13, v20
	v_cvt_i32_f32_e32 v25, v25
	v_add_f32_e32 v14, v14, v32
	v_exp_f32_e32 v13, v13
	v_cvt_i32_f32_e32 v37, v37
	v_exp_f32_e32 v14, v14
	v_cmp_ngt_f32_e32 vcc, s92, v6
	v_ldexp_f32 v3, v13, v25
	v_ldexp_f32 v13, v14, v37
	v_cndmask_b32_e32 v3, 0, v3, vcc
	v_cmp_ngt_f32_e32 vcc, s92, v5
	s_nop 1
	v_cndmask_b32_e32 v13, 0, v13, vcc
	v_cmp_nlt_f32_e32 vcc, s93, v6
	s_nop 1
	v_cndmask_b32_e32 v3, v224, v3, vcc
	v_cmp_le_f32_e32 vcc, s95, v6
	s_nop 1
	v_cndmask_b32_e32 v3, 0, v3, vcc
	v_cvt_f16_f32_e32 v6, v3
	v_cmp_nlt_f32_e32 vcc, s93, v5
	s_nop 1
	v_cndmask_b32_e32 v13, v224, v13, vcc
	v_fmac_f32_e32 v13, v7, v3
	v_mul_u32_u24_e32 v3, 0x10001, v6
	v_pk_mul_f16 v14, v9, v3
	v_pk_mul_f16 v10, v10, v3
	;; [unrolled: 1-line block ×32, first 2 shown]
	v_mov_b64_e32 v[6:7], v[12:13]
.LBB32_317:                             ;   in Loop: Header=BB32_12 Depth=1
	s_or_b64 exec, exec, s[10:11]
	s_and_saveexec_b64 s[10:11], s[6:7]
; %bb.318:                              ;   in Loop: Header=BB32_12 Depth=1
	v_add_u32_e32 v2, 0, v213
	ds_write2_b32 v2, v6, v7 offset0:128 offset1:129
; %bb.319:                              ;   in Loop: Header=BB32_12 Depth=1
	s_or_b64 exec, exec, s[10:11]
	s_waitcnt lgkmcnt(0)
	s_barrier
	s_and_saveexec_b64 s[10:11], s[12:13]
	s_xor_b64 s[10:11], exec, s[10:11]
	s_cbranch_execz .LBB32_321
; %bb.320:                              ;   in Loop: Header=BB32_12 Depth=1
	s_barrier
                                        ; implicit-def: $vgpr8
.LBB32_321:                             ;   in Loop: Header=BB32_12 Depth=1
	s_andn2_saveexec_b64 s[10:11], s[10:11]
	s_cbranch_execz .LBB32_325
; %bb.322:                              ;   in Loop: Header=BB32_12 Depth=1
	v_add_u32_e32 v6, 0, v214
	ds_read_b64 v[2:3], v6 offset:512
	s_waitcnt lgkmcnt(0)
	s_barrier
	ds_bpermute_b32 v7, v8, v2
	v_max_f32_e32 v12, v2, v2
	s_waitcnt lgkmcnt(0)
	v_max_f32_e32 v7, v7, v7
	v_max_f32_e32 v7, v12, v7
	v_sub_f32_e32 v2, v2, v7
	v_mul_f32_e32 v7, 0x3fb8aa3b, v2
	v_fma_f32 v12, v2, s65, -v7
	v_rndne_f32_e32 v13, v7
	v_fmac_f32_e32 v12, 0x32a5705f, v2
	v_sub_f32_e32 v7, v7, v13
	v_add_f32_e32 v7, v7, v12
	v_cvt_i32_f32_e32 v13, v13
	v_exp_f32_e32 v7, v7
	v_cmp_ngt_f32_e32 vcc, s92, v2
	v_ldexp_f32 v7, v7, v13
	s_nop 0
	v_cndmask_b32_e32 v7, 0, v7, vcc
	v_cmp_nlt_f32_e32 vcc, s93, v2
	s_nop 1
	v_cndmask_b32_e32 v2, v224, v7, vcc
	v_mul_f32_e32 v3, v3, v2
	ds_bpermute_b32 v7, v8, v3
	s_and_saveexec_b64 s[14:15], s[8:9]
	s_cbranch_execz .LBB32_324
; %bb.323:                              ;   in Loop: Header=BB32_12 Depth=1
	s_waitcnt lgkmcnt(0)
	v_add_f32_e32 v3, v3, v7
	ds_write_b64 v6, v[2:3] offset:512
.LBB32_324:                             ;   in Loop: Header=BB32_12 Depth=1
	s_or_b64 exec, exec, s[14:15]
.LBB32_325:                             ;   in Loop: Header=BB32_12 Depth=1
	s_or_b64 exec, exec, s[10:11]
	v_add_u32_e32 v2, v111, v215
	ds_write2_b32 v2, v14, v10 offset1:1
	ds_write2_b32 v2, v20, v11 offset0:8 offset1:9
	ds_write2_b32 v2, v25, v16 offset0:16 offset1:17
	;; [unrolled: 1-line block ×15, first 2 shown]
	s_waitcnt lgkmcnt(0)
	s_barrier
	s_and_saveexec_b64 s[72:73], s[0:1]
	s_cbranch_execz .LBB32_10
; %bb.326:                              ;   in Loop: Header=BB32_12 Depth=1
	v_add_u32_e32 v1, v231, v117
	v_or_b32_e32 v2, v114, v47
	v_cmp_gt_i32_e32 vcc, s36, v1
	v_cmp_gt_i32_e64 s[10:11], s76, v2
	s_and_b64 s[74:75], vcc, s[10:11]
	v_mov_b32_e32 v2, 0x47
	s_and_saveexec_b64 s[14:15], s[74:75]
	s_cbranch_execz .LBB32_328
; %bb.327:                              ;   in Loop: Header=BB32_12 Depth=1
	ds_read2st64_b32 v[2:3], v236 offset1:1
	ds_read2st64_b32 v[4:5], v236 offset0:33 offset1:34
	ds_read2_b32 v[6:7], v216 offset0:128 offset1:129
	ds_read_b32 v8, v216 offset:8960
	v_mad_u64_u32 v[14:15], s[74:75], v1, s37, v[114:115]
	s_waitcnt lgkmcnt(3)
	v_cvt_f32_f16_sdwa v11, v2 dst_sel:DWORD dst_unused:UNUSED_PAD src0_sel:WORD_1
	v_cvt_f32_f16_e32 v10, v2
	s_waitcnt lgkmcnt(2)
	v_cvt_f32_f16_sdwa v13, v4 dst_sel:DWORD dst_unused:UNUSED_PAD src0_sel:WORD_1
	v_cvt_f32_f16_e32 v12, v4
	v_cvt_f32_f16_sdwa v15, v3 dst_sel:DWORD dst_unused:UNUSED_PAD src0_sel:WORD_1
	s_waitcnt lgkmcnt(1)
	v_pk_fma_f32 v[10:11], v[6:7], v[10:11], 0 op_sel_hi:[0,1,0]
	s_waitcnt lgkmcnt(0)
	v_pk_fma_f32 v[10:11], v[8:9], v[12:13], v[10:11] op_sel_hi:[0,1,1]
	v_div_scale_f32 v1, s[74:75], v7, v7, v11
	v_rcp_f32_e32 v2, v1
	v_lshl_add_u32 v12, v14, 7, v44
	v_ashrrev_i32_e32 v13, 31, v12
	v_lshl_add_u64 v[12:13], v[12:13], 3, v[160:161]
	v_fma_f32 v4, -v1, v2, 1.0
	v_fmac_f32_e32 v2, v4, v2
	v_div_scale_f32 v4, vcc, v11, v7, v11
	v_mul_f32_e32 v9, v4, v2
	v_fma_f32 v14, -v1, v9, v4
	v_fmac_f32_e32 v9, v14, v2
	v_fma_f32 v1, -v1, v9, v4
	v_div_scale_f32 v4, s[74:75], v7, v7, v10
	v_rcp_f32_e32 v16, v4
	v_div_fmas_f32 v1, v1, v2, v9
	v_div_fixup_f32 v9, v1, v7, v11
	v_cvt_f32_f16_e32 v14, v3
	v_fma_f32 v1, -v4, v16, 1.0
	v_fmac_f32_e32 v16, v1, v16
	v_div_scale_f32 v1, vcc, v10, v7, v10
	v_mul_f32_e32 v11, v1, v16
	v_cvt_f32_f16_sdwa v3, v5 dst_sel:DWORD dst_unused:UNUSED_PAD src0_sel:WORD_1
	v_cvt_f32_f16_e32 v2, v5
	v_fma_f32 v17, -v4, v11, v1
	v_fmac_f32_e32 v11, v17, v16
	v_fma_f32 v1, -v4, v11, v1
	v_pk_fma_f32 v[4:5], v[6:7], v[14:15], 0 op_sel_hi:[0,1,0]
	v_pk_fma_f32 v[2:3], v[8:9], v[2:3], v[4:5] op_sel_hi:[0,1,1]
	v_div_scale_f32 v4, s[74:75], v7, v7, v3
	v_rcp_f32_e32 v5, v4
	v_div_fmas_f32 v1, v1, v16, v11
	v_div_fixup_f32 v8, v1, v7, v10
	global_store_dwordx2 v[12:13], v[8:9], off
	v_fma_f32 v1, -v4, v5, 1.0
	v_fmac_f32_e32 v5, v1, v5
	v_div_scale_f32 v1, vcc, v3, v7, v3
	v_mul_f32_e32 v6, v1, v5
	v_fma_f32 v8, -v4, v6, v1
	v_fmac_f32_e32 v6, v8, v5
	v_fma_f32 v1, -v4, v6, v1
	v_div_scale_f32 v4, s[74:75], v7, v7, v2
	v_rcp_f32_e32 v8, v4
	v_div_fmas_f32 v1, v1, v5, v6
	v_div_fixup_f32 v3, v1, v7, v3
	v_fma_f32 v1, -v4, v8, 1.0
	v_fmac_f32_e32 v8, v1, v8
	v_div_scale_f32 v1, vcc, v2, v7, v2
	v_mul_f32_e32 v5, v1, v8
	v_fma_f32 v6, -v4, v5, v1
	v_fmac_f32_e32 v5, v6, v8
	v_fma_f32 v1, -v4, v5, v1
	v_div_fmas_f32 v1, v1, v8, v5
	v_div_fixup_f32 v2, v1, v7, v2
	global_store_dwordx2 v[12:13], v[2:3], off offset:512
	v_mov_b32_e32 v2, 0
.LBB32_328:                             ;   in Loop: Header=BB32_12 Depth=1
	s_or_b64 exec, exec, s[14:15]
	v_cmp_gt_i32_e32 vcc, s97, v2
	s_mov_b64 s[14:15], -1
	s_and_saveexec_b64 s[74:75], vcc
; %bb.329:                              ;   in Loop: Header=BB32_12 Depth=1
	v_cmp_eq_u32_e32 vcc, 0, v2
	s_orn2_b64 s[14:15], vcc, exec
; %bb.330:                              ;   in Loop: Header=BB32_12 Depth=1
	s_or_b64 exec, exec, s[74:75]
	s_and_b64 exec, exec, s[14:15]
	s_cbranch_execz .LBB32_10
; %bb.331:                              ;   in Loop: Header=BB32_12 Depth=1
	v_add_u32_e32 v1, v229, v117
	v_or_b32_e32 v2, v86, v47
	v_cmp_gt_i32_e32 vcc, s36, v1
	v_cmp_gt_i32_e64 s[14:15], s76, v2
	s_and_b64 s[74:75], vcc, s[14:15]
	v_mov_b32_e32 v2, 0x47
	s_and_saveexec_b64 s[14:15], s[74:75]
	s_cbranch_execz .LBB32_333
; %bb.332:                              ;   in Loop: Header=BB32_12 Depth=1
	ds_read2st64_b32 v[2:3], v237 offset1:1
	ds_read2st64_b32 v[4:5], v237 offset0:33 offset1:34
	v_accvgpr_read_b32 v8, a18
	ds_read2_b32 v[6:7], v8 offset0:128 offset1:129
	ds_read_b32 v8, v8 offset:8960
	v_mad_u64_u32 v[14:15], s[74:75], v1, s37, v[86:87]
	s_waitcnt lgkmcnt(3)
	v_cvt_f32_f16_sdwa v11, v2 dst_sel:DWORD dst_unused:UNUSED_PAD src0_sel:WORD_1
	v_cvt_f32_f16_e32 v10, v2
	s_waitcnt lgkmcnt(2)
	v_cvt_f32_f16_sdwa v13, v4 dst_sel:DWORD dst_unused:UNUSED_PAD src0_sel:WORD_1
	v_cvt_f32_f16_e32 v12, v4
	v_cvt_f32_f16_sdwa v15, v3 dst_sel:DWORD dst_unused:UNUSED_PAD src0_sel:WORD_1
	s_waitcnt lgkmcnt(1)
	v_pk_fma_f32 v[10:11], v[6:7], v[10:11], 0 op_sel_hi:[0,1,0]
	s_waitcnt lgkmcnt(0)
	v_pk_fma_f32 v[10:11], v[8:9], v[12:13], v[10:11] op_sel_hi:[0,1,1]
	v_div_scale_f32 v1, s[74:75], v7, v7, v11
	v_rcp_f32_e32 v2, v1
	v_lshl_add_u32 v12, v14, 7, v44
	v_ashrrev_i32_e32 v13, 31, v12
	v_lshl_add_u64 v[12:13], v[12:13], 3, v[160:161]
	v_fma_f32 v4, -v1, v2, 1.0
	v_fmac_f32_e32 v2, v4, v2
	v_div_scale_f32 v4, vcc, v11, v7, v11
	v_mul_f32_e32 v9, v4, v2
	v_fma_f32 v14, -v1, v9, v4
	v_fmac_f32_e32 v9, v14, v2
	v_fma_f32 v1, -v1, v9, v4
	v_div_scale_f32 v4, s[74:75], v7, v7, v10
	v_rcp_f32_e32 v16, v4
	v_div_fmas_f32 v1, v1, v2, v9
	v_div_fixup_f32 v9, v1, v7, v11
	v_cvt_f32_f16_e32 v14, v3
	v_fma_f32 v1, -v4, v16, 1.0
	v_fmac_f32_e32 v16, v1, v16
	v_div_scale_f32 v1, vcc, v10, v7, v10
	v_mul_f32_e32 v11, v1, v16
	v_cvt_f32_f16_sdwa v3, v5 dst_sel:DWORD dst_unused:UNUSED_PAD src0_sel:WORD_1
	v_cvt_f32_f16_e32 v2, v5
	v_fma_f32 v17, -v4, v11, v1
	v_fmac_f32_e32 v11, v17, v16
	v_fma_f32 v1, -v4, v11, v1
	v_pk_fma_f32 v[4:5], v[6:7], v[14:15], 0 op_sel_hi:[0,1,0]
	v_pk_fma_f32 v[2:3], v[8:9], v[2:3], v[4:5] op_sel_hi:[0,1,1]
	v_div_scale_f32 v4, s[74:75], v7, v7, v3
	v_rcp_f32_e32 v5, v4
	v_div_fmas_f32 v1, v1, v16, v11
	v_div_fixup_f32 v8, v1, v7, v10
	global_store_dwordx2 v[12:13], v[8:9], off
	v_fma_f32 v1, -v4, v5, 1.0
	v_fmac_f32_e32 v5, v1, v5
	v_div_scale_f32 v1, vcc, v3, v7, v3
	v_mul_f32_e32 v6, v1, v5
	v_fma_f32 v8, -v4, v6, v1
	v_fmac_f32_e32 v6, v8, v5
	v_fma_f32 v1, -v4, v6, v1
	v_div_scale_f32 v4, s[74:75], v7, v7, v2
	v_rcp_f32_e32 v8, v4
	v_div_fmas_f32 v1, v1, v5, v6
	v_div_fixup_f32 v3, v1, v7, v3
	v_fma_f32 v1, -v4, v8, 1.0
	v_fmac_f32_e32 v8, v1, v8
	v_div_scale_f32 v1, vcc, v2, v7, v2
	v_mul_f32_e32 v5, v1, v8
	v_fma_f32 v6, -v4, v5, v1
	v_fmac_f32_e32 v5, v6, v8
	v_fma_f32 v1, -v4, v5, v1
	v_div_fmas_f32 v1, v1, v8, v5
	v_div_fixup_f32 v2, v1, v7, v2
	global_store_dwordx2 v[12:13], v[2:3], off offset:512
	v_mov_b32_e32 v2, 0
.LBB32_333:                             ;   in Loop: Header=BB32_12 Depth=1
	s_or_b64 exec, exec, s[14:15]
	v_cmp_gt_i32_e32 vcc, s97, v2
	s_mov_b64 s[14:15], -1
	s_and_saveexec_b64 s[74:75], vcc
; %bb.334:                              ;   in Loop: Header=BB32_12 Depth=1
	v_cmp_eq_u32_e32 vcc, 0, v2
	s_orn2_b64 s[14:15], vcc, exec
; %bb.335:                              ;   in Loop: Header=BB32_12 Depth=1
	s_or_b64 exec, exec, s[74:75]
	s_and_b64 exec, exec, s[14:15]
	s_cbranch_execz .LBB32_10
; %bb.336:                              ;   in Loop: Header=BB32_12 Depth=1
	v_accvgpr_read_b32 v1, a57
	v_accvgpr_read_b32 v2, a58
	v_add_u32_e32 v1, v1, v117
	v_or_b32_e32 v2, v2, v47
	v_cmp_gt_i32_e32 vcc, s36, v1
	v_cmp_gt_i32_e64 s[14:15], s76, v2
	s_and_b64 s[74:75], vcc, s[14:15]
	v_mov_b32_e32 v2, 0x47
	s_and_saveexec_b64 s[14:15], s[74:75]
	s_cbranch_execz .LBB32_338
; %bb.337:                              ;   in Loop: Header=BB32_12 Depth=1
	v_accvgpr_read_b32 v4, a36
	ds_read2st64_b32 v[2:3], v4 offset1:1
	ds_read2st64_b32 v[4:5], v4 offset0:33 offset1:34
	v_accvgpr_read_b32 v8, a19
	ds_read2_b32 v[6:7], v8 offset0:128 offset1:129
	ds_read_b32 v8, v8 offset:8960
	s_waitcnt lgkmcnt(3)
	v_cvt_f32_f16_sdwa v11, v2 dst_sel:DWORD dst_unused:UNUSED_PAD src0_sel:WORD_1
	v_cvt_f32_f16_e32 v10, v2
	s_waitcnt lgkmcnt(2)
	v_cvt_f32_f16_sdwa v13, v4 dst_sel:DWORD dst_unused:UNUSED_PAD src0_sel:WORD_1
	v_cvt_f32_f16_e32 v12, v4
	v_accvgpr_read_b32 v2, a58
	s_waitcnt lgkmcnt(1)
	v_pk_fma_f32 v[10:11], v[6:7], v[10:11], 0 op_sel_hi:[0,1,0]
	v_mad_u64_u32 v[14:15], s[74:75], v1, s37, v[2:3]
	s_waitcnt lgkmcnt(0)
	v_pk_fma_f32 v[10:11], v[8:9], v[12:13], v[10:11] op_sel_hi:[0,1,1]
	v_div_scale_f32 v1, s[74:75], v7, v7, v11
	v_rcp_f32_e32 v2, v1
	v_lshl_add_u32 v12, v14, 7, v44
	v_cvt_f32_f16_sdwa v15, v3 dst_sel:DWORD dst_unused:UNUSED_PAD src0_sel:WORD_1
	v_ashrrev_i32_e32 v13, 31, v12
	v_fma_f32 v4, -v1, v2, 1.0
	v_fmac_f32_e32 v2, v4, v2
	v_div_scale_f32 v4, vcc, v11, v7, v11
	v_mul_f32_e32 v9, v4, v2
	v_fma_f32 v14, -v1, v9, v4
	v_fmac_f32_e32 v9, v14, v2
	v_fma_f32 v1, -v1, v9, v4
	v_div_scale_f32 v4, s[74:75], v7, v7, v10
	v_rcp_f32_e32 v16, v4
	v_div_fmas_f32 v1, v1, v2, v9
	v_div_fixup_f32 v9, v1, v7, v11
	v_cvt_f32_f16_e32 v14, v3
	v_fma_f32 v1, -v4, v16, 1.0
	v_fmac_f32_e32 v16, v1, v16
	v_div_scale_f32 v1, vcc, v10, v7, v10
	v_mul_f32_e32 v11, v1, v16
	v_cvt_f32_f16_sdwa v3, v5 dst_sel:DWORD dst_unused:UNUSED_PAD src0_sel:WORD_1
	v_cvt_f32_f16_e32 v2, v5
	v_fma_f32 v17, -v4, v11, v1
	v_fmac_f32_e32 v11, v17, v16
	v_fma_f32 v1, -v4, v11, v1
	v_pk_fma_f32 v[4:5], v[6:7], v[14:15], 0 op_sel_hi:[0,1,0]
	v_pk_fma_f32 v[2:3], v[8:9], v[2:3], v[4:5] op_sel_hi:[0,1,1]
	v_div_scale_f32 v4, s[74:75], v7, v7, v3
	v_rcp_f32_e32 v5, v4
	v_div_fmas_f32 v1, v1, v16, v11
	v_div_fixup_f32 v8, v1, v7, v10
	v_lshl_add_u64 v[12:13], v[12:13], 3, v[160:161]
	v_fma_f32 v1, -v4, v5, 1.0
	v_fmac_f32_e32 v5, v1, v5
	v_div_scale_f32 v1, vcc, v3, v7, v3
	v_mul_f32_e32 v6, v1, v5
	global_store_dwordx2 v[12:13], v[8:9], off
	v_fma_f32 v8, -v4, v6, v1
	v_fmac_f32_e32 v6, v8, v5
	v_fma_f32 v1, -v4, v6, v1
	v_div_scale_f32 v4, s[74:75], v7, v7, v2
	v_rcp_f32_e32 v8, v4
	v_div_fmas_f32 v1, v1, v5, v6
	v_div_fixup_f32 v3, v1, v7, v3
	v_fma_f32 v1, -v4, v8, 1.0
	v_fmac_f32_e32 v8, v1, v8
	v_div_scale_f32 v1, vcc, v2, v7, v2
	v_mul_f32_e32 v5, v1, v8
	v_fma_f32 v6, -v4, v5, v1
	v_fmac_f32_e32 v5, v6, v8
	v_fma_f32 v1, -v4, v5, v1
	v_div_fmas_f32 v1, v1, v8, v5
	v_div_fixup_f32 v2, v1, v7, v2
	global_store_dwordx2 v[12:13], v[2:3], off offset:512
	v_mov_b32_e32 v2, 0
.LBB32_338:                             ;   in Loop: Header=BB32_12 Depth=1
	s_or_b64 exec, exec, s[14:15]
	v_cmp_gt_i32_e32 vcc, s97, v2
	s_mov_b64 s[14:15], -1
	s_and_saveexec_b64 s[74:75], vcc
; %bb.339:                              ;   in Loop: Header=BB32_12 Depth=1
	v_cmp_eq_u32_e32 vcc, 0, v2
	s_orn2_b64 s[14:15], vcc, exec
; %bb.340:                              ;   in Loop: Header=BB32_12 Depth=1
	s_or_b64 exec, exec, s[74:75]
	s_and_b64 exec, exec, s[14:15]
	s_cbranch_execz .LBB32_10
; %bb.341:                              ;   in Loop: Header=BB32_12 Depth=1
	v_accvgpr_read_b32 v1, a59
	v_accvgpr_read_b32 v2, a60
	v_add_u32_e32 v1, v1, v117
	v_or_b32_e32 v2, v2, v47
	v_cmp_gt_i32_e32 vcc, s36, v1
	v_cmp_gt_i32_e64 s[14:15], s76, v2
	s_and_b64 s[74:75], vcc, s[14:15]
	v_mov_b32_e32 v2, 0x47
	s_and_saveexec_b64 s[14:15], s[74:75]
	s_cbranch_execz .LBB32_343
; %bb.342:                              ;   in Loop: Header=BB32_12 Depth=1
	v_accvgpr_read_b32 v4, a37
	ds_read2st64_b32 v[2:3], v4 offset1:1
	ds_read2st64_b32 v[4:5], v4 offset0:33 offset1:34
	v_accvgpr_read_b32 v8, a20
	ds_read2_b32 v[6:7], v8 offset0:128 offset1:129
	ds_read_b32 v8, v8 offset:8960
	s_waitcnt lgkmcnt(3)
	v_cvt_f32_f16_sdwa v11, v2 dst_sel:DWORD dst_unused:UNUSED_PAD src0_sel:WORD_1
	v_cvt_f32_f16_e32 v10, v2
	s_waitcnt lgkmcnt(2)
	v_cvt_f32_f16_sdwa v13, v4 dst_sel:DWORD dst_unused:UNUSED_PAD src0_sel:WORD_1
	v_cvt_f32_f16_e32 v12, v4
	v_accvgpr_read_b32 v2, a60
	s_waitcnt lgkmcnt(1)
	v_pk_fma_f32 v[10:11], v[6:7], v[10:11], 0 op_sel_hi:[0,1,0]
	v_mad_u64_u32 v[14:15], s[74:75], v1, s37, v[2:3]
	s_waitcnt lgkmcnt(0)
	v_pk_fma_f32 v[10:11], v[8:9], v[12:13], v[10:11] op_sel_hi:[0,1,1]
	v_div_scale_f32 v1, s[74:75], v7, v7, v11
	v_rcp_f32_e32 v2, v1
	v_lshl_add_u32 v12, v14, 7, v44
	v_cvt_f32_f16_sdwa v15, v3 dst_sel:DWORD dst_unused:UNUSED_PAD src0_sel:WORD_1
	v_ashrrev_i32_e32 v13, 31, v12
	v_fma_f32 v4, -v1, v2, 1.0
	v_fmac_f32_e32 v2, v4, v2
	v_div_scale_f32 v4, vcc, v11, v7, v11
	v_mul_f32_e32 v9, v4, v2
	v_fma_f32 v14, -v1, v9, v4
	v_fmac_f32_e32 v9, v14, v2
	v_fma_f32 v1, -v1, v9, v4
	v_div_scale_f32 v4, s[74:75], v7, v7, v10
	v_rcp_f32_e32 v16, v4
	v_div_fmas_f32 v1, v1, v2, v9
	v_div_fixup_f32 v9, v1, v7, v11
	v_cvt_f32_f16_e32 v14, v3
	v_fma_f32 v1, -v4, v16, 1.0
	v_fmac_f32_e32 v16, v1, v16
	v_div_scale_f32 v1, vcc, v10, v7, v10
	v_mul_f32_e32 v11, v1, v16
	v_cvt_f32_f16_sdwa v3, v5 dst_sel:DWORD dst_unused:UNUSED_PAD src0_sel:WORD_1
	v_cvt_f32_f16_e32 v2, v5
	v_fma_f32 v17, -v4, v11, v1
	v_fmac_f32_e32 v11, v17, v16
	v_fma_f32 v1, -v4, v11, v1
	v_pk_fma_f32 v[4:5], v[6:7], v[14:15], 0 op_sel_hi:[0,1,0]
	v_pk_fma_f32 v[2:3], v[8:9], v[2:3], v[4:5] op_sel_hi:[0,1,1]
	v_div_scale_f32 v4, s[74:75], v7, v7, v3
	v_rcp_f32_e32 v5, v4
	v_div_fmas_f32 v1, v1, v16, v11
	v_div_fixup_f32 v8, v1, v7, v10
	v_lshl_add_u64 v[12:13], v[12:13], 3, v[160:161]
	v_fma_f32 v1, -v4, v5, 1.0
	v_fmac_f32_e32 v5, v1, v5
	v_div_scale_f32 v1, vcc, v3, v7, v3
	v_mul_f32_e32 v6, v1, v5
	global_store_dwordx2 v[12:13], v[8:9], off
	v_fma_f32 v8, -v4, v6, v1
	v_fmac_f32_e32 v6, v8, v5
	v_fma_f32 v1, -v4, v6, v1
	v_div_scale_f32 v4, s[74:75], v7, v7, v2
	v_rcp_f32_e32 v8, v4
	v_div_fmas_f32 v1, v1, v5, v6
	v_div_fixup_f32 v3, v1, v7, v3
	v_fma_f32 v1, -v4, v8, 1.0
	v_fmac_f32_e32 v8, v1, v8
	v_div_scale_f32 v1, vcc, v2, v7, v2
	v_mul_f32_e32 v5, v1, v8
	v_fma_f32 v6, -v4, v5, v1
	v_fmac_f32_e32 v5, v6, v8
	v_fma_f32 v1, -v4, v5, v1
	v_div_fmas_f32 v1, v1, v8, v5
	v_div_fixup_f32 v2, v1, v7, v2
	global_store_dwordx2 v[12:13], v[2:3], off offset:512
	v_mov_b32_e32 v2, 0
.LBB32_343:                             ;   in Loop: Header=BB32_12 Depth=1
	s_or_b64 exec, exec, s[14:15]
	v_cmp_gt_i32_e32 vcc, s97, v2
	s_mov_b64 s[14:15], -1
	s_and_saveexec_b64 s[74:75], vcc
; %bb.344:                              ;   in Loop: Header=BB32_12 Depth=1
	v_cmp_eq_u32_e32 vcc, 0, v2
	s_orn2_b64 s[14:15], vcc, exec
; %bb.345:                              ;   in Loop: Header=BB32_12 Depth=1
	s_or_b64 exec, exec, s[74:75]
	s_and_b64 exec, exec, s[14:15]
	s_cbranch_execz .LBB32_10
; %bb.346:                              ;   in Loop: Header=BB32_12 Depth=1
	v_accvgpr_read_b32 v1, a21
	v_add_u32_e32 v1, v1, v117
	v_cmp_gt_i32_e32 vcc, s36, v1
	s_and_b64 s[74:75], vcc, s[10:11]
	v_mov_b32_e32 v2, 0x47
	s_and_saveexec_b64 s[14:15], s[74:75]
	s_cbranch_execz .LBB32_348
; %bb.347:                              ;   in Loop: Header=BB32_12 Depth=1
	v_accvgpr_read_b32 v4, a38
	ds_read2st64_b32 v[2:3], v4 offset1:1
	ds_read2st64_b32 v[4:5], v4 offset0:33 offset1:34
	v_accvgpr_read_b32 v8, a22
	ds_read2_b32 v[6:7], v8 offset0:128 offset1:129
	ds_read_b32 v8, v8 offset:8960
	v_mad_u64_u32 v[14:15], s[74:75], v1, s37, v[114:115]
	s_waitcnt lgkmcnt(3)
	v_cvt_f32_f16_sdwa v11, v2 dst_sel:DWORD dst_unused:UNUSED_PAD src0_sel:WORD_1
	v_cvt_f32_f16_e32 v10, v2
	s_waitcnt lgkmcnt(2)
	v_cvt_f32_f16_sdwa v13, v4 dst_sel:DWORD dst_unused:UNUSED_PAD src0_sel:WORD_1
	v_cvt_f32_f16_e32 v12, v4
	v_cvt_f32_f16_sdwa v15, v3 dst_sel:DWORD dst_unused:UNUSED_PAD src0_sel:WORD_1
	s_waitcnt lgkmcnt(1)
	v_pk_fma_f32 v[10:11], v[6:7], v[10:11], 0 op_sel_hi:[0,1,0]
	s_waitcnt lgkmcnt(0)
	v_pk_fma_f32 v[10:11], v[8:9], v[12:13], v[10:11] op_sel_hi:[0,1,1]
	v_div_scale_f32 v1, s[74:75], v7, v7, v11
	v_rcp_f32_e32 v2, v1
	v_lshl_add_u32 v12, v14, 7, v44
	v_ashrrev_i32_e32 v13, 31, v12
	v_lshl_add_u64 v[12:13], v[12:13], 3, v[160:161]
	v_fma_f32 v4, -v1, v2, 1.0
	v_fmac_f32_e32 v2, v4, v2
	v_div_scale_f32 v4, vcc, v11, v7, v11
	v_mul_f32_e32 v9, v4, v2
	v_fma_f32 v14, -v1, v9, v4
	v_fmac_f32_e32 v9, v14, v2
	v_fma_f32 v1, -v1, v9, v4
	v_div_scale_f32 v4, s[74:75], v7, v7, v10
	v_rcp_f32_e32 v16, v4
	v_div_fmas_f32 v1, v1, v2, v9
	v_div_fixup_f32 v9, v1, v7, v11
	v_cvt_f32_f16_e32 v14, v3
	v_fma_f32 v1, -v4, v16, 1.0
	v_fmac_f32_e32 v16, v1, v16
	v_div_scale_f32 v1, vcc, v10, v7, v10
	v_mul_f32_e32 v11, v1, v16
	v_cvt_f32_f16_sdwa v3, v5 dst_sel:DWORD dst_unused:UNUSED_PAD src0_sel:WORD_1
	v_cvt_f32_f16_e32 v2, v5
	v_fma_f32 v17, -v4, v11, v1
	v_fmac_f32_e32 v11, v17, v16
	v_fma_f32 v1, -v4, v11, v1
	v_pk_fma_f32 v[4:5], v[6:7], v[14:15], 0 op_sel_hi:[0,1,0]
	v_pk_fma_f32 v[2:3], v[8:9], v[2:3], v[4:5] op_sel_hi:[0,1,1]
	v_div_scale_f32 v4, s[74:75], v7, v7, v3
	v_rcp_f32_e32 v5, v4
	v_div_fmas_f32 v1, v1, v16, v11
	v_div_fixup_f32 v8, v1, v7, v10
	global_store_dwordx2 v[12:13], v[8:9], off
	v_fma_f32 v1, -v4, v5, 1.0
	v_fmac_f32_e32 v5, v1, v5
	v_div_scale_f32 v1, vcc, v3, v7, v3
	v_mul_f32_e32 v6, v1, v5
	v_fma_f32 v8, -v4, v6, v1
	v_fmac_f32_e32 v6, v8, v5
	v_fma_f32 v1, -v4, v6, v1
	v_div_scale_f32 v4, s[74:75], v7, v7, v2
	v_rcp_f32_e32 v8, v4
	v_div_fmas_f32 v1, v1, v5, v6
	v_div_fixup_f32 v3, v1, v7, v3
	v_fma_f32 v1, -v4, v8, 1.0
	v_fmac_f32_e32 v8, v1, v8
	v_div_scale_f32 v1, vcc, v2, v7, v2
	v_mul_f32_e32 v5, v1, v8
	v_fma_f32 v6, -v4, v5, v1
	v_fmac_f32_e32 v5, v6, v8
	v_fma_f32 v1, -v4, v5, v1
	v_div_fmas_f32 v1, v1, v8, v5
	v_div_fixup_f32 v2, v1, v7, v2
	global_store_dwordx2 v[12:13], v[2:3], off offset:512
	v_mov_b32_e32 v2, 0
.LBB32_348:                             ;   in Loop: Header=BB32_12 Depth=1
	s_or_b64 exec, exec, s[14:15]
	v_cmp_gt_i32_e32 vcc, s97, v2
	s_mov_b64 s[14:15], -1
	s_and_saveexec_b64 s[74:75], vcc
; %bb.349:                              ;   in Loop: Header=BB32_12 Depth=1
	v_cmp_eq_u32_e32 vcc, 0, v2
	s_orn2_b64 s[14:15], vcc, exec
; %bb.350:                              ;   in Loop: Header=BB32_12 Depth=1
	s_or_b64 exec, exec, s[74:75]
	s_and_b64 exec, exec, s[14:15]
	s_cbranch_execz .LBB32_10
; %bb.351:                              ;   in Loop: Header=BB32_12 Depth=1
	v_accvgpr_read_b32 v1, a61
	v_accvgpr_read_b32 v2, a62
	v_add_u32_e32 v1, v1, v117
	v_or_b32_e32 v2, v2, v47
	v_cmp_gt_i32_e32 vcc, s36, v1
	v_cmp_gt_i32_e64 s[14:15], s76, v2
	s_and_b64 s[74:75], vcc, s[14:15]
	v_mov_b32_e32 v2, 0x47
	s_and_saveexec_b64 s[14:15], s[74:75]
	s_cbranch_execz .LBB32_353
; %bb.352:                              ;   in Loop: Header=BB32_12 Depth=1
	v_accvgpr_read_b32 v4, a39
	ds_read2st64_b32 v[2:3], v4 offset1:1
	ds_read2st64_b32 v[4:5], v4 offset0:33 offset1:34
	v_accvgpr_read_b32 v8, a23
	ds_read2_b32 v[6:7], v8 offset0:128 offset1:129
	ds_read_b32 v8, v8 offset:8960
	s_waitcnt lgkmcnt(3)
	v_cvt_f32_f16_sdwa v11, v2 dst_sel:DWORD dst_unused:UNUSED_PAD src0_sel:WORD_1
	v_cvt_f32_f16_e32 v10, v2
	s_waitcnt lgkmcnt(2)
	v_cvt_f32_f16_sdwa v13, v4 dst_sel:DWORD dst_unused:UNUSED_PAD src0_sel:WORD_1
	v_cvt_f32_f16_e32 v12, v4
	v_accvgpr_read_b32 v2, a62
	s_waitcnt lgkmcnt(1)
	v_pk_fma_f32 v[10:11], v[6:7], v[10:11], 0 op_sel_hi:[0,1,0]
	v_mad_u64_u32 v[14:15], s[74:75], v1, s37, v[2:3]
	s_waitcnt lgkmcnt(0)
	v_pk_fma_f32 v[10:11], v[8:9], v[12:13], v[10:11] op_sel_hi:[0,1,1]
	v_div_scale_f32 v1, s[74:75], v7, v7, v11
	v_rcp_f32_e32 v2, v1
	v_lshl_add_u32 v12, v14, 7, v44
	v_cvt_f32_f16_sdwa v15, v3 dst_sel:DWORD dst_unused:UNUSED_PAD src0_sel:WORD_1
	v_ashrrev_i32_e32 v13, 31, v12
	v_fma_f32 v4, -v1, v2, 1.0
	v_fmac_f32_e32 v2, v4, v2
	v_div_scale_f32 v4, vcc, v11, v7, v11
	v_mul_f32_e32 v9, v4, v2
	v_fma_f32 v14, -v1, v9, v4
	v_fmac_f32_e32 v9, v14, v2
	v_fma_f32 v1, -v1, v9, v4
	v_div_scale_f32 v4, s[74:75], v7, v7, v10
	v_rcp_f32_e32 v16, v4
	v_div_fmas_f32 v1, v1, v2, v9
	v_div_fixup_f32 v9, v1, v7, v11
	v_cvt_f32_f16_e32 v14, v3
	v_fma_f32 v1, -v4, v16, 1.0
	v_fmac_f32_e32 v16, v1, v16
	v_div_scale_f32 v1, vcc, v10, v7, v10
	v_mul_f32_e32 v11, v1, v16
	v_cvt_f32_f16_sdwa v3, v5 dst_sel:DWORD dst_unused:UNUSED_PAD src0_sel:WORD_1
	v_cvt_f32_f16_e32 v2, v5
	v_fma_f32 v17, -v4, v11, v1
	v_fmac_f32_e32 v11, v17, v16
	v_fma_f32 v1, -v4, v11, v1
	v_pk_fma_f32 v[4:5], v[6:7], v[14:15], 0 op_sel_hi:[0,1,0]
	v_pk_fma_f32 v[2:3], v[8:9], v[2:3], v[4:5] op_sel_hi:[0,1,1]
	v_div_scale_f32 v4, s[74:75], v7, v7, v3
	v_rcp_f32_e32 v5, v4
	v_div_fmas_f32 v1, v1, v16, v11
	v_div_fixup_f32 v8, v1, v7, v10
	v_lshl_add_u64 v[12:13], v[12:13], 3, v[160:161]
	v_fma_f32 v1, -v4, v5, 1.0
	v_fmac_f32_e32 v5, v1, v5
	v_div_scale_f32 v1, vcc, v3, v7, v3
	v_mul_f32_e32 v6, v1, v5
	global_store_dwordx2 v[12:13], v[8:9], off
	v_fma_f32 v8, -v4, v6, v1
	v_fmac_f32_e32 v6, v8, v5
	v_fma_f32 v1, -v4, v6, v1
	v_div_scale_f32 v4, s[74:75], v7, v7, v2
	v_rcp_f32_e32 v8, v4
	v_div_fmas_f32 v1, v1, v5, v6
	v_div_fixup_f32 v3, v1, v7, v3
	v_fma_f32 v1, -v4, v8, 1.0
	v_fmac_f32_e32 v8, v1, v8
	v_div_scale_f32 v1, vcc, v2, v7, v2
	v_mul_f32_e32 v5, v1, v8
	v_fma_f32 v6, -v4, v5, v1
	v_fmac_f32_e32 v5, v6, v8
	v_fma_f32 v1, -v4, v5, v1
	v_div_fmas_f32 v1, v1, v8, v5
	v_div_fixup_f32 v2, v1, v7, v2
	global_store_dwordx2 v[12:13], v[2:3], off offset:512
	v_mov_b32_e32 v2, 0
.LBB32_353:                             ;   in Loop: Header=BB32_12 Depth=1
	s_or_b64 exec, exec, s[14:15]
	v_cmp_gt_i32_e32 vcc, s97, v2
	s_mov_b64 s[14:15], -1
	s_and_saveexec_b64 s[74:75], vcc
; %bb.354:                              ;   in Loop: Header=BB32_12 Depth=1
	v_cmp_eq_u32_e32 vcc, 0, v2
	s_orn2_b64 s[14:15], vcc, exec
; %bb.355:                              ;   in Loop: Header=BB32_12 Depth=1
	s_or_b64 exec, exec, s[74:75]
	s_and_b64 exec, exec, s[14:15]
	s_cbranch_execz .LBB32_10
; %bb.356:                              ;   in Loop: Header=BB32_12 Depth=1
	v_accvgpr_read_b32 v1, a63
	v_accvgpr_read_b32 v2, a64
	v_add_u32_e32 v1, v1, v117
	v_or_b32_e32 v2, v2, v47
	v_cmp_gt_i32_e32 vcc, s36, v1
	v_cmp_gt_i32_e64 s[14:15], s76, v2
	s_and_b64 s[74:75], vcc, s[14:15]
	v_mov_b32_e32 v2, 0x47
	s_and_saveexec_b64 s[14:15], s[74:75]
	s_cbranch_execz .LBB32_358
; %bb.357:                              ;   in Loop: Header=BB32_12 Depth=1
	v_accvgpr_read_b32 v4, a40
	ds_read2st64_b32 v[2:3], v4 offset1:1
	ds_read2st64_b32 v[4:5], v4 offset0:33 offset1:34
	v_accvgpr_read_b32 v8, a24
	ds_read2_b32 v[6:7], v8 offset0:128 offset1:129
	ds_read_b32 v8, v8 offset:8960
	s_waitcnt lgkmcnt(3)
	v_cvt_f32_f16_sdwa v11, v2 dst_sel:DWORD dst_unused:UNUSED_PAD src0_sel:WORD_1
	v_cvt_f32_f16_e32 v10, v2
	s_waitcnt lgkmcnt(2)
	v_cvt_f32_f16_sdwa v13, v4 dst_sel:DWORD dst_unused:UNUSED_PAD src0_sel:WORD_1
	v_cvt_f32_f16_e32 v12, v4
	v_accvgpr_read_b32 v2, a64
	s_waitcnt lgkmcnt(1)
	v_pk_fma_f32 v[10:11], v[6:7], v[10:11], 0 op_sel_hi:[0,1,0]
	v_mad_u64_u32 v[14:15], s[74:75], v1, s37, v[2:3]
	s_waitcnt lgkmcnt(0)
	v_pk_fma_f32 v[10:11], v[8:9], v[12:13], v[10:11] op_sel_hi:[0,1,1]
	v_div_scale_f32 v1, s[74:75], v7, v7, v11
	v_rcp_f32_e32 v2, v1
	v_lshl_add_u32 v12, v14, 7, v44
	v_cvt_f32_f16_sdwa v15, v3 dst_sel:DWORD dst_unused:UNUSED_PAD src0_sel:WORD_1
	v_ashrrev_i32_e32 v13, 31, v12
	v_fma_f32 v4, -v1, v2, 1.0
	v_fmac_f32_e32 v2, v4, v2
	v_div_scale_f32 v4, vcc, v11, v7, v11
	v_mul_f32_e32 v9, v4, v2
	v_fma_f32 v14, -v1, v9, v4
	v_fmac_f32_e32 v9, v14, v2
	v_fma_f32 v1, -v1, v9, v4
	v_div_scale_f32 v4, s[74:75], v7, v7, v10
	v_rcp_f32_e32 v16, v4
	v_div_fmas_f32 v1, v1, v2, v9
	v_div_fixup_f32 v9, v1, v7, v11
	v_cvt_f32_f16_e32 v14, v3
	v_fma_f32 v1, -v4, v16, 1.0
	v_fmac_f32_e32 v16, v1, v16
	v_div_scale_f32 v1, vcc, v10, v7, v10
	v_mul_f32_e32 v11, v1, v16
	v_cvt_f32_f16_sdwa v3, v5 dst_sel:DWORD dst_unused:UNUSED_PAD src0_sel:WORD_1
	v_cvt_f32_f16_e32 v2, v5
	v_fma_f32 v17, -v4, v11, v1
	v_fmac_f32_e32 v11, v17, v16
	v_fma_f32 v1, -v4, v11, v1
	v_pk_fma_f32 v[4:5], v[6:7], v[14:15], 0 op_sel_hi:[0,1,0]
	v_pk_fma_f32 v[2:3], v[8:9], v[2:3], v[4:5] op_sel_hi:[0,1,1]
	v_div_scale_f32 v4, s[74:75], v7, v7, v3
	v_rcp_f32_e32 v5, v4
	v_div_fmas_f32 v1, v1, v16, v11
	v_div_fixup_f32 v8, v1, v7, v10
	v_lshl_add_u64 v[12:13], v[12:13], 3, v[160:161]
	v_fma_f32 v1, -v4, v5, 1.0
	v_fmac_f32_e32 v5, v1, v5
	v_div_scale_f32 v1, vcc, v3, v7, v3
	v_mul_f32_e32 v6, v1, v5
	global_store_dwordx2 v[12:13], v[8:9], off
	v_fma_f32 v8, -v4, v6, v1
	v_fmac_f32_e32 v6, v8, v5
	v_fma_f32 v1, -v4, v6, v1
	v_div_scale_f32 v4, s[74:75], v7, v7, v2
	v_rcp_f32_e32 v8, v4
	v_div_fmas_f32 v1, v1, v5, v6
	v_div_fixup_f32 v3, v1, v7, v3
	v_fma_f32 v1, -v4, v8, 1.0
	v_fmac_f32_e32 v8, v1, v8
	v_div_scale_f32 v1, vcc, v2, v7, v2
	v_mul_f32_e32 v5, v1, v8
	v_fma_f32 v6, -v4, v5, v1
	v_fmac_f32_e32 v5, v6, v8
	v_fma_f32 v1, -v4, v5, v1
	v_div_fmas_f32 v1, v1, v8, v5
	v_div_fixup_f32 v2, v1, v7, v2
	global_store_dwordx2 v[12:13], v[2:3], off offset:512
	v_mov_b32_e32 v2, 0
.LBB32_358:                             ;   in Loop: Header=BB32_12 Depth=1
	s_or_b64 exec, exec, s[14:15]
	v_cmp_gt_i32_e32 vcc, s97, v2
	s_mov_b64 s[14:15], -1
	s_and_saveexec_b64 s[74:75], vcc
; %bb.359:                              ;   in Loop: Header=BB32_12 Depth=1
	v_cmp_eq_u32_e32 vcc, 0, v2
	s_orn2_b64 s[14:15], vcc, exec
; %bb.360:                              ;   in Loop: Header=BB32_12 Depth=1
	s_or_b64 exec, exec, s[74:75]
	s_and_b64 exec, exec, s[14:15]
	s_cbranch_execz .LBB32_10
; %bb.361:                              ;   in Loop: Header=BB32_12 Depth=1
	v_accvgpr_read_b32 v1, a65
	v_accvgpr_read_b32 v2, a66
	v_add_u32_e32 v1, v1, v117
	v_or_b32_e32 v2, v2, v47
	v_cmp_gt_i32_e32 vcc, s36, v1
	v_cmp_gt_i32_e64 s[14:15], s76, v2
	s_and_b64 s[74:75], vcc, s[14:15]
	v_mov_b32_e32 v2, 0x47
	s_and_saveexec_b64 s[14:15], s[74:75]
	s_cbranch_execz .LBB32_363
; %bb.362:                              ;   in Loop: Header=BB32_12 Depth=1
	v_accvgpr_read_b32 v4, a41
	ds_read2st64_b32 v[2:3], v4 offset1:1
	ds_read2st64_b32 v[4:5], v4 offset0:33 offset1:34
	v_accvgpr_read_b32 v8, a25
	ds_read2_b32 v[6:7], v8 offset0:128 offset1:129
	ds_read_b32 v8, v8 offset:8960
	s_waitcnt lgkmcnt(3)
	v_cvt_f32_f16_sdwa v11, v2 dst_sel:DWORD dst_unused:UNUSED_PAD src0_sel:WORD_1
	v_cvt_f32_f16_e32 v10, v2
	s_waitcnt lgkmcnt(2)
	v_cvt_f32_f16_sdwa v13, v4 dst_sel:DWORD dst_unused:UNUSED_PAD src0_sel:WORD_1
	v_cvt_f32_f16_e32 v12, v4
	v_accvgpr_read_b32 v2, a66
	s_waitcnt lgkmcnt(1)
	v_pk_fma_f32 v[10:11], v[6:7], v[10:11], 0 op_sel_hi:[0,1,0]
	v_mad_u64_u32 v[14:15], s[74:75], v1, s37, v[2:3]
	s_waitcnt lgkmcnt(0)
	v_pk_fma_f32 v[10:11], v[8:9], v[12:13], v[10:11] op_sel_hi:[0,1,1]
	v_div_scale_f32 v1, s[74:75], v7, v7, v11
	v_rcp_f32_e32 v2, v1
	v_lshl_add_u32 v12, v14, 7, v44
	v_cvt_f32_f16_sdwa v15, v3 dst_sel:DWORD dst_unused:UNUSED_PAD src0_sel:WORD_1
	v_ashrrev_i32_e32 v13, 31, v12
	v_fma_f32 v4, -v1, v2, 1.0
	v_fmac_f32_e32 v2, v4, v2
	v_div_scale_f32 v4, vcc, v11, v7, v11
	v_mul_f32_e32 v9, v4, v2
	v_fma_f32 v14, -v1, v9, v4
	v_fmac_f32_e32 v9, v14, v2
	v_fma_f32 v1, -v1, v9, v4
	v_div_scale_f32 v4, s[74:75], v7, v7, v10
	v_rcp_f32_e32 v16, v4
	v_div_fmas_f32 v1, v1, v2, v9
	v_div_fixup_f32 v9, v1, v7, v11
	v_cvt_f32_f16_e32 v14, v3
	v_fma_f32 v1, -v4, v16, 1.0
	v_fmac_f32_e32 v16, v1, v16
	v_div_scale_f32 v1, vcc, v10, v7, v10
	v_mul_f32_e32 v11, v1, v16
	v_cvt_f32_f16_sdwa v3, v5 dst_sel:DWORD dst_unused:UNUSED_PAD src0_sel:WORD_1
	v_cvt_f32_f16_e32 v2, v5
	v_fma_f32 v17, -v4, v11, v1
	v_fmac_f32_e32 v11, v17, v16
	v_fma_f32 v1, -v4, v11, v1
	v_pk_fma_f32 v[4:5], v[6:7], v[14:15], 0 op_sel_hi:[0,1,0]
	v_pk_fma_f32 v[2:3], v[8:9], v[2:3], v[4:5] op_sel_hi:[0,1,1]
	v_div_scale_f32 v4, s[74:75], v7, v7, v3
	v_rcp_f32_e32 v5, v4
	v_div_fmas_f32 v1, v1, v16, v11
	v_div_fixup_f32 v8, v1, v7, v10
	v_lshl_add_u64 v[12:13], v[12:13], 3, v[160:161]
	v_fma_f32 v1, -v4, v5, 1.0
	v_fmac_f32_e32 v5, v1, v5
	v_div_scale_f32 v1, vcc, v3, v7, v3
	v_mul_f32_e32 v6, v1, v5
	global_store_dwordx2 v[12:13], v[8:9], off
	v_fma_f32 v8, -v4, v6, v1
	v_fmac_f32_e32 v6, v8, v5
	v_fma_f32 v1, -v4, v6, v1
	v_div_scale_f32 v4, s[74:75], v7, v7, v2
	v_rcp_f32_e32 v8, v4
	v_div_fmas_f32 v1, v1, v5, v6
	v_div_fixup_f32 v3, v1, v7, v3
	v_fma_f32 v1, -v4, v8, 1.0
	v_fmac_f32_e32 v8, v1, v8
	v_div_scale_f32 v1, vcc, v2, v7, v2
	v_mul_f32_e32 v5, v1, v8
	v_fma_f32 v6, -v4, v5, v1
	v_fmac_f32_e32 v5, v6, v8
	v_fma_f32 v1, -v4, v5, v1
	v_div_fmas_f32 v1, v1, v8, v5
	v_div_fixup_f32 v2, v1, v7, v2
	global_store_dwordx2 v[12:13], v[2:3], off offset:512
	v_mov_b32_e32 v2, 0
.LBB32_363:                             ;   in Loop: Header=BB32_12 Depth=1
	s_or_b64 exec, exec, s[14:15]
	v_cmp_gt_i32_e32 vcc, s97, v2
	s_mov_b64 s[14:15], -1
	s_and_saveexec_b64 s[74:75], vcc
; %bb.364:                              ;   in Loop: Header=BB32_12 Depth=1
	v_cmp_eq_u32_e32 vcc, 0, v2
	s_orn2_b64 s[14:15], vcc, exec
; %bb.365:                              ;   in Loop: Header=BB32_12 Depth=1
	s_or_b64 exec, exec, s[74:75]
	s_and_b64 exec, exec, s[14:15]
	s_cbranch_execz .LBB32_10
; %bb.366:                              ;   in Loop: Header=BB32_12 Depth=1
	v_accvgpr_read_b32 v1, a26
	v_add_u32_e32 v1, v1, v117
	v_cmp_gt_i32_e32 vcc, s36, v1
	s_and_b64 s[74:75], vcc, s[10:11]
	v_mov_b32_e32 v2, 0x47
	s_and_saveexec_b64 s[14:15], s[74:75]
	s_cbranch_execz .LBB32_368
; %bb.367:                              ;   in Loop: Header=BB32_12 Depth=1
	v_accvgpr_read_b32 v4, a42
	ds_read2st64_b32 v[2:3], v4 offset1:1
	ds_read2st64_b32 v[4:5], v4 offset0:33 offset1:34
	v_accvgpr_read_b32 v8, a27
	ds_read2_b32 v[6:7], v8 offset0:128 offset1:129
	ds_read_b32 v8, v8 offset:8960
	v_mad_u64_u32 v[14:15], s[74:75], v1, s37, v[114:115]
	s_waitcnt lgkmcnt(3)
	v_cvt_f32_f16_sdwa v11, v2 dst_sel:DWORD dst_unused:UNUSED_PAD src0_sel:WORD_1
	v_cvt_f32_f16_e32 v10, v2
	s_waitcnt lgkmcnt(2)
	v_cvt_f32_f16_sdwa v13, v4 dst_sel:DWORD dst_unused:UNUSED_PAD src0_sel:WORD_1
	v_cvt_f32_f16_e32 v12, v4
	v_cvt_f32_f16_sdwa v15, v3 dst_sel:DWORD dst_unused:UNUSED_PAD src0_sel:WORD_1
	s_waitcnt lgkmcnt(1)
	v_pk_fma_f32 v[10:11], v[6:7], v[10:11], 0 op_sel_hi:[0,1,0]
	s_waitcnt lgkmcnt(0)
	v_pk_fma_f32 v[10:11], v[8:9], v[12:13], v[10:11] op_sel_hi:[0,1,1]
	v_div_scale_f32 v1, s[74:75], v7, v7, v11
	v_rcp_f32_e32 v2, v1
	v_lshl_add_u32 v12, v14, 7, v44
	v_ashrrev_i32_e32 v13, 31, v12
	v_lshl_add_u64 v[12:13], v[12:13], 3, v[160:161]
	v_fma_f32 v4, -v1, v2, 1.0
	v_fmac_f32_e32 v2, v4, v2
	v_div_scale_f32 v4, vcc, v11, v7, v11
	v_mul_f32_e32 v9, v4, v2
	v_fma_f32 v14, -v1, v9, v4
	v_fmac_f32_e32 v9, v14, v2
	v_fma_f32 v1, -v1, v9, v4
	v_div_scale_f32 v4, s[74:75], v7, v7, v10
	v_rcp_f32_e32 v16, v4
	v_div_fmas_f32 v1, v1, v2, v9
	v_div_fixup_f32 v9, v1, v7, v11
	v_cvt_f32_f16_e32 v14, v3
	v_fma_f32 v1, -v4, v16, 1.0
	v_fmac_f32_e32 v16, v1, v16
	v_div_scale_f32 v1, vcc, v10, v7, v10
	v_mul_f32_e32 v11, v1, v16
	v_cvt_f32_f16_sdwa v3, v5 dst_sel:DWORD dst_unused:UNUSED_PAD src0_sel:WORD_1
	v_cvt_f32_f16_e32 v2, v5
	v_fma_f32 v17, -v4, v11, v1
	v_fmac_f32_e32 v11, v17, v16
	v_fma_f32 v1, -v4, v11, v1
	v_pk_fma_f32 v[4:5], v[6:7], v[14:15], 0 op_sel_hi:[0,1,0]
	v_pk_fma_f32 v[2:3], v[8:9], v[2:3], v[4:5] op_sel_hi:[0,1,1]
	v_div_scale_f32 v4, s[74:75], v7, v7, v3
	v_rcp_f32_e32 v5, v4
	v_div_fmas_f32 v1, v1, v16, v11
	v_div_fixup_f32 v8, v1, v7, v10
	global_store_dwordx2 v[12:13], v[8:9], off
	v_fma_f32 v1, -v4, v5, 1.0
	v_fmac_f32_e32 v5, v1, v5
	v_div_scale_f32 v1, vcc, v3, v7, v3
	v_mul_f32_e32 v6, v1, v5
	v_fma_f32 v8, -v4, v6, v1
	v_fmac_f32_e32 v6, v8, v5
	v_fma_f32 v1, -v4, v6, v1
	v_div_scale_f32 v4, s[74:75], v7, v7, v2
	v_rcp_f32_e32 v8, v4
	v_div_fmas_f32 v1, v1, v5, v6
	v_div_fixup_f32 v3, v1, v7, v3
	v_fma_f32 v1, -v4, v8, 1.0
	v_fmac_f32_e32 v8, v1, v8
	v_div_scale_f32 v1, vcc, v2, v7, v2
	v_mul_f32_e32 v5, v1, v8
	v_fma_f32 v6, -v4, v5, v1
	v_fmac_f32_e32 v5, v6, v8
	v_fma_f32 v1, -v4, v5, v1
	v_div_fmas_f32 v1, v1, v8, v5
	v_div_fixup_f32 v2, v1, v7, v2
	global_store_dwordx2 v[12:13], v[2:3], off offset:512
	v_mov_b32_e32 v2, 0
.LBB32_368:                             ;   in Loop: Header=BB32_12 Depth=1
	s_or_b64 exec, exec, s[14:15]
	v_cmp_gt_i32_e32 vcc, s97, v2
	s_mov_b64 s[14:15], -1
	s_and_saveexec_b64 s[74:75], vcc
; %bb.369:                              ;   in Loop: Header=BB32_12 Depth=1
	v_cmp_eq_u32_e32 vcc, 0, v2
	s_orn2_b64 s[14:15], vcc, exec
; %bb.370:                              ;   in Loop: Header=BB32_12 Depth=1
	s_or_b64 exec, exec, s[74:75]
	s_and_b64 exec, exec, s[14:15]
	s_cbranch_execz .LBB32_10
; %bb.371:                              ;   in Loop: Header=BB32_12 Depth=1
	v_accvgpr_read_b32 v1, a67
	v_accvgpr_read_b32 v2, a68
	v_add_u32_e32 v1, v1, v117
	v_or_b32_e32 v2, v2, v47
	v_cmp_gt_i32_e32 vcc, s36, v1
	v_cmp_gt_i32_e64 s[14:15], s76, v2
	s_and_b64 s[74:75], vcc, s[14:15]
	v_mov_b32_e32 v2, 0x47
	s_and_saveexec_b64 s[14:15], s[74:75]
	s_cbranch_execz .LBB32_373
; %bb.372:                              ;   in Loop: Header=BB32_12 Depth=1
	v_accvgpr_read_b32 v4, a43
	ds_read2st64_b32 v[2:3], v4 offset1:1
	ds_read2st64_b32 v[4:5], v4 offset0:33 offset1:34
	v_accvgpr_read_b32 v8, a28
	ds_read2_b32 v[6:7], v8 offset0:128 offset1:129
	ds_read_b32 v8, v8 offset:8960
	s_waitcnt lgkmcnt(3)
	v_cvt_f32_f16_sdwa v11, v2 dst_sel:DWORD dst_unused:UNUSED_PAD src0_sel:WORD_1
	v_cvt_f32_f16_e32 v10, v2
	s_waitcnt lgkmcnt(2)
	v_cvt_f32_f16_sdwa v13, v4 dst_sel:DWORD dst_unused:UNUSED_PAD src0_sel:WORD_1
	v_cvt_f32_f16_e32 v12, v4
	v_accvgpr_read_b32 v2, a68
	s_waitcnt lgkmcnt(1)
	v_pk_fma_f32 v[10:11], v[6:7], v[10:11], 0 op_sel_hi:[0,1,0]
	v_mad_u64_u32 v[14:15], s[74:75], v1, s37, v[2:3]
	s_waitcnt lgkmcnt(0)
	v_pk_fma_f32 v[10:11], v[8:9], v[12:13], v[10:11] op_sel_hi:[0,1,1]
	v_div_scale_f32 v1, s[74:75], v7, v7, v11
	v_rcp_f32_e32 v2, v1
	v_lshl_add_u32 v12, v14, 7, v44
	v_cvt_f32_f16_sdwa v15, v3 dst_sel:DWORD dst_unused:UNUSED_PAD src0_sel:WORD_1
	v_ashrrev_i32_e32 v13, 31, v12
	v_fma_f32 v4, -v1, v2, 1.0
	v_fmac_f32_e32 v2, v4, v2
	v_div_scale_f32 v4, vcc, v11, v7, v11
	v_mul_f32_e32 v9, v4, v2
	v_fma_f32 v14, -v1, v9, v4
	v_fmac_f32_e32 v9, v14, v2
	v_fma_f32 v1, -v1, v9, v4
	v_div_scale_f32 v4, s[74:75], v7, v7, v10
	v_rcp_f32_e32 v16, v4
	v_div_fmas_f32 v1, v1, v2, v9
	v_div_fixup_f32 v9, v1, v7, v11
	v_cvt_f32_f16_e32 v14, v3
	v_fma_f32 v1, -v4, v16, 1.0
	v_fmac_f32_e32 v16, v1, v16
	v_div_scale_f32 v1, vcc, v10, v7, v10
	v_mul_f32_e32 v11, v1, v16
	v_cvt_f32_f16_sdwa v3, v5 dst_sel:DWORD dst_unused:UNUSED_PAD src0_sel:WORD_1
	v_cvt_f32_f16_e32 v2, v5
	v_fma_f32 v17, -v4, v11, v1
	v_fmac_f32_e32 v11, v17, v16
	v_fma_f32 v1, -v4, v11, v1
	v_pk_fma_f32 v[4:5], v[6:7], v[14:15], 0 op_sel_hi:[0,1,0]
	v_pk_fma_f32 v[2:3], v[8:9], v[2:3], v[4:5] op_sel_hi:[0,1,1]
	v_div_scale_f32 v4, s[74:75], v7, v7, v3
	v_rcp_f32_e32 v5, v4
	v_div_fmas_f32 v1, v1, v16, v11
	v_div_fixup_f32 v8, v1, v7, v10
	v_lshl_add_u64 v[12:13], v[12:13], 3, v[160:161]
	v_fma_f32 v1, -v4, v5, 1.0
	v_fmac_f32_e32 v5, v1, v5
	v_div_scale_f32 v1, vcc, v3, v7, v3
	v_mul_f32_e32 v6, v1, v5
	global_store_dwordx2 v[12:13], v[8:9], off
	v_fma_f32 v8, -v4, v6, v1
	v_fmac_f32_e32 v6, v8, v5
	v_fma_f32 v1, -v4, v6, v1
	v_div_scale_f32 v4, s[74:75], v7, v7, v2
	v_rcp_f32_e32 v8, v4
	v_div_fmas_f32 v1, v1, v5, v6
	v_div_fixup_f32 v3, v1, v7, v3
	v_fma_f32 v1, -v4, v8, 1.0
	v_fmac_f32_e32 v8, v1, v8
	v_div_scale_f32 v1, vcc, v2, v7, v2
	v_mul_f32_e32 v5, v1, v8
	v_fma_f32 v6, -v4, v5, v1
	v_fmac_f32_e32 v5, v6, v8
	v_fma_f32 v1, -v4, v5, v1
	v_div_fmas_f32 v1, v1, v8, v5
	v_div_fixup_f32 v2, v1, v7, v2
	global_store_dwordx2 v[12:13], v[2:3], off offset:512
	v_mov_b32_e32 v2, 0
.LBB32_373:                             ;   in Loop: Header=BB32_12 Depth=1
	s_or_b64 exec, exec, s[14:15]
	v_cmp_gt_i32_e32 vcc, s97, v2
	s_mov_b64 s[14:15], -1
	s_and_saveexec_b64 s[74:75], vcc
; %bb.374:                              ;   in Loop: Header=BB32_12 Depth=1
	v_cmp_eq_u32_e32 vcc, 0, v2
	s_orn2_b64 s[14:15], vcc, exec
; %bb.375:                              ;   in Loop: Header=BB32_12 Depth=1
	s_or_b64 exec, exec, s[74:75]
	s_and_b64 exec, exec, s[14:15]
	s_cbranch_execz .LBB32_10
; %bb.376:                              ;   in Loop: Header=BB32_12 Depth=1
	v_accvgpr_read_b32 v1, a69
	v_accvgpr_read_b32 v2, a70
	v_add_u32_e32 v1, v1, v117
	v_or_b32_e32 v2, v2, v47
	v_cmp_gt_i32_e32 vcc, s36, v1
	v_cmp_gt_i32_e64 s[14:15], s76, v2
	s_and_b64 s[74:75], vcc, s[14:15]
	v_mov_b32_e32 v2, 0x47
	s_and_saveexec_b64 s[14:15], s[74:75]
	s_cbranch_execz .LBB32_378
; %bb.377:                              ;   in Loop: Header=BB32_12 Depth=1
	v_accvgpr_read_b32 v4, a44
	ds_read2st64_b32 v[2:3], v4 offset1:1
	ds_read2st64_b32 v[4:5], v4 offset0:33 offset1:34
	v_accvgpr_read_b32 v8, a29
	ds_read2_b32 v[6:7], v8 offset0:128 offset1:129
	ds_read_b32 v8, v8 offset:8960
	s_waitcnt lgkmcnt(3)
	v_cvt_f32_f16_sdwa v11, v2 dst_sel:DWORD dst_unused:UNUSED_PAD src0_sel:WORD_1
	v_cvt_f32_f16_e32 v10, v2
	s_waitcnt lgkmcnt(2)
	v_cvt_f32_f16_sdwa v13, v4 dst_sel:DWORD dst_unused:UNUSED_PAD src0_sel:WORD_1
	v_cvt_f32_f16_e32 v12, v4
	v_accvgpr_read_b32 v2, a70
	s_waitcnt lgkmcnt(1)
	v_pk_fma_f32 v[10:11], v[6:7], v[10:11], 0 op_sel_hi:[0,1,0]
	v_mad_u64_u32 v[14:15], s[74:75], v1, s37, v[2:3]
	s_waitcnt lgkmcnt(0)
	v_pk_fma_f32 v[10:11], v[8:9], v[12:13], v[10:11] op_sel_hi:[0,1,1]
	v_div_scale_f32 v1, s[74:75], v7, v7, v11
	v_rcp_f32_e32 v2, v1
	v_lshl_add_u32 v12, v14, 7, v44
	v_cvt_f32_f16_sdwa v15, v3 dst_sel:DWORD dst_unused:UNUSED_PAD src0_sel:WORD_1
	v_ashrrev_i32_e32 v13, 31, v12
	v_fma_f32 v4, -v1, v2, 1.0
	v_fmac_f32_e32 v2, v4, v2
	v_div_scale_f32 v4, vcc, v11, v7, v11
	v_mul_f32_e32 v9, v4, v2
	v_fma_f32 v14, -v1, v9, v4
	v_fmac_f32_e32 v9, v14, v2
	v_fma_f32 v1, -v1, v9, v4
	v_div_scale_f32 v4, s[74:75], v7, v7, v10
	v_rcp_f32_e32 v16, v4
	v_div_fmas_f32 v1, v1, v2, v9
	v_div_fixup_f32 v9, v1, v7, v11
	v_cvt_f32_f16_e32 v14, v3
	v_fma_f32 v1, -v4, v16, 1.0
	v_fmac_f32_e32 v16, v1, v16
	v_div_scale_f32 v1, vcc, v10, v7, v10
	v_mul_f32_e32 v11, v1, v16
	v_cvt_f32_f16_sdwa v3, v5 dst_sel:DWORD dst_unused:UNUSED_PAD src0_sel:WORD_1
	v_cvt_f32_f16_e32 v2, v5
	v_fma_f32 v17, -v4, v11, v1
	v_fmac_f32_e32 v11, v17, v16
	v_fma_f32 v1, -v4, v11, v1
	v_pk_fma_f32 v[4:5], v[6:7], v[14:15], 0 op_sel_hi:[0,1,0]
	v_pk_fma_f32 v[2:3], v[8:9], v[2:3], v[4:5] op_sel_hi:[0,1,1]
	v_div_scale_f32 v4, s[74:75], v7, v7, v3
	v_rcp_f32_e32 v5, v4
	v_div_fmas_f32 v1, v1, v16, v11
	v_div_fixup_f32 v8, v1, v7, v10
	v_lshl_add_u64 v[12:13], v[12:13], 3, v[160:161]
	v_fma_f32 v1, -v4, v5, 1.0
	v_fmac_f32_e32 v5, v1, v5
	v_div_scale_f32 v1, vcc, v3, v7, v3
	v_mul_f32_e32 v6, v1, v5
	global_store_dwordx2 v[12:13], v[8:9], off
	v_fma_f32 v8, -v4, v6, v1
	v_fmac_f32_e32 v6, v8, v5
	v_fma_f32 v1, -v4, v6, v1
	v_div_scale_f32 v4, s[74:75], v7, v7, v2
	v_rcp_f32_e32 v8, v4
	v_div_fmas_f32 v1, v1, v5, v6
	v_div_fixup_f32 v3, v1, v7, v3
	v_fma_f32 v1, -v4, v8, 1.0
	v_fmac_f32_e32 v8, v1, v8
	v_div_scale_f32 v1, vcc, v2, v7, v2
	v_mul_f32_e32 v5, v1, v8
	v_fma_f32 v6, -v4, v5, v1
	v_fmac_f32_e32 v5, v6, v8
	v_fma_f32 v1, -v4, v5, v1
	v_div_fmas_f32 v1, v1, v8, v5
	v_div_fixup_f32 v2, v1, v7, v2
	global_store_dwordx2 v[12:13], v[2:3], off offset:512
	v_mov_b32_e32 v2, 0
.LBB32_378:                             ;   in Loop: Header=BB32_12 Depth=1
	s_or_b64 exec, exec, s[14:15]
	v_cmp_gt_i32_e32 vcc, s97, v2
	s_mov_b64 s[14:15], -1
	s_and_saveexec_b64 s[74:75], vcc
; %bb.379:                              ;   in Loop: Header=BB32_12 Depth=1
	v_cmp_eq_u32_e32 vcc, 0, v2
	s_orn2_b64 s[14:15], vcc, exec
; %bb.380:                              ;   in Loop: Header=BB32_12 Depth=1
	s_or_b64 exec, exec, s[74:75]
	s_and_b64 exec, exec, s[14:15]
	s_cbranch_execz .LBB32_10
; %bb.381:                              ;   in Loop: Header=BB32_12 Depth=1
	v_accvgpr_read_b32 v1, a71
	v_accvgpr_read_b32 v2, a72
	v_add_u32_e32 v1, v1, v117
	v_or_b32_e32 v2, v2, v47
	v_cmp_gt_i32_e32 vcc, s36, v1
	v_cmp_gt_i32_e64 s[14:15], s76, v2
	s_and_b64 s[74:75], vcc, s[14:15]
	v_mov_b32_e32 v2, 0x47
	s_and_saveexec_b64 s[14:15], s[74:75]
	s_cbranch_execz .LBB32_383
; %bb.382:                              ;   in Loop: Header=BB32_12 Depth=1
	v_accvgpr_read_b32 v4, a45
	ds_read2st64_b32 v[2:3], v4 offset1:1
	ds_read2st64_b32 v[4:5], v4 offset0:33 offset1:34
	v_accvgpr_read_b32 v8, a30
	ds_read2_b32 v[6:7], v8 offset0:128 offset1:129
	ds_read_b32 v8, v8 offset:8960
	s_waitcnt lgkmcnt(3)
	v_cvt_f32_f16_sdwa v11, v2 dst_sel:DWORD dst_unused:UNUSED_PAD src0_sel:WORD_1
	v_cvt_f32_f16_e32 v10, v2
	s_waitcnt lgkmcnt(2)
	v_cvt_f32_f16_sdwa v13, v4 dst_sel:DWORD dst_unused:UNUSED_PAD src0_sel:WORD_1
	v_cvt_f32_f16_e32 v12, v4
	v_accvgpr_read_b32 v2, a72
	s_waitcnt lgkmcnt(1)
	v_pk_fma_f32 v[10:11], v[6:7], v[10:11], 0 op_sel_hi:[0,1,0]
	v_mad_u64_u32 v[14:15], s[74:75], v1, s37, v[2:3]
	s_waitcnt lgkmcnt(0)
	v_pk_fma_f32 v[10:11], v[8:9], v[12:13], v[10:11] op_sel_hi:[0,1,1]
	v_div_scale_f32 v1, s[74:75], v7, v7, v11
	v_rcp_f32_e32 v2, v1
	v_lshl_add_u32 v12, v14, 7, v44
	v_cvt_f32_f16_sdwa v15, v3 dst_sel:DWORD dst_unused:UNUSED_PAD src0_sel:WORD_1
	v_ashrrev_i32_e32 v13, 31, v12
	v_fma_f32 v4, -v1, v2, 1.0
	v_fmac_f32_e32 v2, v4, v2
	v_div_scale_f32 v4, vcc, v11, v7, v11
	v_mul_f32_e32 v9, v4, v2
	v_fma_f32 v14, -v1, v9, v4
	v_fmac_f32_e32 v9, v14, v2
	v_fma_f32 v1, -v1, v9, v4
	v_div_scale_f32 v4, s[74:75], v7, v7, v10
	v_rcp_f32_e32 v16, v4
	v_div_fmas_f32 v1, v1, v2, v9
	v_div_fixup_f32 v9, v1, v7, v11
	v_cvt_f32_f16_e32 v14, v3
	v_fma_f32 v1, -v4, v16, 1.0
	v_fmac_f32_e32 v16, v1, v16
	v_div_scale_f32 v1, vcc, v10, v7, v10
	v_mul_f32_e32 v11, v1, v16
	v_cvt_f32_f16_sdwa v3, v5 dst_sel:DWORD dst_unused:UNUSED_PAD src0_sel:WORD_1
	v_cvt_f32_f16_e32 v2, v5
	v_fma_f32 v17, -v4, v11, v1
	v_fmac_f32_e32 v11, v17, v16
	v_fma_f32 v1, -v4, v11, v1
	v_pk_fma_f32 v[4:5], v[6:7], v[14:15], 0 op_sel_hi:[0,1,0]
	v_pk_fma_f32 v[2:3], v[8:9], v[2:3], v[4:5] op_sel_hi:[0,1,1]
	v_div_scale_f32 v4, s[74:75], v7, v7, v3
	v_rcp_f32_e32 v5, v4
	v_div_fmas_f32 v1, v1, v16, v11
	v_div_fixup_f32 v8, v1, v7, v10
	v_lshl_add_u64 v[12:13], v[12:13], 3, v[160:161]
	v_fma_f32 v1, -v4, v5, 1.0
	v_fmac_f32_e32 v5, v1, v5
	v_div_scale_f32 v1, vcc, v3, v7, v3
	v_mul_f32_e32 v6, v1, v5
	global_store_dwordx2 v[12:13], v[8:9], off
	v_fma_f32 v8, -v4, v6, v1
	v_fmac_f32_e32 v6, v8, v5
	v_fma_f32 v1, -v4, v6, v1
	v_div_scale_f32 v4, s[74:75], v7, v7, v2
	v_rcp_f32_e32 v8, v4
	v_div_fmas_f32 v1, v1, v5, v6
	v_div_fixup_f32 v3, v1, v7, v3
	v_fma_f32 v1, -v4, v8, 1.0
	v_fmac_f32_e32 v8, v1, v8
	v_div_scale_f32 v1, vcc, v2, v7, v2
	v_mul_f32_e32 v5, v1, v8
	v_fma_f32 v6, -v4, v5, v1
	v_fmac_f32_e32 v5, v6, v8
	v_fma_f32 v1, -v4, v5, v1
	v_div_fmas_f32 v1, v1, v8, v5
	v_div_fixup_f32 v2, v1, v7, v2
	global_store_dwordx2 v[12:13], v[2:3], off offset:512
	v_mov_b32_e32 v2, 0
.LBB32_383:                             ;   in Loop: Header=BB32_12 Depth=1
	s_or_b64 exec, exec, s[14:15]
	v_cmp_gt_i32_e32 vcc, s97, v2
	s_mov_b64 s[14:15], -1
	s_and_saveexec_b64 s[74:75], vcc
; %bb.384:                              ;   in Loop: Header=BB32_12 Depth=1
	v_cmp_eq_u32_e32 vcc, 0, v2
	s_orn2_b64 s[14:15], vcc, exec
; %bb.385:                              ;   in Loop: Header=BB32_12 Depth=1
	s_or_b64 exec, exec, s[74:75]
	s_and_b64 exec, exec, s[14:15]
	s_cbranch_execz .LBB32_10
; %bb.386:                              ;   in Loop: Header=BB32_12 Depth=1
	v_accvgpr_read_b32 v1, a31
	v_add_u32_e32 v1, v1, v117
	v_cmp_gt_i32_e32 vcc, s36, v1
	s_and_b64 s[14:15], vcc, s[10:11]
	v_mov_b32_e32 v2, 0x47
	s_and_saveexec_b64 s[10:11], s[14:15]
	s_cbranch_execz .LBB32_388
; %bb.387:                              ;   in Loop: Header=BB32_12 Depth=1
	v_accvgpr_read_b32 v4, a46
	ds_read2st64_b32 v[2:3], v4 offset1:1
	ds_read2st64_b32 v[4:5], v4 offset0:33 offset1:34
	v_accvgpr_read_b32 v8, a32
	ds_read2_b32 v[6:7], v8 offset0:128 offset1:129
	ds_read_b32 v8, v8 offset:8960
	v_mad_u64_u32 v[14:15], s[14:15], v1, s37, v[114:115]
	s_waitcnt lgkmcnt(3)
	v_cvt_f32_f16_sdwa v11, v2 dst_sel:DWORD dst_unused:UNUSED_PAD src0_sel:WORD_1
	v_cvt_f32_f16_e32 v10, v2
	s_waitcnt lgkmcnt(2)
	v_cvt_f32_f16_sdwa v13, v4 dst_sel:DWORD dst_unused:UNUSED_PAD src0_sel:WORD_1
	v_cvt_f32_f16_e32 v12, v4
	v_cvt_f32_f16_sdwa v15, v3 dst_sel:DWORD dst_unused:UNUSED_PAD src0_sel:WORD_1
	s_waitcnt lgkmcnt(1)
	v_pk_fma_f32 v[10:11], v[6:7], v[10:11], 0 op_sel_hi:[0,1,0]
	s_waitcnt lgkmcnt(0)
	v_pk_fma_f32 v[10:11], v[8:9], v[12:13], v[10:11] op_sel_hi:[0,1,1]
	v_div_scale_f32 v1, s[14:15], v7, v7, v11
	v_rcp_f32_e32 v2, v1
	v_lshl_add_u32 v12, v14, 7, v44
	v_ashrrev_i32_e32 v13, 31, v12
	v_lshl_add_u64 v[12:13], v[12:13], 3, v[160:161]
	v_fma_f32 v4, -v1, v2, 1.0
	v_fmac_f32_e32 v2, v4, v2
	v_div_scale_f32 v4, vcc, v11, v7, v11
	v_mul_f32_e32 v9, v4, v2
	v_fma_f32 v14, -v1, v9, v4
	v_fmac_f32_e32 v9, v14, v2
	v_fma_f32 v1, -v1, v9, v4
	v_div_scale_f32 v4, s[14:15], v7, v7, v10
	v_rcp_f32_e32 v16, v4
	v_div_fmas_f32 v1, v1, v2, v9
	v_div_fixup_f32 v9, v1, v7, v11
	v_cvt_f32_f16_e32 v14, v3
	v_fma_f32 v1, -v4, v16, 1.0
	v_fmac_f32_e32 v16, v1, v16
	v_div_scale_f32 v1, vcc, v10, v7, v10
	v_mul_f32_e32 v11, v1, v16
	v_cvt_f32_f16_sdwa v3, v5 dst_sel:DWORD dst_unused:UNUSED_PAD src0_sel:WORD_1
	v_cvt_f32_f16_e32 v2, v5
	v_fma_f32 v17, -v4, v11, v1
	v_fmac_f32_e32 v11, v17, v16
	v_fma_f32 v1, -v4, v11, v1
	v_pk_fma_f32 v[4:5], v[6:7], v[14:15], 0 op_sel_hi:[0,1,0]
	v_pk_fma_f32 v[2:3], v[8:9], v[2:3], v[4:5] op_sel_hi:[0,1,1]
	v_div_scale_f32 v4, s[14:15], v7, v7, v3
	v_rcp_f32_e32 v5, v4
	v_div_fmas_f32 v1, v1, v16, v11
	v_div_fixup_f32 v8, v1, v7, v10
	global_store_dwordx2 v[12:13], v[8:9], off
	v_fma_f32 v1, -v4, v5, 1.0
	v_fmac_f32_e32 v5, v1, v5
	v_div_scale_f32 v1, vcc, v3, v7, v3
	v_mul_f32_e32 v6, v1, v5
	v_fma_f32 v8, -v4, v6, v1
	v_fmac_f32_e32 v6, v8, v5
	v_fma_f32 v1, -v4, v6, v1
	v_div_scale_f32 v4, s[14:15], v7, v7, v2
	v_rcp_f32_e32 v8, v4
	v_div_fmas_f32 v1, v1, v5, v6
	v_div_fixup_f32 v3, v1, v7, v3
	v_fma_f32 v1, -v4, v8, 1.0
	v_fmac_f32_e32 v8, v1, v8
	v_div_scale_f32 v1, vcc, v2, v7, v2
	v_mul_f32_e32 v5, v1, v8
	v_fma_f32 v6, -v4, v5, v1
	v_fmac_f32_e32 v5, v6, v8
	v_fma_f32 v1, -v4, v5, v1
	v_div_fmas_f32 v1, v1, v8, v5
	v_div_fixup_f32 v2, v1, v7, v2
	global_store_dwordx2 v[12:13], v[2:3], off offset:512
	v_mov_b32_e32 v2, 0
.LBB32_388:                             ;   in Loop: Header=BB32_12 Depth=1
	s_or_b64 exec, exec, s[10:11]
	v_cmp_gt_i32_e32 vcc, s97, v2
	s_mov_b64 s[10:11], -1
	s_and_saveexec_b64 s[14:15], vcc
; %bb.389:                              ;   in Loop: Header=BB32_12 Depth=1
	v_cmp_eq_u32_e32 vcc, 0, v2
	s_orn2_b64 s[10:11], vcc, exec
; %bb.390:                              ;   in Loop: Header=BB32_12 Depth=1
	s_or_b64 exec, exec, s[14:15]
	s_and_b64 exec, exec, s[10:11]
	s_cbranch_execz .LBB32_10
; %bb.391:                              ;   in Loop: Header=BB32_12 Depth=1
	v_accvgpr_read_b32 v1, a73
	v_accvgpr_read_b32 v2, a74
	v_add_u32_e32 v1, v1, v117
	v_or_b32_e32 v2, v2, v47
	v_cmp_gt_i32_e32 vcc, s36, v1
	v_cmp_gt_i32_e64 s[10:11], s76, v2
	s_and_b64 s[14:15], vcc, s[10:11]
	v_mov_b32_e32 v2, 0x47
	s_and_saveexec_b64 s[10:11], s[14:15]
	s_cbranch_execz .LBB32_393
; %bb.392:                              ;   in Loop: Header=BB32_12 Depth=1
	v_accvgpr_read_b32 v4, a47
	ds_read2st64_b32 v[2:3], v4 offset1:1
	ds_read2st64_b32 v[4:5], v4 offset0:33 offset1:34
	v_accvgpr_read_b32 v8, a33
	ds_read2_b32 v[6:7], v8 offset0:128 offset1:129
	ds_read_b32 v8, v8 offset:8960
	s_waitcnt lgkmcnt(3)
	v_cvt_f32_f16_sdwa v11, v2 dst_sel:DWORD dst_unused:UNUSED_PAD src0_sel:WORD_1
	v_cvt_f32_f16_e32 v10, v2
	s_waitcnt lgkmcnt(2)
	v_cvt_f32_f16_sdwa v13, v4 dst_sel:DWORD dst_unused:UNUSED_PAD src0_sel:WORD_1
	v_cvt_f32_f16_e32 v12, v4
	v_accvgpr_read_b32 v2, a74
	s_waitcnt lgkmcnt(1)
	v_pk_fma_f32 v[10:11], v[6:7], v[10:11], 0 op_sel_hi:[0,1,0]
	v_mad_u64_u32 v[14:15], s[14:15], v1, s37, v[2:3]
	s_waitcnt lgkmcnt(0)
	v_pk_fma_f32 v[10:11], v[8:9], v[12:13], v[10:11] op_sel_hi:[0,1,1]
	v_div_scale_f32 v1, s[14:15], v7, v7, v11
	v_rcp_f32_e32 v2, v1
	v_lshl_add_u32 v12, v14, 7, v44
	v_cvt_f32_f16_sdwa v15, v3 dst_sel:DWORD dst_unused:UNUSED_PAD src0_sel:WORD_1
	v_ashrrev_i32_e32 v13, 31, v12
	v_fma_f32 v4, -v1, v2, 1.0
	v_fmac_f32_e32 v2, v4, v2
	v_div_scale_f32 v4, vcc, v11, v7, v11
	v_mul_f32_e32 v9, v4, v2
	v_fma_f32 v14, -v1, v9, v4
	v_fmac_f32_e32 v9, v14, v2
	v_fma_f32 v1, -v1, v9, v4
	v_div_scale_f32 v4, s[14:15], v7, v7, v10
	v_rcp_f32_e32 v16, v4
	v_div_fmas_f32 v1, v1, v2, v9
	v_div_fixup_f32 v9, v1, v7, v11
	v_cvt_f32_f16_e32 v14, v3
	v_fma_f32 v1, -v4, v16, 1.0
	v_fmac_f32_e32 v16, v1, v16
	v_div_scale_f32 v1, vcc, v10, v7, v10
	v_mul_f32_e32 v11, v1, v16
	v_cvt_f32_f16_sdwa v3, v5 dst_sel:DWORD dst_unused:UNUSED_PAD src0_sel:WORD_1
	v_cvt_f32_f16_e32 v2, v5
	v_fma_f32 v17, -v4, v11, v1
	v_fmac_f32_e32 v11, v17, v16
	v_fma_f32 v1, -v4, v11, v1
	v_pk_fma_f32 v[4:5], v[6:7], v[14:15], 0 op_sel_hi:[0,1,0]
	v_pk_fma_f32 v[2:3], v[8:9], v[2:3], v[4:5] op_sel_hi:[0,1,1]
	v_div_scale_f32 v4, s[14:15], v7, v7, v3
	v_rcp_f32_e32 v5, v4
	v_div_fmas_f32 v1, v1, v16, v11
	v_div_fixup_f32 v8, v1, v7, v10
	v_lshl_add_u64 v[12:13], v[12:13], 3, v[160:161]
	v_fma_f32 v1, -v4, v5, 1.0
	v_fmac_f32_e32 v5, v1, v5
	v_div_scale_f32 v1, vcc, v3, v7, v3
	v_mul_f32_e32 v6, v1, v5
	global_store_dwordx2 v[12:13], v[8:9], off
	v_fma_f32 v8, -v4, v6, v1
	v_fmac_f32_e32 v6, v8, v5
	v_fma_f32 v1, -v4, v6, v1
	v_div_scale_f32 v4, s[14:15], v7, v7, v2
	v_rcp_f32_e32 v8, v4
	v_div_fmas_f32 v1, v1, v5, v6
	v_div_fixup_f32 v3, v1, v7, v3
	v_fma_f32 v1, -v4, v8, 1.0
	v_fmac_f32_e32 v8, v1, v8
	v_div_scale_f32 v1, vcc, v2, v7, v2
	v_mul_f32_e32 v5, v1, v8
	v_fma_f32 v6, -v4, v5, v1
	v_fmac_f32_e32 v5, v6, v8
	v_fma_f32 v1, -v4, v5, v1
	v_div_fmas_f32 v1, v1, v8, v5
	v_div_fixup_f32 v2, v1, v7, v2
	global_store_dwordx2 v[12:13], v[2:3], off offset:512
	v_mov_b32_e32 v2, 0
.LBB32_393:                             ;   in Loop: Header=BB32_12 Depth=1
	s_or_b64 exec, exec, s[10:11]
	v_cmp_gt_i32_e32 vcc, s97, v2
	s_mov_b64 s[10:11], -1
	s_and_saveexec_b64 s[14:15], vcc
; %bb.394:                              ;   in Loop: Header=BB32_12 Depth=1
	v_cmp_eq_u32_e32 vcc, 0, v2
	s_orn2_b64 s[10:11], vcc, exec
; %bb.395:                              ;   in Loop: Header=BB32_12 Depth=1
	s_or_b64 exec, exec, s[14:15]
	s_and_b64 exec, exec, s[10:11]
	s_cbranch_execz .LBB32_10
; %bb.396:                              ;   in Loop: Header=BB32_12 Depth=1
	v_accvgpr_read_b32 v1, a75
	v_accvgpr_read_b32 v2, a76
	v_add_u32_e32 v1, v1, v117
	v_or_b32_e32 v2, v2, v47
	v_cmp_gt_i32_e32 vcc, s36, v1
	v_cmp_gt_i32_e64 s[10:11], s76, v2
	s_and_b64 s[14:15], vcc, s[10:11]
	v_mov_b32_e32 v2, 0x47
	s_and_saveexec_b64 s[10:11], s[14:15]
	s_cbranch_execz .LBB32_398
; %bb.397:                              ;   in Loop: Header=BB32_12 Depth=1
	v_accvgpr_read_b32 v4, a48
	ds_read2st64_b32 v[2:3], v4 offset1:1
	ds_read2st64_b32 v[4:5], v4 offset0:33 offset1:34
	v_accvgpr_read_b32 v8, a34
	ds_read2_b32 v[6:7], v8 offset0:128 offset1:129
	ds_read_b32 v8, v8 offset:8960
	s_waitcnt lgkmcnt(3)
	v_cvt_f32_f16_sdwa v11, v2 dst_sel:DWORD dst_unused:UNUSED_PAD src0_sel:WORD_1
	v_cvt_f32_f16_e32 v10, v2
	s_waitcnt lgkmcnt(2)
	v_cvt_f32_f16_sdwa v13, v4 dst_sel:DWORD dst_unused:UNUSED_PAD src0_sel:WORD_1
	v_cvt_f32_f16_e32 v12, v4
	v_accvgpr_read_b32 v2, a76
	s_waitcnt lgkmcnt(1)
	v_pk_fma_f32 v[10:11], v[6:7], v[10:11], 0 op_sel_hi:[0,1,0]
	v_mad_u64_u32 v[14:15], s[14:15], v1, s37, v[2:3]
	s_waitcnt lgkmcnt(0)
	v_pk_fma_f32 v[10:11], v[8:9], v[12:13], v[10:11] op_sel_hi:[0,1,1]
	v_div_scale_f32 v1, s[14:15], v7, v7, v11
	v_rcp_f32_e32 v2, v1
	v_lshl_add_u32 v12, v14, 7, v44
	v_cvt_f32_f16_sdwa v15, v3 dst_sel:DWORD dst_unused:UNUSED_PAD src0_sel:WORD_1
	v_ashrrev_i32_e32 v13, 31, v12
	v_fma_f32 v4, -v1, v2, 1.0
	v_fmac_f32_e32 v2, v4, v2
	v_div_scale_f32 v4, vcc, v11, v7, v11
	v_mul_f32_e32 v9, v4, v2
	v_fma_f32 v14, -v1, v9, v4
	v_fmac_f32_e32 v9, v14, v2
	v_fma_f32 v1, -v1, v9, v4
	v_div_scale_f32 v4, s[14:15], v7, v7, v10
	v_rcp_f32_e32 v16, v4
	v_div_fmas_f32 v1, v1, v2, v9
	v_div_fixup_f32 v9, v1, v7, v11
	v_cvt_f32_f16_e32 v14, v3
	v_fma_f32 v1, -v4, v16, 1.0
	v_fmac_f32_e32 v16, v1, v16
	v_div_scale_f32 v1, vcc, v10, v7, v10
	v_mul_f32_e32 v11, v1, v16
	v_cvt_f32_f16_sdwa v3, v5 dst_sel:DWORD dst_unused:UNUSED_PAD src0_sel:WORD_1
	v_cvt_f32_f16_e32 v2, v5
	v_fma_f32 v17, -v4, v11, v1
	v_fmac_f32_e32 v11, v17, v16
	v_fma_f32 v1, -v4, v11, v1
	v_pk_fma_f32 v[4:5], v[6:7], v[14:15], 0 op_sel_hi:[0,1,0]
	v_pk_fma_f32 v[2:3], v[8:9], v[2:3], v[4:5] op_sel_hi:[0,1,1]
	v_div_scale_f32 v4, s[14:15], v7, v7, v3
	v_rcp_f32_e32 v5, v4
	v_div_fmas_f32 v1, v1, v16, v11
	v_div_fixup_f32 v8, v1, v7, v10
	v_lshl_add_u64 v[12:13], v[12:13], 3, v[160:161]
	v_fma_f32 v1, -v4, v5, 1.0
	v_fmac_f32_e32 v5, v1, v5
	v_div_scale_f32 v1, vcc, v3, v7, v3
	v_mul_f32_e32 v6, v1, v5
	global_store_dwordx2 v[12:13], v[8:9], off
	v_fma_f32 v8, -v4, v6, v1
	v_fmac_f32_e32 v6, v8, v5
	v_fma_f32 v1, -v4, v6, v1
	v_div_scale_f32 v4, s[14:15], v7, v7, v2
	v_rcp_f32_e32 v8, v4
	v_div_fmas_f32 v1, v1, v5, v6
	v_div_fixup_f32 v3, v1, v7, v3
	v_fma_f32 v1, -v4, v8, 1.0
	v_fmac_f32_e32 v8, v1, v8
	v_div_scale_f32 v1, vcc, v2, v7, v2
	v_mul_f32_e32 v5, v1, v8
	v_fma_f32 v6, -v4, v5, v1
	v_fmac_f32_e32 v5, v6, v8
	v_fma_f32 v1, -v4, v5, v1
	v_div_fmas_f32 v1, v1, v8, v5
	v_div_fixup_f32 v2, v1, v7, v2
	global_store_dwordx2 v[12:13], v[2:3], off offset:512
	v_mov_b32_e32 v2, 0
.LBB32_398:                             ;   in Loop: Header=BB32_12 Depth=1
	s_or_b64 exec, exec, s[10:11]
	v_cmp_gt_i32_e32 vcc, s97, v2
	s_mov_b64 s[10:11], -1
	s_and_saveexec_b64 s[14:15], vcc
; %bb.399:                              ;   in Loop: Header=BB32_12 Depth=1
	v_cmp_eq_u32_e32 vcc, 0, v2
	s_orn2_b64 s[10:11], vcc, exec
; %bb.400:                              ;   in Loop: Header=BB32_12 Depth=1
	s_or_b64 exec, exec, s[14:15]
	s_and_b64 exec, exec, s[10:11]
	s_cbranch_execz .LBB32_10
; %bb.401:                              ;   in Loop: Header=BB32_12 Depth=1
	v_accvgpr_read_b32 v1, a77
	v_accvgpr_read_b32 v2, a78
	v_add_u32_e32 v1, v1, v117
	v_or_b32_e32 v2, v2, v47
	v_cmp_gt_i32_e32 vcc, s36, v1
	v_cmp_gt_i32_e64 s[10:11], s76, v2
	s_and_b64 s[10:11], vcc, s[10:11]
	s_and_b64 exec, exec, s[10:11]
	s_cbranch_execz .LBB32_10
; %bb.402:                              ;   in Loop: Header=BB32_12 Depth=1
	v_accvgpr_read_b32 v4, a49
	ds_read2st64_b32 v[2:3], v4 offset1:1
	ds_read2st64_b32 v[4:5], v4 offset0:33 offset1:34
	v_accvgpr_read_b32 v8, a35
	ds_read2_b32 v[6:7], v8 offset0:128 offset1:129
	ds_read_b32 v8, v8 offset:8960
	s_waitcnt lgkmcnt(3)
	v_cvt_f32_f16_sdwa v11, v2 dst_sel:DWORD dst_unused:UNUSED_PAD src0_sel:WORD_1
	v_cvt_f32_f16_e32 v10, v2
	s_waitcnt lgkmcnt(2)
	v_cvt_f32_f16_sdwa v13, v4 dst_sel:DWORD dst_unused:UNUSED_PAD src0_sel:WORD_1
	v_cvt_f32_f16_e32 v12, v4
	v_accvgpr_read_b32 v2, a78
	s_waitcnt lgkmcnt(1)
	v_pk_fma_f32 v[10:11], v[6:7], v[10:11], 0 op_sel_hi:[0,1,0]
	v_mad_u64_u32 v[14:15], s[10:11], v1, s37, v[2:3]
	s_waitcnt lgkmcnt(0)
	v_pk_fma_f32 v[10:11], v[8:9], v[12:13], v[10:11] op_sel_hi:[0,1,1]
	v_div_scale_f32 v1, s[10:11], v7, v7, v11
	v_rcp_f32_e32 v2, v1
	v_lshl_add_u32 v12, v14, 7, v44
	v_cvt_f32_f16_sdwa v15, v3 dst_sel:DWORD dst_unused:UNUSED_PAD src0_sel:WORD_1
	v_ashrrev_i32_e32 v13, 31, v12
	v_fma_f32 v4, -v1, v2, 1.0
	v_fmac_f32_e32 v2, v4, v2
	v_div_scale_f32 v4, vcc, v11, v7, v11
	v_mul_f32_e32 v9, v4, v2
	v_fma_f32 v14, -v1, v9, v4
	v_fmac_f32_e32 v9, v14, v2
	v_fma_f32 v1, -v1, v9, v4
	v_div_scale_f32 v4, s[10:11], v7, v7, v10
	v_rcp_f32_e32 v16, v4
	v_div_fmas_f32 v1, v1, v2, v9
	v_div_fixup_f32 v9, v1, v7, v11
	v_cvt_f32_f16_e32 v14, v3
	v_fma_f32 v1, -v4, v16, 1.0
	v_fmac_f32_e32 v16, v1, v16
	v_div_scale_f32 v1, vcc, v10, v7, v10
	v_mul_f32_e32 v11, v1, v16
	v_cvt_f32_f16_sdwa v3, v5 dst_sel:DWORD dst_unused:UNUSED_PAD src0_sel:WORD_1
	v_cvt_f32_f16_e32 v2, v5
	v_fma_f32 v17, -v4, v11, v1
	v_fmac_f32_e32 v11, v17, v16
	v_fma_f32 v1, -v4, v11, v1
	v_pk_fma_f32 v[4:5], v[6:7], v[14:15], 0 op_sel_hi:[0,1,0]
	v_pk_fma_f32 v[2:3], v[8:9], v[2:3], v[4:5] op_sel_hi:[0,1,1]
	v_div_scale_f32 v4, s[10:11], v7, v7, v3
	v_rcp_f32_e32 v5, v4
	v_div_fmas_f32 v1, v1, v16, v11
	v_div_fixup_f32 v8, v1, v7, v10
	v_lshl_add_u64 v[12:13], v[12:13], 3, v[160:161]
	v_fma_f32 v1, -v4, v5, 1.0
	v_fmac_f32_e32 v5, v1, v5
	v_div_scale_f32 v1, vcc, v3, v7, v3
	v_mul_f32_e32 v6, v1, v5
	global_store_dwordx2 v[12:13], v[8:9], off
	v_fma_f32 v8, -v4, v6, v1
	v_fmac_f32_e32 v6, v8, v5
	v_fma_f32 v1, -v4, v6, v1
	v_div_scale_f32 v4, s[10:11], v7, v7, v2
	v_rcp_f32_e32 v8, v4
	v_div_fmas_f32 v1, v1, v5, v6
	v_div_fixup_f32 v3, v1, v7, v3
	v_fma_f32 v1, -v4, v8, 1.0
	v_fmac_f32_e32 v8, v1, v8
	v_div_scale_f32 v1, vcc, v2, v7, v2
	v_mul_f32_e32 v5, v1, v8
	v_fma_f32 v6, -v4, v5, v1
	v_fmac_f32_e32 v5, v6, v8
	v_fma_f32 v1, -v4, v5, v1
	v_div_fmas_f32 v1, v1, v8, v5
	v_div_fixup_f32 v2, v1, v7, v2
	global_store_dwordx2 v[12:13], v[2:3], off offset:512
	s_branch .LBB32_10
.LBB32_403:
	v_accvgpr_read_b32 v216, a8
	v_accvgpr_read_b32 v217, a9
	;; [unrolled: 1-line block ×10, first 2 shown]
	s_andn2_b64 vcc, exec, s[10:11]
	s_cbranch_vccnz .LBB32_8
.LBB32_404:
	s_abs_i32 s0, s81
	v_cvt_f32_u32_e32 v1, s0
	s_sub_i32 s5, 0, s0
	s_abs_i32 s4, s56
	s_xor_b32 s1, s56, s81
	v_rcp_iflag_f32_e32 v1, v1
	s_ashr_i32 s1, s1, 31
	v_mul_f32_e32 v1, 0x4f7ffffe, v1
	v_cvt_u32_f32_e32 v1, v1
	s_nop 0
	v_readfirstlane_b32 s6, v1
	s_mul_i32 s5, s5, s6
	s_mul_hi_u32 s5, s6, s5
	s_add_i32 s6, s6, s5
	s_mul_hi_u32 s5, s4, s6
	s_mul_i32 s6, s5, s0
	s_sub_i32 s4, s4, s6
	s_add_i32 s7, s5, 1
	s_sub_i32 s6, s4, s0
	s_cmp_ge_u32 s4, s0
	s_cselect_b32 s5, s7, s5
	s_cselect_b32 s4, s6, s4
	s_add_i32 s6, s5, 1
	s_cmp_ge_u32 s4, s0
	s_cselect_b32 s0, s6, s5
	s_abs_i32 s4, s80
	v_cvt_f32_u32_e32 v1, s4
	s_xor_b32 s0, s0, s1
	s_sub_i32 s5, 0, s4
	s_sub_i32 s8, s0, s1
	v_rcp_iflag_f32_e32 v1, v1
	s_mul_i32 s0, s8, s81
	s_sub_i32 s0, s56, s0
	s_abs_i32 s6, s0
	v_mul_f32_e32 v1, 0x4f7ffffe, v1
	v_cvt_u32_f32_e32 v1, v1
	s_xor_b32 s1, s0, s80
	s_ashr_i32 s1, s1, 31
	v_readfirstlane_b32 s7, v1
	s_mul_i32 s5, s5, s7
	s_mul_hi_u32 s5, s7, s5
	s_add_i32 s7, s7, s5
	s_mul_hi_u32 s5, s6, s7
	s_mul_i32 s7, s5, s4
	s_sub_i32 s6, s6, s7
	s_add_i32 s9, s5, 1
	s_sub_i32 s7, s6, s4
	s_cmp_ge_u32 s6, s4
	s_cselect_b32 s5, s9, s5
	s_cselect_b32 s6, s7, s6
	s_add_i32 s7, s5, 1
	s_cmp_ge_u32 s6, s4
	s_cselect_b32 s4, s7, s5
	s_abs_i32 s5, s79
	v_cvt_f32_u32_e32 v1, s5
	s_xor_b32 s4, s4, s1
	s_sub_i32 s6, 0, s5
	s_sub_i32 s9, s4, s1
	v_rcp_iflag_f32_e32 v1, v1
	s_mul_i32 s1, s9, s80
	s_sub_i32 s1, s0, s1
	s_abs_i32 s4, s1
	v_mul_f32_e32 v1, 0x4f7ffffe, v1
	v_cvt_u32_f32_e32 v1, v1
	s_xor_b32 s0, s1, s79
	s_ashr_i32 s0, s0, 31
	v_readfirstlane_b32 s7, v1
	s_mul_i32 s6, s6, s7
	s_mul_hi_u32 s6, s7, s6
	s_add_i32 s7, s7, s6
	s_mul_hi_u32 s6, s4, s7
	s_mul_i32 s7, s6, s5
	s_sub_i32 s4, s4, s7
	s_add_i32 s10, s6, 1
	s_sub_i32 s7, s4, s5
	s_cmp_ge_u32 s4, s5
	s_cselect_b32 s6, s10, s6
	s_cselect_b32 s4, s7, s4
	s_add_i32 s7, s6, 1
	s_cmp_ge_u32 s4, s5
	s_cselect_b32 s4, s7, s6
	s_xor_b32 s4, s4, s0
	s_sub_i32 s0, s4, s0
	s_mul_i32 s4, s0, s79
	s_sub_i32 s1, s1, s4
	s_ashr_i32 s4, s1, 31
	s_abs_i32 s1, s1
	s_mul_hi_u32 s5, s1, s52
	s_mul_i32 s6, s5, s83
	s_sub_i32 s1, s1, s6
	s_xor_b32 s4, s4, s42
	s_add_i32 s6, s5, 1
	s_sub_i32 s7, s1, s83
	s_cmp_ge_u32 s1, s83
	s_cselect_b32 s5, s6, s5
	s_cselect_b32 s1, s7, s1
	s_add_i32 s6, s5, 1
	s_cmp_ge_u32 s1, s83
	s_cselect_b32 s1, s6, s5
	s_abs_i32 s10, s58
	v_cvt_f32_u32_e32 v1, s10
	s_xor_b32 s1, s1, s4
	s_sub_i32 s1, s1, s4
	s_cmp_eq_u64 s[26:27], 0
	v_rcp_iflag_f32_e32 v1, v1
	s_nop 0
	v_mul_f32_e32 v1, 0x4f7ffffe, v1
	v_cvt_u32_f32_e32 v1, v1
	s_nop 0
	v_readfirstlane_b32 s13, v1
	s_cbranch_scc1 .LBB32_406
; %bb.405:
	s_mul_i32 s4, s8, s78
	s_add_i32 s4, s1, s4
	s_ashr_i32 s5, s4, 31
	s_lshl_b64 s[4:5], s[4:5], 2
	s_add_u32 s4, s26, s4
	s_addc_u32 s5, s27, s5
	v_mov_b32_e32 v1, 0
	global_load_dword v1, v1, s[4:5]
	s_waitcnt vmcnt(0)
	v_ashrrev_i32_e32 v2, 31, v1
	v_lshrrev_b32_e32 v2, 26, v2
	v_add_u32_e32 v1, v1, v2
	v_ashrrev_i32_e32 v1, 6, v1
	v_min_i32_e32 v184, v184, v1
.LBB32_406:
	s_mul_i32 s4, s9, s76
	s_lshl_b32 s11, s0, 3
	s_add_i32 s0, s11, s4
	s_mul_i32 s4, s8, s55
	s_ashr_i32 s5, s4, 31
	s_add_u32 s4, s16, s4
	s_mul_i32 s0, s0, s54
	s_addc_u32 s5, s17, s5
	s_ashr_i32 s7, s0, 31
	s_add_u32 s6, s4, s0
	s_addc_u32 s7, s5, s7
	v_and_b32_e32 v76, 0x3ff, v0
	s_lshl_b32 s12, s1, 2
	v_bfe_u32 v0, v103, 3, 7
	v_add_u32_e32 v2, s12, v0
	v_or_b32_e32 v0, s11, v45
	v_cmp_le_i32_e64 s[0:1], s36, v2
	v_cmp_le_i32_e64 s[4:5], s76, v0
	s_mov_b32 s14, 0x10001
	v_lshl_add_u32 v1, v76, 2, 0
	v_cmp_gt_i32_e32 vcc, s76, v0
	s_or_b64 s[0:1], s[0:1], s[4:5]
	s_and_saveexec_b64 s[4:5], s[0:1]
	s_xor_b64 s[0:1], exec, s[4:5]
; %bb.407:
	s_movk_i32 s4, 0x210
	v_mad_u32_u24 v0, v87, s4, v1
	v_mov_b32_e32 v2, 0
	ds_write2st64_b32 v0, v2, v2 offset1:1
                                        ; implicit-def: $vgpr2
; %bb.408:
	s_or_saveexec_b64 s[0:1], s[0:1]
	v_mul_lo_u32 v0, v88, s14
	v_lshlrev_b32_e32 v77, 2, v76
	s_xor_b64 exec, exec, s[0:1]
	s_cbranch_execz .LBB32_410
; %bb.409:
	v_mul_lo_u32 v2, v2, s57
	v_mul_lo_u32 v3, v45, s77
	v_add3_u32 v2, v2, v3, v76
	v_ashrrev_i32_e32 v3, 31, v2
	v_lshl_add_u64 v[2:3], v[2:3], 3, s[6:7]
	global_load_dwordx2 v[4:5], v[2:3], off
	global_load_dwordx2 v[6:7], v[2:3], off offset:512
	v_mul_u32_u24_e32 v2, 0x210, v87
	v_add3_u32 v2, 0, v2, v77
	s_waitcnt vmcnt(1)
	v_cvt_pk_f16_f32 v3, v4, v5
	s_waitcnt vmcnt(0)
	v_cvt_pk_f16_f32 v4, v6, v7
	v_pk_mul_f16 v3, v3, v0
	v_pk_mul_f16 v4, v4, v0
	ds_write2st64_b32 v2, v3, v4 offset1:1
.LBB32_410:
	s_or_b64 exec, exec, s[0:1]
	v_lshrrev_b32_e32 v3, 3, v86
	v_and_b32_e32 v2, 7, v86
	v_add_u32_e32 v3, s12, v3
	v_or_b32_e32 v4, s11, v2
	v_cmp_le_i32_e64 s[0:1], s36, v3
	v_cmp_le_i32_e64 s[4:5], s76, v4
	s_or_b64 s[0:1], s[0:1], s[4:5]
	s_and_saveexec_b64 s[4:5], s[0:1]
	s_xor_b64 s[0:1], exec, s[4:5]
; %bb.411:
	s_movk_i32 s4, 0x210
	v_mad_u32_u24 v2, v86, s4, v1
	v_mov_b32_e32 v3, 0
	ds_write2st64_b32 v2, v3, v3 offset1:1
                                        ; implicit-def: $vgpr3
                                        ; implicit-def: $vgpr2
                                        ; implicit-def: $vgpr86
; %bb.412:
	s_andn2_saveexec_b64 s[0:1], s[0:1]
	s_cbranch_execz .LBB32_414
; %bb.413:
	v_mul_lo_u32 v3, v3, s57
	v_mul_lo_u32 v2, v2, s77
	v_add3_u32 v2, v3, v2, v76
	v_ashrrev_i32_e32 v3, 31, v2
	v_lshl_add_u64 v[2:3], v[2:3], 3, s[6:7]
	global_load_dwordx2 v[4:5], v[2:3], off
	global_load_dwordx2 v[6:7], v[2:3], off offset:512
	v_mul_u32_u24_e32 v2, 0x210, v86
	v_add3_u32 v2, 0, v2, v77
	s_waitcnt vmcnt(1)
	v_cvt_pk_f16_f32 v3, v4, v5
	s_waitcnt vmcnt(0)
	v_cvt_pk_f16_f32 v4, v6, v7
	v_pk_mul_f16 v3, v3, v0
	v_pk_mul_f16 v4, v4, v0
	ds_write2st64_b32 v2, v3, v4 offset1:1
.LBB32_414:
	s_or_b64 exec, exec, s[0:1]
	v_lshrrev_b32_e32 v2, 3, v51
	v_add_u32_e32 v2, s12, v2
	v_cmp_le_i32_e64 s[0:1], s36, v2
	s_xor_b64 s[4:5], vcc, -1
	s_or_b64 s[0:1], s[0:1], s[4:5]
	s_and_saveexec_b64 s[14:15], s[0:1]
	s_xor_b64 s[0:1], exec, s[14:15]
; %bb.415:
	s_movk_i32 s14, 0x210
	v_mad_u32_u24 v2, v51, s14, v1
	v_mov_b32_e32 v3, 0
	ds_write2st64_b32 v2, v3, v3 offset1:1
                                        ; implicit-def: $vgpr2
                                        ; implicit-def: $vgpr51
; %bb.416:
	s_andn2_saveexec_b64 s[0:1], s[0:1]
	s_cbranch_execz .LBB32_418
; %bb.417:
	v_mul_lo_u32 v2, v2, s57
	v_mul_lo_u32 v3, v45, s77
	v_add3_u32 v2, v2, v3, v76
	v_ashrrev_i32_e32 v3, 31, v2
	v_lshl_add_u64 v[2:3], v[2:3], 3, s[6:7]
	global_load_dwordx2 v[4:5], v[2:3], off
	global_load_dwordx2 v[6:7], v[2:3], off offset:512
	v_mul_u32_u24_e32 v2, 0x210, v51
	v_add3_u32 v2, 0, v2, v77
	s_waitcnt vmcnt(1)
	v_cvt_pk_f16_f32 v3, v4, v5
	s_waitcnt vmcnt(0)
	v_cvt_pk_f16_f32 v4, v6, v7
	v_pk_mul_f16 v3, v3, v0
	v_pk_mul_f16 v4, v4, v0
	ds_write2st64_b32 v2, v3, v4 offset1:1
.LBB32_418:
	s_or_b64 exec, exec, s[0:1]
	v_lshrrev_b32_e32 v3, 3, v43
	v_and_b32_e32 v2, 7, v43
	v_add_u32_e32 v3, s12, v3
	v_or_b32_e32 v4, s11, v2
	v_cmp_le_i32_e32 vcc, s36, v3
	v_cmp_le_i32_e64 s[0:1], s76, v4
	s_or_b64 s[0:1], vcc, s[0:1]
	s_and_saveexec_b64 s[14:15], s[0:1]
	s_xor_b64 s[0:1], exec, s[14:15]
; %bb.419:
	s_movk_i32 s14, 0x210
	v_mad_u32_u24 v2, v43, s14, v1
	v_mov_b32_e32 v3, 0
	ds_write2st64_b32 v2, v3, v3 offset1:1
                                        ; implicit-def: $vgpr3
                                        ; implicit-def: $vgpr2
                                        ; implicit-def: $vgpr43
; %bb.420:
	s_andn2_saveexec_b64 s[0:1], s[0:1]
	s_cbranch_execz .LBB32_422
; %bb.421:
	v_mul_lo_u32 v3, v3, s57
	v_mul_lo_u32 v2, v2, s77
	v_add3_u32 v2, v3, v2, v76
	v_ashrrev_i32_e32 v3, 31, v2
	v_lshl_add_u64 v[2:3], v[2:3], 3, s[6:7]
	global_load_dwordx2 v[4:5], v[2:3], off
	global_load_dwordx2 v[6:7], v[2:3], off offset:512
	v_mul_u32_u24_e32 v2, 0x210, v43
	v_add3_u32 v2, 0, v2, v77
	s_waitcnt vmcnt(1)
	v_cvt_pk_f16_f32 v3, v4, v5
	s_waitcnt vmcnt(0)
	v_cvt_pk_f16_f32 v4, v6, v7
	v_pk_mul_f16 v3, v3, v0
	v_pk_mul_f16 v4, v4, v0
	ds_write2st64_b32 v2, v3, v4 offset1:1
.LBB32_422:
	s_or_b64 exec, exec, s[0:1]
	v_lshrrev_b32_e32 v2, 3, v41
	v_add_u32_e32 v2, s12, v2
	v_cmp_le_i32_e32 vcc, s36, v2
	s_or_b64 s[0:1], vcc, s[4:5]
	s_and_saveexec_b64 s[14:15], s[0:1]
	s_xor_b64 s[0:1], exec, s[14:15]
; %bb.423:
	s_movk_i32 s14, 0x210
	v_mad_u32_u24 v2, v41, s14, v1
	v_mov_b32_e32 v3, 0
	ds_write2st64_b32 v2, v3, v3 offset1:1
                                        ; implicit-def: $vgpr2
                                        ; implicit-def: $vgpr41
; %bb.424:
	s_andn2_saveexec_b64 s[0:1], s[0:1]
	s_cbranch_execz .LBB32_426
; %bb.425:
	v_mul_lo_u32 v2, v2, s57
	v_mul_lo_u32 v3, v45, s77
	v_add3_u32 v2, v2, v3, v76
	v_ashrrev_i32_e32 v3, 31, v2
	v_lshl_add_u64 v[2:3], v[2:3], 3, s[6:7]
	global_load_dwordx2 v[4:5], v[2:3], off
	global_load_dwordx2 v[6:7], v[2:3], off offset:512
	v_mul_u32_u24_e32 v2, 0x210, v41
	v_add3_u32 v2, 0, v2, v77
	s_waitcnt vmcnt(1)
	v_cvt_pk_f16_f32 v3, v4, v5
	s_waitcnt vmcnt(0)
	v_cvt_pk_f16_f32 v4, v6, v7
	v_pk_mul_f16 v3, v3, v0
	v_pk_mul_f16 v4, v4, v0
	ds_write2st64_b32 v2, v3, v4 offset1:1
.LBB32_426:
	s_or_b64 exec, exec, s[0:1]
	v_lshrrev_b32_e32 v3, 3, v40
	v_and_b32_e32 v2, 7, v40
	v_add_u32_e32 v3, s12, v3
	v_or_b32_e32 v4, s11, v2
	v_cmp_le_i32_e32 vcc, s36, v3
	v_cmp_le_i32_e64 s[0:1], s76, v4
	s_sub_i32 s14, 0, s10
	s_or_b64 s[0:1], vcc, s[0:1]
	s_and_saveexec_b64 s[16:17], s[0:1]
	s_xor_b64 s[0:1], exec, s[16:17]
; %bb.427:
	s_movk_i32 s15, 0x210
	v_mad_u32_u24 v2, v40, s15, v1
	v_mov_b32_e32 v3, 0
	ds_write2st64_b32 v2, v3, v3 offset1:1
                                        ; implicit-def: $vgpr3
                                        ; implicit-def: $vgpr2
                                        ; implicit-def: $vgpr40
; %bb.428:
	s_or_saveexec_b64 s[0:1], s[0:1]
	s_mul_i32 s14, s14, s13
	s_xor_b64 exec, exec, s[0:1]
	s_cbranch_execz .LBB32_430
; %bb.429:
	v_mul_lo_u32 v3, v3, s57
	v_mul_lo_u32 v2, v2, s77
	v_add3_u32 v2, v3, v2, v76
	v_ashrrev_i32_e32 v3, 31, v2
	v_lshl_add_u64 v[2:3], v[2:3], 3, s[6:7]
	global_load_dwordx2 v[4:5], v[2:3], off
	global_load_dwordx2 v[6:7], v[2:3], off offset:512
	v_mul_u32_u24_e32 v2, 0x210, v40
	v_add3_u32 v2, 0, v2, v77
	s_waitcnt vmcnt(1)
	v_cvt_pk_f16_f32 v3, v4, v5
	s_waitcnt vmcnt(0)
	v_cvt_pk_f16_f32 v4, v6, v7
	v_pk_mul_f16 v3, v3, v0
	v_pk_mul_f16 v4, v4, v0
	ds_write2st64_b32 v2, v3, v4 offset1:1
.LBB32_430:
	s_or_b64 exec, exec, s[0:1]
	v_lshrrev_b32_e32 v2, 3, v39
	v_add_u32_e32 v2, s12, v2
	v_cmp_le_i32_e32 vcc, s36, v2
	s_mul_hi_u32 s14, s13, s14
	s_or_b64 s[0:1], vcc, s[4:5]
	s_and_saveexec_b64 s[4:5], s[0:1]
	s_xor_b64 s[0:1], exec, s[4:5]
; %bb.431:
	s_movk_i32 s4, 0x210
	v_mad_u32_u24 v2, v39, s4, v1
	v_mov_b32_e32 v3, 0
	ds_write2st64_b32 v2, v3, v3 offset1:1
                                        ; implicit-def: $vgpr2
                                        ; implicit-def: $vgpr45
                                        ; implicit-def: $vgpr39
; %bb.432:
	s_or_saveexec_b64 s[0:1], s[0:1]
	s_abs_i32 s4, s8
	s_add_i32 s13, s13, s14
	s_xor_b64 exec, exec, s[0:1]
	s_cbranch_execz .LBB32_434
; %bb.433:
	v_mul_lo_u32 v2, v2, s57
	v_mul_lo_u32 v3, v45, s77
	v_add3_u32 v2, v2, v3, v76
	v_ashrrev_i32_e32 v3, 31, v2
	v_lshl_add_u64 v[2:3], v[2:3], 3, s[6:7]
	global_load_dwordx2 v[4:5], v[2:3], off
	global_load_dwordx2 v[6:7], v[2:3], off offset:512
	v_mul_u32_u24_e32 v2, 0x210, v39
	v_add3_u32 v2, 0, v2, v77
	s_waitcnt vmcnt(1)
	v_cvt_pk_f16_f32 v3, v4, v5
	s_waitcnt vmcnt(0)
	v_cvt_pk_f16_f32 v4, v6, v7
	v_pk_mul_f16 v3, v3, v0
	v_pk_mul_f16 v4, v4, v0
	ds_write2st64_b32 v2, v3, v4 offset1:1
.LBB32_434:
	s_or_b64 exec, exec, s[0:1]
	v_lshrrev_b32_e32 v3, 3, v38
	v_and_b32_e32 v2, 7, v38
	v_add_u32_e32 v3, s12, v3
	v_or_b32_e32 v4, s11, v2
	v_cmp_le_i32_e32 vcc, s36, v3
	v_cmp_le_i32_e64 s[0:1], s76, v4
	s_mul_hi_u32 s5, s4, s13
	s_or_b64 s[0:1], vcc, s[0:1]
	s_and_saveexec_b64 s[14:15], s[0:1]
	s_xor_b64 s[0:1], exec, s[14:15]
; %bb.435:
	s_movk_i32 s11, 0x210
	v_mad_u32_u24 v0, v38, s11, v1
	v_mov_b32_e32 v1, 0
	ds_write2st64_b32 v0, v1, v1 offset1:1
                                        ; implicit-def: $vgpr3
                                        ; implicit-def: $vgpr2
                                        ; implicit-def: $vgpr38
                                        ; implicit-def: $vgpr0
; %bb.436:
	s_or_saveexec_b64 s[0:1], s[0:1]
	s_ashr_i32 s11, s8, 31
	s_xor_b64 exec, exec, s[0:1]
	s_cbranch_execz .LBB32_438
; %bb.437:
	v_mul_lo_u32 v1, v3, s57
	v_mul_lo_u32 v2, v2, s77
	v_add3_u32 v2, v1, v2, v76
	v_ashrrev_i32_e32 v3, 31, v2
	v_lshl_add_u64 v[2:3], v[2:3], 3, s[6:7]
	global_load_dwordx2 v[4:5], v[2:3], off
	global_load_dwordx2 v[6:7], v[2:3], off offset:512
	v_mul_u32_u24_e32 v1, 0x210, v38
	v_add3_u32 v1, 0, v1, v77
	s_waitcnt vmcnt(1)
	v_cvt_pk_f16_f32 v2, v4, v5
	s_waitcnt vmcnt(0)
	v_cvt_pk_f16_f32 v3, v6, v7
	v_pk_mul_f16 v2, v2, v0
	v_pk_mul_f16 v0, v3, v0
	ds_write2st64_b32 v1, v2, v0 offset1:1
.LBB32_438:
	s_or_b64 exec, exec, s[0:1]
	s_mul_hi_u32 s0, s40, s8
	s_mul_i32 s1, s40, s11
	s_add_i32 s0, s0, s1
	s_mul_i32 s1, s41, s8
	s_add_i32 s0, s0, s1
	s_mul_i32 s1, s40, s8
	s_add_u32 s1, s18, s1
	s_mul_i32 s6, s9, s53
	s_addc_u32 s0, s19, s0
	s_ashr_i32 s7, s6, 31
	s_add_u32 s13, s1, s6
	s_mul_i32 s5, s5, s10
	s_addc_u32 s14, s0, s7
	s_sub_i32 s0, s4, s5
	s_sub_i32 s1, s0, s10
	s_cmp_ge_u32 s0, s10
	s_cselect_b32 s0, s1, s0
	s_sub_i32 s1, s0, s10
	s_cmp_ge_u32 s0, s10
	s_cselect_b32 s0, s1, s0
	s_xor_b32 s0, s0, s11
	s_sub_i32 s0, s0, s11
	s_ashr_i32 s1, s0, 31
	s_mul_i32 s1, s50, s1
	s_mul_hi_u32 s4, s50, s0
	s_add_i32 s1, s4, s1
	s_mul_i32 s4, s51, s0
	s_add_i32 s1, s1, s4
	s_mul_i32 s0, s50, s0
	s_add_u32 s4, s22, s0
	s_addc_u32 s5, s23, s1
	s_mul_hi_u32 s0, s48, s8
	s_mul_i32 s1, s48, s11
	s_add_i32 s0, s0, s1
	s_mul_i32 s1, s49, s8
	s_add_i32 s0, s0, s1
	s_mul_i32 s1, s48, s8
	s_add_u32 s1, s20, s1
	s_mul_i32 s9, s9, s43
	s_addc_u32 s0, s21, s0
	s_ashr_i32 s6, s9, 31
	s_add_u32 s10, s1, s9
	v_lshrrev_b32_e32 v1, 3, v76
	s_addc_u32 s11, s0, s6
	v_and_b32_e32 v32, 0x1ff0, v217
	s_movk_i32 s0, 0x210
	v_and_b32_e32 v78, 15, v76
	v_and_b32_e32 v1, 0x7e, v1
	v_mad_u32_u24 v0, v32, s0, 0
	v_mul_u32_u24_e32 v85, 0x210, v78
	v_lshlrev_b32_e32 v79, 2, v1
	v_add3_u32 v0, v0, v85, v79
	s_waitcnt lgkmcnt(0)
	s_barrier
	ds_read2_b64 v[28:31], v0 offset1:4
	ds_read2_b64 v[24:27], v0 offset0:8 offset1:12
	ds_read2_b64 v[20:23], v0 offset0:16 offset1:20
	;; [unrolled: 1-line block ×7, first 2 shown]
	v_lshrrev_b32_e32 v33, 5, v76
	v_add_u32_e32 v88, -1, v184
	v_lshl_add_u32 v86, v87, 1, v33
	v_cmp_ge_i32_e32 vcc, s72, v88
	v_mul_lo_u32 v42, s38, v86
	v_mul_lo_u32 v40, s34, v86
	s_and_b64 vcc, exec, vcc
	v_cmp_gt_u32_e64 s[0:1], 4, v86
	v_ashrrev_i32_e32 v43, 31, v42
	v_lshrrev_b32_e32 v82, 2, v76
	v_and_or_b32 v84, v76, 8, v32
	v_mbcnt_lo_u32_b32 v83, -1, 0
	v_ashrrev_i32_e32 v41, 31, v40
	v_and_b32_e32 v81, 8, v217
	v_lshlrev_b32_e32 v80, 1, v78
	s_waitcnt lgkmcnt(0)
	s_barrier
	s_cbranch_vccnz .LBB32_477
; %bb.439:
	v_add_u32_e32 v32, s12, v86
	v_mul_hi_u32 v33, s44, v32
	v_add_u32_e32 v33, v32, v33
	v_lshrrev_b32_e32 v33, s45, v33
	v_mul_lo_u32 v33, v33, s36
	v_sub_u32_e32 v32, v32, v33
	v_mad_i64_i32 v[32:33], s[6:7], v32, s46, 0
	s_lshl_b32 s6, s38, 3
	s_movk_i32 s8, 0x90
	v_and_b32_e32 v44, 0x7c, v77
	v_lshl_add_u64 v[32:33], v[32:33], 1, s[4:5]
	v_mov_b32_e32 v45, 0
	v_add_u32_e32 v48, s6, v42
	v_mad_u32_u24 v34, v86, s8, 0
	v_lshl_add_u64 v[46:47], v[32:33], 0, v[44:45]
	v_mul_u32_u24_e32 v32, 0x180, v86
	v_lshlrev_b32_e32 v33, 2, v44
	v_add_u32_e32 v50, s6, v48
	v_add3_u32 v90, v34, v32, v33
	v_add_u32_e32 v52, s6, v50
	v_and_b32_e32 v32, 16, v216
	v_and_b32_e32 v35, 0xfc, v82
	v_lshrrev_b32_e32 v37, 3, v84
	v_add_u32_e32 v54, s6, v52
	v_add_u32_e32 v36, v35, v32
	v_mad_u32_u24 v37, v37, s8, 0
	v_add_u32_e32 v89, v34, v44
	v_add_u32_e32 v56, s6, v54
	v_mul_u32_u24_e32 v34, 0x210, v32
	v_add_u16_e32 v32, v35, v32
	v_lshl_add_u32 v36, v36, 1, v37
	v_add_u32_e32 v58, s6, v56
	v_lshrrev_b16_e32 v32, 1, v32
	v_add_u32_e32 v98, 64, v36
	v_add_u32_e32 v99, 0x44, v36
	v_mbcnt_hi_u32_b32 v36, -1, v83
	v_add_u32_e32 v60, s6, v58
	v_lshl_add_u32 v32, v32, 2, v37
	v_and_b32_e32 v37, 64, v36
	s_lshl_b32 s6, s34, 3
	v_add_u32_e32 v37, 64, v37
	v_xor_b32_e32 v38, 32, v36
	v_add_u32_e32 v62, s6, v40
	v_cmp_lt_i32_e32 vcc, v38, v37
	v_add_u32_e32 v64, s6, v62
	v_add_u32_e32 v66, s6, v64
	v_cndmask_b32_e32 v38, v36, v38, vcc
	v_lshlrev_b32_e32 v100, 2, v38
	v_xor_b32_e32 v38, 16, v36
	v_add_u32_e32 v68, s6, v66
	v_cmp_lt_i32_e32 vcc, v38, v37
	v_add_u32_e32 v70, s6, v68
	v_add_u32_e32 v72, s6, v70
	v_cndmask_b32_e32 v36, v36, v38, vcc
	v_lshlrev_b32_e32 v101, 2, v36
	v_add_u32_e32 v74, s6, v72
	v_or_b32_e32 v36, 3, v82
	s_movk_i32 s6, 0x420
	v_add3_u32 v33, 0, v85, v79
	v_mul_u32_u24_e32 v35, 0x210, v35
	v_mul_u32_u24_e32 v36, 0x210, v36
	v_mad_u32_u24 v37, v81, s6, 0
	v_add_u32_e32 v91, 0x1080, v90
	v_ashrrev_i32_e32 v49, 31, v48
	v_add_u32_e32 v92, 0x2100, v90
	v_ashrrev_i32_e32 v51, 31, v50
	;; [unrolled: 2-line block ×7, first 2 shown]
	v_ashrrev_i32_e32 v63, 31, v62
	v_ashrrev_i32_e32 v65, 31, v64
	;; [unrolled: 1-line block ×7, first 2 shown]
	v_add3_u32 v102, v37, v35, v80
	v_add3_u32 v103, v37, v36, v80
	s_lshl_b32 s6, s72, 6
	v_mov_b32_e32 v141, 0xfeffffff
	v_lshlrev_b32_e32 v44, 2, v44
	v_add_u32_e32 v104, v33, v34
	s_mov_b32 s15, 0x3f200000
	s_mov_b32 s16, 0x3fb8aa3b
	;; [unrolled: 1-line block ×4, first 2 shown]
	v_mov_b32_e32 v105, 0x3ca908c9
	s_brev_b32 s19, -2
	v_add_u32_e32 v106, 0x8400, v32
	s_mov_b32 s20, 0xc1a00000
	s_mov_b32 s21, 0x5040100
	v_mov_b32_e32 v107, 0x7f800000
	v_mov_b32_e32 v140, v45
	;; [unrolled: 1-line block ×34, first 2 shown]
                                        ; implicit-def: $vgpr33
                                        ; implicit-def: $vgpr33
	;; [unrolled: 1-line block ×3, first 2 shown]
	s_ashr_i32 s7, s6, 31
	s_and_saveexec_b64 s[8:9], s[0:1]
	s_cbranch_execz .LBB32_441
.LBB32_440:
	v_lshl_add_u64 v[32:33], s[6:7], 1, v[46:47]
	global_load_dword v32, v[32:33], off
	s_waitcnt vmcnt(0)
	ds_write_b32 v89, v32 offset:33792
.LBB32_441:                             ; =>This Inner Loop Header: Depth=1
	s_or_b64 exec, exec, s[8:9]
	s_mul_hi_i32 s9, s6, s38
	s_mul_i32 s8, s6, s38
	s_lshl_b64 s[8:9], s[8:9], 2
	s_add_u32 s8, s13, s8
	s_addc_u32 s9, s14, s9
	v_lshl_add_u64 v[34:35], v[48:49], 2, s[8:9]
	v_lshl_add_u64 v[36:37], v[34:35], 0, v[44:45]
	;; [unrolled: 1-line block ×16, first 2 shown]
	global_load_dwordx4 v[32:35], v[32:33], off
	s_nop 0
	global_load_dwordx4 v[36:39], v[36:37], off
	s_nop 0
	;; [unrolled: 2-line block ×7, first 2 shown]
	global_load_dwordx4 v[162:165], v[162:163], off
	s_waitcnt vmcnt(7)
	ds_write_b128 v90, v[32:35]
	s_waitcnt vmcnt(6)
	ds_write_b128 v91, v[36:39]
	;; [unrolled: 2-line block ×8, first 2 shown]
	s_waitcnt lgkmcnt(0)
	s_barrier
	ds_read2_b64 v[32:35], v104 offset1:4
	v_add_u32_e32 v142, 0x4000, v104
	ds_read2_b64 v[36:39], v142 offset0:64 offset1:68
	s_waitcnt lgkmcnt(1)
	v_mfma_f32_16x16x16_f16 a[0:3], v[32:33], v[28:29], 0
                                        ; implicit-def: $vgpr143
	s_waitcnt lgkmcnt(0)
	v_mfma_f32_16x16x16_f16 a[4:7], v[36:37], v[28:29], 0
	v_mfma_f32_16x16x16_f16 a[0:3], v[34:35], v[30:31], a[0:3]
	ds_read2_b64 v[32:35], v104 offset0:8 offset1:12
	v_mfma_f32_16x16x16_f16 a[4:7], v[38:39], v[30:31], a[4:7]
	ds_read2_b64 v[36:39], v142 offset0:72 offset1:76
	s_waitcnt lgkmcnt(1)
	v_mfma_f32_16x16x16_f16 a[0:3], v[32:33], v[24:25], a[0:3]
	s_waitcnt lgkmcnt(0)
	v_mfma_f32_16x16x16_f16 a[4:7], v[36:37], v[24:25], a[4:7]
	v_mfma_f32_16x16x16_f16 a[0:3], v[34:35], v[26:27], a[0:3]
	ds_read2_b64 v[32:35], v104 offset0:16 offset1:20
	v_mfma_f32_16x16x16_f16 a[4:7], v[38:39], v[26:27], a[4:7]
	ds_read2_b64 v[36:39], v142 offset0:80 offset1:84
	s_waitcnt lgkmcnt(1)
	v_mfma_f32_16x16x16_f16 a[0:3], v[32:33], v[20:21], a[0:3]
	;; [unrolled: 8-line block ×6, first 2 shown]
	s_waitcnt lgkmcnt(0)
	v_mfma_f32_16x16x16_f16 a[4:7], v[36:37], v[4:5], a[4:7]
	v_mfma_f32_16x16x16_f16 a[0:3], v[34:35], v[6:7], a[0:3]
	ds_read2_b64 v[32:35], v104 offset0:56 offset1:60
	v_mfma_f32_16x16x16_f16 a[4:7], v[38:39], v[6:7], a[4:7]
	ds_read2_b64 v[36:39], v142 offset0:120 offset1:124
	s_waitcnt lgkmcnt(0)
	s_barrier
	v_mfma_f32_16x16x16_f16 a[0:3], v[32:33], v[0:1], a[0:3]
	v_mfma_f32_16x16x16_f16 a[8:11], v[36:37], v[0:1], a[4:7]
	;; [unrolled: 1-line block ×4, first 2 shown]
	s_nop 6
	v_accvgpr_read_b32 v142, a4
	v_cmp_nlt_f32_e64 s[8:9], |v142|, s15
	s_and_saveexec_b64 s[22:23], s[8:9]
	s_xor_b64 s[8:9], exec, s[22:23]
	s_cbranch_execz .LBB32_443
; %bb.442:                              ;   in Loop: Header=BB32_441 Depth=1
	v_add_f32_e64 v32, |v142|, |v142|
	v_mul_f32_e32 v33, 0x3fb8aa3b, v32
	v_rndne_f32_e32 v34, v33
	v_sub_f32_e32 v35, v33, v34
	v_fma_f32 v33, v32, s16, -v33
	v_fmac_f32_e32 v33, 0x32a5705f, v32
	v_add_f32_e32 v33, v35, v33
	v_cvt_i32_f32_e32 v34, v34
	v_exp_f32_e32 v33, v33
	v_cmp_ngt_f32_e32 vcc, s17, v32
	v_ldexp_f32 v33, v33, v34
	s_nop 0
	v_cndmask_b32_e32 v33, 0, v33, vcc
	v_cmp_nlt_f32_e32 vcc, s18, v32
	s_nop 1
	v_cndmask_b32_e32 v32, v107, v33, vcc
	v_add_f32_e32 v32, 1.0, v32
	v_rcp_f32_e32 v32, v32
	s_nop 0
	v_fma_f32 v143, v32, -2.0, 1.0
.LBB32_443:                             ;   in Loop: Header=BB32_441 Depth=1
	s_andn2_saveexec_b64 s[8:9], s[8:9]
; %bb.444:                              ;   in Loop: Header=BB32_441 Depth=1
	v_mul_f32_e32 v32, v142, v142
	v_fmamk_f32 v33, v32, 0xbbbac73d, v105
	v_fmaak_f32 v33, v32, v33, 0xbd5c1c4e
	v_fmaak_f32 v33, v32, v33, 0x3e088382
	;; [unrolled: 1-line block ×3, first 2 shown]
	v_mul_f32_e64 v33, |v142|, v33
	v_fma_f32 v143, v32, v33, |v142|
; %bb.445:                              ;   in Loop: Header=BB32_441 Depth=1
	s_or_b64 exec, exec, s[8:9]
	v_accvgpr_read_b32 v35, a7
	v_accvgpr_read_b32 v33, a5
	v_accvgpr_read_b32 v34, a6
	v_accvgpr_read_b32 v32, a4
	v_cmp_nlt_f32_e64 s[8:9], |v33|, s15
                                        ; implicit-def: $vgpr32
	s_and_saveexec_b64 s[22:23], s[8:9]
	s_xor_b64 s[8:9], exec, s[22:23]
	s_cbranch_execz .LBB32_447
; %bb.446:                              ;   in Loop: Header=BB32_441 Depth=1
	v_add_f32_e64 v32, |v33|, |v33|
	v_mul_f32_e32 v36, 0x3fb8aa3b, v32
	v_rndne_f32_e32 v37, v36
	v_sub_f32_e32 v38, v36, v37
	v_fma_f32 v36, v32, s16, -v36
	v_fmac_f32_e32 v36, 0x32a5705f, v32
	v_add_f32_e32 v36, v38, v36
	v_cvt_i32_f32_e32 v37, v37
	v_exp_f32_e32 v36, v36
	v_cmp_ngt_f32_e32 vcc, s17, v32
	v_ldexp_f32 v36, v36, v37
	s_nop 0
	v_cndmask_b32_e32 v36, 0, v36, vcc
	v_cmp_nlt_f32_e32 vcc, s18, v32
	s_nop 1
	v_cndmask_b32_e32 v32, v107, v36, vcc
	v_add_f32_e32 v32, 1.0, v32
	v_rcp_f32_e32 v32, v32
	s_nop 0
	v_fma_f32 v32, v32, -2.0, 1.0
.LBB32_447:                             ;   in Loop: Header=BB32_441 Depth=1
	s_andn2_saveexec_b64 s[8:9], s[8:9]
; %bb.448:                              ;   in Loop: Header=BB32_441 Depth=1
	v_mul_f32_e32 v32, v33, v33
	v_fmamk_f32 v36, v32, 0xbbbac73d, v105
	v_fmaak_f32 v36, v32, v36, 0xbd5c1c4e
	v_fmaak_f32 v36, v32, v36, 0x3e088382
	;; [unrolled: 1-line block ×3, first 2 shown]
	v_mul_f32_e64 v36, |v33|, v36
	v_fma_f32 v32, v32, v36, |v33|
; %bb.449:                              ;   in Loop: Header=BB32_441 Depth=1
	s_or_b64 exec, exec, s[8:9]
	v_cmp_nlt_f32_e64 s[8:9], |v34|, s15
                                        ; implicit-def: $vgpr144
	s_and_saveexec_b64 s[22:23], s[8:9]
	s_xor_b64 s[8:9], exec, s[22:23]
	s_cbranch_execz .LBB32_451
; %bb.450:                              ;   in Loop: Header=BB32_441 Depth=1
	v_add_f32_e64 v36, |v34|, |v34|
	v_mul_f32_e32 v37, 0x3fb8aa3b, v36
	v_rndne_f32_e32 v38, v37
	v_sub_f32_e32 v39, v37, v38
	v_fma_f32 v37, v36, s16, -v37
	v_fmac_f32_e32 v37, 0x32a5705f, v36
	v_add_f32_e32 v37, v39, v37
	v_cvt_i32_f32_e32 v38, v38
	v_exp_f32_e32 v37, v37
	v_cmp_ngt_f32_e32 vcc, s17, v36
	v_ldexp_f32 v37, v37, v38
	s_nop 0
	v_cndmask_b32_e32 v37, 0, v37, vcc
	v_cmp_nlt_f32_e32 vcc, s18, v36
	s_nop 1
	v_cndmask_b32_e32 v36, v107, v37, vcc
	v_add_f32_e32 v36, 1.0, v36
	v_rcp_f32_e32 v36, v36
	s_nop 0
	v_fma_f32 v144, v36, -2.0, 1.0
.LBB32_451:                             ;   in Loop: Header=BB32_441 Depth=1
	s_andn2_saveexec_b64 s[8:9], s[8:9]
; %bb.452:                              ;   in Loop: Header=BB32_441 Depth=1
	v_mul_f32_e32 v36, v34, v34
	v_fmamk_f32 v37, v36, 0xbbbac73d, v105
	v_fmaak_f32 v37, v36, v37, 0xbd5c1c4e
	v_fmaak_f32 v37, v36, v37, 0x3e088382
	;; [unrolled: 1-line block ×3, first 2 shown]
	v_mul_f32_e64 v37, |v34|, v37
	v_fma_f32 v144, v36, v37, |v34|
; %bb.453:                              ;   in Loop: Header=BB32_441 Depth=1
	s_or_b64 exec, exec, s[8:9]
	v_cmp_nlt_f32_e64 s[8:9], |v35|, s15
                                        ; implicit-def: $vgpr145
	s_and_saveexec_b64 s[22:23], s[8:9]
	s_xor_b64 s[8:9], exec, s[22:23]
	s_cbranch_execz .LBB32_455
; %bb.454:                              ;   in Loop: Header=BB32_441 Depth=1
	v_add_f32_e64 v36, |v35|, |v35|
	v_mul_f32_e32 v37, 0x3fb8aa3b, v36
	v_rndne_f32_e32 v38, v37
	v_sub_f32_e32 v39, v37, v38
	v_fma_f32 v37, v36, s16, -v37
	v_fmac_f32_e32 v37, 0x32a5705f, v36
	v_add_f32_e32 v37, v39, v37
	v_cvt_i32_f32_e32 v38, v38
	v_exp_f32_e32 v37, v37
	v_cmp_ngt_f32_e32 vcc, s17, v36
	v_ldexp_f32 v37, v37, v38
	s_nop 0
	v_cndmask_b32_e32 v37, 0, v37, vcc
	v_cmp_nlt_f32_e32 vcc, s18, v36
	s_nop 1
	v_cndmask_b32_e32 v36, v107, v37, vcc
	v_add_f32_e32 v36, 1.0, v36
	v_rcp_f32_e32 v36, v36
	s_nop 0
	v_fma_f32 v145, v36, -2.0, 1.0
.LBB32_455:                             ;   in Loop: Header=BB32_441 Depth=1
	s_andn2_saveexec_b64 s[8:9], s[8:9]
; %bb.456:                              ;   in Loop: Header=BB32_441 Depth=1
	v_mul_f32_e32 v36, v35, v35
	v_fmamk_f32 v37, v36, 0xbbbac73d, v105
	v_fmaak_f32 v37, v36, v37, 0xbd5c1c4e
	v_fmaak_f32 v37, v36, v37, 0x3e088382
	;; [unrolled: 1-line block ×3, first 2 shown]
	v_mul_f32_e64 v37, |v35|, v37
	v_fma_f32 v145, v36, v37, |v35|
; %bb.457:                              ;   in Loop: Header=BB32_441 Depth=1
	s_or_b64 exec, exec, s[8:9]
	v_accvgpr_read_b32 v39, a3
	v_accvgpr_read_b32 v36, a0
	v_accvgpr_read_b32 v38, a2
	v_accvgpr_read_b32 v37, a1
	v_cmp_nlt_f32_e64 s[8:9], |v36|, s15
                                        ; implicit-def: $vgpr146
	s_and_saveexec_b64 s[22:23], s[8:9]
	s_xor_b64 s[8:9], exec, s[22:23]
	s_cbranch_execz .LBB32_459
; %bb.458:                              ;   in Loop: Header=BB32_441 Depth=1
	v_add_f32_e64 v146, |v36|, |v36|
	v_mul_f32_e32 v147, 0x3fb8aa3b, v146
	v_rndne_f32_e32 v148, v147
	v_sub_f32_e32 v149, v147, v148
	v_fma_f32 v147, v146, s16, -v147
	v_fmac_f32_e32 v147, 0x32a5705f, v146
	v_add_f32_e32 v147, v149, v147
	v_cvt_i32_f32_e32 v148, v148
	v_exp_f32_e32 v147, v147
	v_cmp_ngt_f32_e32 vcc, s17, v146
	v_ldexp_f32 v147, v147, v148
	s_nop 0
	v_cndmask_b32_e32 v147, 0, v147, vcc
	v_cmp_nlt_f32_e32 vcc, s18, v146
	s_nop 1
	v_cndmask_b32_e32 v146, v107, v147, vcc
	v_add_f32_e32 v146, 1.0, v146
	v_rcp_f32_e32 v146, v146
	s_nop 0
	v_fma_f32 v146, v146, -2.0, 1.0
.LBB32_459:                             ;   in Loop: Header=BB32_441 Depth=1
	s_andn2_saveexec_b64 s[8:9], s[8:9]
; %bb.460:                              ;   in Loop: Header=BB32_441 Depth=1
	v_mul_f32_e32 v146, v36, v36
	v_fmamk_f32 v147, v146, 0xbbbac73d, v105
	v_fmaak_f32 v147, v146, v147, 0xbd5c1c4e
	v_fmaak_f32 v147, v146, v147, 0x3e088382
	;; [unrolled: 1-line block ×3, first 2 shown]
	v_mul_f32_e64 v147, |v36|, v147
	v_fma_f32 v146, v146, v147, |v36|
; %bb.461:                              ;   in Loop: Header=BB32_441 Depth=1
	s_or_b64 exec, exec, s[8:9]
	v_cmp_nlt_f32_e64 s[8:9], |v37|, s15
                                        ; implicit-def: $vgpr147
	s_and_saveexec_b64 s[22:23], s[8:9]
	s_xor_b64 s[8:9], exec, s[22:23]
	s_cbranch_execz .LBB32_463
; %bb.462:                              ;   in Loop: Header=BB32_441 Depth=1
	v_add_f32_e64 v147, |v37|, |v37|
	v_mul_f32_e32 v148, 0x3fb8aa3b, v147
	v_rndne_f32_e32 v149, v148
	v_sub_f32_e32 v150, v148, v149
	v_fma_f32 v148, v147, s16, -v148
	v_fmac_f32_e32 v148, 0x32a5705f, v147
	v_add_f32_e32 v148, v150, v148
	v_cvt_i32_f32_e32 v149, v149
	v_exp_f32_e32 v148, v148
	v_cmp_ngt_f32_e32 vcc, s17, v147
	v_ldexp_f32 v148, v148, v149
	s_nop 0
	v_cndmask_b32_e32 v148, 0, v148, vcc
	v_cmp_nlt_f32_e32 vcc, s18, v147
	s_nop 1
	v_cndmask_b32_e32 v147, v107, v148, vcc
	v_add_f32_e32 v147, 1.0, v147
	v_rcp_f32_e32 v147, v147
	s_nop 0
	v_fma_f32 v147, v147, -2.0, 1.0
.LBB32_463:                             ;   in Loop: Header=BB32_441 Depth=1
	s_andn2_saveexec_b64 s[8:9], s[8:9]
; %bb.464:                              ;   in Loop: Header=BB32_441 Depth=1
	v_mul_f32_e32 v147, v37, v37
	v_fmamk_f32 v148, v147, 0xbbbac73d, v105
	v_fmaak_f32 v148, v147, v148, 0xbd5c1c4e
	v_fmaak_f32 v148, v147, v148, 0x3e088382
	;; [unrolled: 1-line block ×3, first 2 shown]
	v_mul_f32_e64 v148, |v37|, v148
	v_fma_f32 v147, v147, v148, |v37|
; %bb.465:                              ;   in Loop: Header=BB32_441 Depth=1
	s_or_b64 exec, exec, s[8:9]
	v_cmp_nlt_f32_e64 s[8:9], |v38|, s15
                                        ; implicit-def: $vgpr148
	s_and_saveexec_b64 s[22:23], s[8:9]
	s_xor_b64 s[8:9], exec, s[22:23]
	s_cbranch_execz .LBB32_467
; %bb.466:                              ;   in Loop: Header=BB32_441 Depth=1
	v_add_f32_e64 v148, |v38|, |v38|
	v_mul_f32_e32 v149, 0x3fb8aa3b, v148
	v_rndne_f32_e32 v150, v149
	v_sub_f32_e32 v151, v149, v150
	v_fma_f32 v149, v148, s16, -v149
	v_fmac_f32_e32 v149, 0x32a5705f, v148
	v_add_f32_e32 v149, v151, v149
	v_cvt_i32_f32_e32 v150, v150
	v_exp_f32_e32 v149, v149
	v_cmp_ngt_f32_e32 vcc, s17, v148
	v_ldexp_f32 v149, v149, v150
	s_nop 0
	v_cndmask_b32_e32 v149, 0, v149, vcc
	v_cmp_nlt_f32_e32 vcc, s18, v148
	s_nop 1
	v_cndmask_b32_e32 v148, v107, v149, vcc
	v_add_f32_e32 v148, 1.0, v148
	v_rcp_f32_e32 v148, v148
	s_nop 0
	v_fma_f32 v148, v148, -2.0, 1.0
.LBB32_467:                             ;   in Loop: Header=BB32_441 Depth=1
	s_andn2_saveexec_b64 s[8:9], s[8:9]
; %bb.468:                              ;   in Loop: Header=BB32_441 Depth=1
	v_mul_f32_e32 v148, v38, v38
	v_fmamk_f32 v149, v148, 0xbbbac73d, v105
	v_fmaak_f32 v149, v148, v149, 0xbd5c1c4e
	v_fmaak_f32 v149, v148, v149, 0x3e088382
	;; [unrolled: 1-line block ×3, first 2 shown]
	v_mul_f32_e64 v149, |v38|, v149
	v_fma_f32 v148, v148, v149, |v38|
; %bb.469:                              ;   in Loop: Header=BB32_441 Depth=1
	s_or_b64 exec, exec, s[8:9]
	v_cmp_nlt_f32_e64 s[8:9], |v39|, s15
                                        ; implicit-def: $vgpr149
	s_and_saveexec_b64 s[22:23], s[8:9]
	s_xor_b64 s[8:9], exec, s[22:23]
	s_cbranch_execz .LBB32_471
; %bb.470:                              ;   in Loop: Header=BB32_441 Depth=1
	v_add_f32_e64 v149, |v39|, |v39|
	v_mul_f32_e32 v150, 0x3fb8aa3b, v149
	v_rndne_f32_e32 v151, v150
	v_sub_f32_e32 v152, v150, v151
	v_fma_f32 v150, v149, s16, -v150
	v_fmac_f32_e32 v150, 0x32a5705f, v149
	v_add_f32_e32 v150, v152, v150
	v_cvt_i32_f32_e32 v151, v151
	v_exp_f32_e32 v150, v150
	v_cmp_ngt_f32_e32 vcc, s17, v149
	v_ldexp_f32 v150, v150, v151
	s_nop 0
	v_cndmask_b32_e32 v150, 0, v150, vcc
	v_cmp_nlt_f32_e32 vcc, s18, v149
	s_nop 1
	v_cndmask_b32_e32 v149, v107, v150, vcc
	v_add_f32_e32 v149, 1.0, v149
	v_rcp_f32_e32 v149, v149
	s_nop 0
	v_fma_f32 v149, v149, -2.0, 1.0
.LBB32_471:                             ;   in Loop: Header=BB32_441 Depth=1
	s_andn2_saveexec_b64 s[8:9], s[8:9]
; %bb.472:                              ;   in Loop: Header=BB32_441 Depth=1
	v_mul_f32_e32 v149, v39, v39
	v_fmamk_f32 v150, v149, 0xbbbac73d, v105
	v_fmaak_f32 v150, v149, v150, 0xbd5c1c4e
	v_fmaak_f32 v150, v149, v150, 0x3e088382
	;; [unrolled: 1-line block ×3, first 2 shown]
	v_mul_f32_e64 v150, |v39|, v150
	v_fma_f32 v149, v149, v150, |v39|
; %bb.473:                              ;   in Loop: Header=BB32_441 Depth=1
	s_or_b64 exec, exec, s[8:9]
	v_bfi_b32 v142, s19, v143, v142
	v_bfi_b32 v143, s19, v32, v33
	ds_read2_b32 v[32:33], v106 offset1:1
	v_bfi_b32 v35, s19, v145, v35
	v_bfi_b32 v34, s19, v144, v34
	ds_read_b32 v144, v98 offset:33792
	ds_read_b32 v145, v99 offset:33792
	v_bfi_b32 v36, s19, v146, v36
	s_waitcnt lgkmcnt(2)
	v_fma_mix_f32 v142, s3, v142, v32 op_sel_hi:[0,0,1]
	v_fma_mix_f32 v32, s3, v143, v32 op_sel:[0,0,1] op_sel_hi:[0,0,1]
	v_bfi_b32 v37, s19, v147, v37
	v_bfi_b32 v39, s19, v149, v39
	v_fma_mix_f32 v34, s3, v34, v33 op_sel_hi:[0,0,1]
	v_fma_mix_f32 v33, s3, v35, v33 op_sel:[0,0,1] op_sel_hi:[0,0,1]
	s_waitcnt lgkmcnt(1)
	v_fma_mix_f32 v143, s3, v36, v144 op_sel_hi:[0,0,1]
	v_add_f32_e32 v35, 0x40051340, v142
	v_add_f32_e32 v36, 0x40051340, v32
	v_bfi_b32 v38, s19, v148, v38
	v_fma_mix_f32 v37, s3, v37, v144 op_sel:[0,0,1] op_sel_hi:[0,0,1]
	s_waitcnt lgkmcnt(0)
	v_fma_mix_f32 v178, s3, v39, v145 op_sel:[0,0,1] op_sel_hi:[0,0,1]
	v_max3_f32 v35, v141, v35, v36
	v_add_f32_e32 v36, 0x40051340, v34
	v_add_f32_e32 v39, 0x40051340, v33
	v_fma_mix_f32 v38, s3, v38, v145 op_sel_hi:[0,0,1]
	v_max3_f32 v35, v35, v36, v39
	v_add_f32_e32 v36, 0x40051340, v143
	v_add_f32_e32 v39, 0x40051340, v37
	v_max3_f32 v35, v35, v36, v39
	v_add_f32_e32 v36, 0x40051340, v38
	v_add_f32_e32 v39, 0x40051340, v178
	v_max3_f32 v35, v35, v36, v39
	ds_bpermute_b32 v36, v100, v35
	s_mul_hi_i32 s9, s6, s34
	s_mul_i32 s8, s6, s34
	s_lshl_b64 s[8:9], s[8:9], 2
	s_add_u32 s8, s10, s8
	s_waitcnt lgkmcnt(0)
	v_max_f32_e32 v36, v36, v36
	v_max_f32_e32 v35, v35, v36
	ds_bpermute_b32 v36, v101, v35
	s_addc_u32 s9, s11, s9
	s_add_i32 s72, s72, 1
	s_add_i32 s6, s6, 64
	s_waitcnt lgkmcnt(0)
	v_max_f32_e32 v36, v36, v36
	v_max_f32_e32 v36, v35, v36
	v_sub_f32_e32 v35, v142, v36
	v_mul_f32_e32 v39, 0x3fb8aa3b, v35
	v_fma_f32 v142, v35, s16, -v39
	v_rndne_f32_e32 v144, v39
	v_fmac_f32_e32 v142, 0x32a5705f, v35
	v_sub_f32_e32 v39, v39, v144
	v_add_f32_e32 v39, v39, v142
	v_exp_f32_e32 v39, v39
	v_cvt_i32_f32_e32 v142, v144
	v_cmp_ngt_f32_e32 vcc, s17, v35
	v_sub_f32_e32 v34, v34, v36
	v_sub_f32_e32 v37, v37, v36
	v_ldexp_f32 v39, v39, v142
	v_sub_f32_e32 v142, v32, v36
	v_mul_f32_e32 v32, 0x3fb8aa3b, v142
	v_fma_f32 v144, v142, s16, -v32
	v_rndne_f32_e32 v145, v32
	v_fmac_f32_e32 v144, 0x32a5705f, v142
	v_sub_f32_e32 v32, v32, v145
	v_add_f32_e32 v32, v32, v144
	v_exp_f32_e32 v144, v32
	v_cvt_i32_f32_e32 v145, v145
	v_cndmask_b32_e32 v32, 0, v39, vcc
	v_mul_f32_e32 v39, 0x3fb8aa3b, v34
	v_cmp_nlt_f32_e32 vcc, s18, v35
	v_ldexp_f32 v35, v144, v145
	v_fma_f32 v144, v34, s16, -v39
	v_rndne_f32_e32 v145, v39
	v_fmac_f32_e32 v144, 0x32a5705f, v34
	v_sub_f32_e32 v39, v39, v145
	v_add_f32_e32 v39, v39, v144
	v_exp_f32_e32 v39, v39
	v_cvt_i32_f32_e32 v144, v145
	v_cndmask_b32_e32 v32, v107, v32, vcc
	v_cmp_ngt_f32_e32 vcc, s17, v142
	v_sub_f32_e32 v179, v38, v36
	v_ldexp_f32 v39, v39, v144
	v_sub_f32_e32 v144, v33, v36
	v_mul_f32_e32 v33, 0x3fb8aa3b, v144
	v_fma_f32 v145, v144, s16, -v33
	v_rndne_f32_e32 v146, v33
	v_cndmask_b32_e32 v35, 0, v35, vcc
	v_cmp_nlt_f32_e32 vcc, s18, v142
	v_fmac_f32_e32 v145, 0x32a5705f, v144
	v_sub_f32_e32 v33, v33, v146
	v_cndmask_b32_e32 v35, v107, v35, vcc
	v_cmp_ngt_f32_e32 vcc, s17, v34
	v_add_f32_e32 v33, v33, v145
	v_exp_f32_e32 v145, v33
	v_cndmask_b32_e32 v39, 0, v39, vcc
	v_cvt_i32_f32_e32 v146, v146
	v_cmp_nlt_f32_e32 vcc, s18, v34
	v_add_f32_e32 v142, v32, v35
	v_mul_f32_e32 v38, 0x3fb8aa3b, v179
	v_cndmask_b32_e32 v33, v107, v39, vcc
	v_add_f32_e32 v34, v33, v142
	v_sub_f32_e32 v142, v143, v36
	v_mul_f32_e32 v143, 0x3fb8aa3b, v142
	v_ldexp_f32 v39, v145, v146
	v_fma_f32 v145, v142, s16, -v143
	v_rndne_f32_e32 v146, v143
	v_fmac_f32_e32 v145, 0x32a5705f, v142
	v_sub_f32_e32 v143, v143, v146
	v_add_f32_e32 v143, v143, v145
	v_exp_f32_e32 v145, v143
	v_cvt_i32_f32_e32 v146, v146
	v_cmp_ngt_f32_e32 vcc, s17, v144
	v_sub_f32_e32 v141, v141, v36
	v_cvt_pk_f16_f32 v32, v32, v35
	v_cndmask_b32_e32 v39, 0, v39, vcc
	v_cmp_nlt_f32_e32 vcc, s18, v144
	v_mul_f32_e32 v144, 0x3fb8aa3b, v37
	s_nop 0
	v_cndmask_b32_e32 v143, v107, v39, vcc
	v_add_f32_e32 v39, v143, v34
	v_ldexp_f32 v34, v145, v146
	v_fma_f32 v145, v37, s16, -v144
	v_rndne_f32_e32 v146, v144
	v_fmac_f32_e32 v145, 0x32a5705f, v37
	v_sub_f32_e32 v144, v144, v146
	v_add_f32_e32 v144, v144, v145
	v_exp_f32_e32 v144, v144
	v_cvt_i32_f32_e32 v145, v146
	v_cmp_ngt_f32_e32 vcc, s17, v142
	v_lshl_add_u64 v[146:147], v[64:65], 2, s[8:9]
	v_lshl_add_u64 v[154:155], v[146:147], 0, v[44:45]
	v_cndmask_b32_e32 v34, 0, v34, vcc
	v_cmp_nlt_f32_e32 vcc, s18, v142
	v_ldexp_f32 v142, v144, v145
	v_lshl_add_u64 v[146:147], v[66:67], 2, s[8:9]
	v_cndmask_b32_e32 v34, v107, v34, vcc
	v_cmp_ngt_f32_e32 vcc, s17, v37
	v_add_f32_e32 v39, v34, v39
	v_rndne_f32_e32 v144, v38
	v_cndmask_b32_e32 v142, 0, v142, vcc
	v_cmp_nlt_f32_e32 vcc, s18, v37
	v_lshl_add_u64 v[158:159], v[146:147], 0, v[44:45]
	v_lshl_add_u64 v[146:147], v[68:69], 2, s[8:9]
	v_cndmask_b32_e32 v142, v107, v142, vcc
	v_add_f32_e32 v37, v142, v39
	v_fma_f32 v39, v179, s16, -v38
	v_fmac_f32_e32 v39, 0x32a5705f, v179
	v_sub_f32_e32 v38, v38, v144
	v_lshl_add_u64 v[162:163], v[146:147], 0, v[44:45]
	v_lshl_add_u64 v[146:147], v[70:71], 2, s[8:9]
	v_add_f32_e32 v38, v38, v39
	v_lshl_add_u64 v[166:167], v[146:147], 0, v[44:45]
	v_lshl_add_u64 v[146:147], v[72:73], 2, s[8:9]
	v_exp_f32_e32 v180, v38
	v_lshl_add_u64 v[38:39], v[40:41], 2, s[8:9]
	v_lshl_add_u64 v[170:171], v[146:147], 0, v[44:45]
	;; [unrolled: 1-line block ×3, first 2 shown]
	v_cvt_i32_f32_e32 v181, v144
	v_lshl_add_u64 v[38:39], v[38:39], 0, v[44:45]
	v_lshl_add_u64 v[144:145], v[62:63], 2, s[8:9]
	;; [unrolled: 1-line block ×4, first 2 shown]
	global_load_dwordx4 v[146:149], v[38:39], off
	global_load_dwordx4 v[150:153], v[144:145], off
	s_nop 0
	global_load_dwordx4 v[154:157], v[154:155], off
	s_nop 0
	;; [unrolled: 2-line block ×6, first 2 shown]
	global_load_dwordx4 v[174:177], v[174:175], off
	v_ldexp_f32 v38, v180, v181
	v_cmp_ngt_f32_e32 vcc, s17, v179
	s_waitcnt vmcnt(7)
	ds_write_b128 v90, v[146:149]
	s_waitcnt vmcnt(6)
	ds_write_b128 v91, v[150:153]
	;; [unrolled: 2-line block ×8, first 2 shown]
	v_cndmask_b32_e32 v38, 0, v38, vcc
	v_cmp_nlt_f32_e32 vcc, s18, v179
	s_waitcnt lgkmcnt(0)
	s_barrier
	v_cndmask_b32_e32 v144, v107, v38, vcc
	v_sub_f32_e32 v38, v178, v36
	v_mul_f32_e32 v39, 0x3fb8aa3b, v38
	v_fma_f32 v145, v38, s16, -v39
	v_rndne_f32_e32 v178, v39
	v_fmac_f32_e32 v145, 0x32a5705f, v38
	v_sub_f32_e32 v39, v39, v178
	v_add_f32_e32 v39, v39, v145
	v_cvt_i32_f32_e32 v145, v178
	v_mul_f32_e32 v178, 0x3fb8aa3b, v141
	v_fma_f32 v179, v141, s16, -v178
	v_rndne_f32_e32 v180, v178
	v_fmac_f32_e32 v179, 0x32a5705f, v141
	v_sub_f32_e32 v178, v178, v180
	v_exp_f32_e32 v39, v39
	v_add_f32_e32 v178, v178, v179
	v_exp_f32_e32 v178, v178
	v_cvt_i32_f32_e32 v179, v180
	v_ldexp_f32 v39, v39, v145
	v_cmp_ngt_f32_e32 vcc, s17, v38
	v_add_f32_e32 v37, v144, v37
	v_ldexp_f32 v145, v178, v179
	v_cndmask_b32_e32 v39, 0, v39, vcc
	v_cmp_ngt_f32_e32 vcc, s17, v141
	v_cvt_pk_f16_f32 v33, v33, v143
	s_nop 0
	v_cndmask_b32_e32 v145, 0, v145, vcc
	v_cmp_nlt_f32_e32 vcc, s18, v141
	v_cvt_pk_f16_f32 v34, v34, v142
	s_nop 0
	v_cndmask_b32_e32 v145, v107, v145, vcc
	v_cmp_le_f32_e32 vcc, s20, v141
	s_nop 1
	v_cndmask_b32_e32 v141, 0, v145, vcc
	v_cvt_f16_f32_e32 v145, v141
	v_cmp_nlt_f32_e32 vcc, s18, v38
	v_mul_u32_u24_e32 v38, 0x10001, v145
	s_nop 0
	v_cndmask_b32_e32 v178, v107, v39, vcc
	v_pk_mul_f16 v139, v139, v38
	v_pk_mul_f16 v138, v138, v38
	;; [unrolled: 1-line block ×32, first 2 shown]
	ds_read_u16 v108, v102 offset:1056
	ds_read_u16 v145, v102 offset:1088
	;; [unrolled: 1-line block ×8, first 2 shown]
	ds_read_u16 v109, v103
	ds_read_u16 v149, v103 offset:32
	ds_read_u16 v151, v103 offset:64
	;; [unrolled: 1-line block ×7, first 2 shown]
	v_add_f32_e32 v37, v178, v37
	s_waitcnt lgkmcnt(7)
	v_perm_b32 v109, v109, v108, s21
	ds_read_u16 v108, v102
	ds_read_u16 v159, v102 offset:32
	ds_read_u16 v160, v102 offset:64
	;; [unrolled: 1-line block ×15, first 2 shown]
	v_fmac_f32_e32 v37, v140, v141
	v_cvt_f32_f16_e32 v140, v139
	v_cvt_f32_f16_sdwa v139, v139 dst_sel:DWORD dst_unused:UNUSED_PAD src0_sel:WORD_1
	v_cvt_f32_f16_e32 v141, v138
	v_cvt_f32_f16_sdwa v138, v138 dst_sel:DWORD dst_unused:UNUSED_PAD src0_sel:WORD_1
	s_waitcnt lgkmcnt(7)
	v_perm_b32 v108, v166, v108, s21
	v_accvgpr_write_b32 a0, v140
	v_accvgpr_write_b32 a1, v139
	;; [unrolled: 1-line block ×4, first 2 shown]
	v_cvt_f32_f16_e32 v142, v137
	v_cvt_f32_f16_sdwa v137, v137 dst_sel:DWORD dst_unused:UNUSED_PAD src0_sel:WORD_1
	v_mfma_f32_16x16x16_f16 a[0:3], v[108:109], v[32:33], a[0:3]
	v_cvt_f32_f16_e32 v215, v120
	v_cvt_f32_f16_sdwa v120, v120 dst_sel:DWORD dst_unused:UNUSED_PAD src0_sel:WORD_1
	v_cmp_lt_i32_e32 vcc, s72, v88
	s_and_b64 vcc, exec, vcc
	s_nop 3
	v_accvgpr_read_b32 v35, a0
	v_accvgpr_read_b32 v108, a1
	v_cvt_f16_f32_e32 v35, v35
	v_cvt_f16_f32_e32 v108, v108
	v_accvgpr_read_b32 v109, a2
	v_cvt_f16_f32_e32 v109, v109
	v_accvgpr_read_b32 v138, a3
	v_cvt_f16_f32_e32 v138, v138
	v_cvt_f32_f16_e32 v139, v35
	v_cvt_f32_f16_e32 v140, v108
	ds_read_u16 v35, v102 offset:17952
	ds_read_u16 v143, v102 offset:17984
	;; [unrolled: 1-line block ×16, first 2 shown]
	v_cvt_f32_f16_e32 v141, v109
	s_waitcnt lgkmcnt(7)
	v_perm_b32 v109, v108, v35, s21
	ds_read_u16 v35, v102 offset:16896
	ds_read_u16 v187, v102 offset:16928
	ds_read_u16 v188, v102 offset:16960
	ds_read_u16 v189, v102 offset:16992
	ds_read_u16 v190, v102 offset:17024
	ds_read_u16 v191, v102 offset:17056
	ds_read_u16 v192, v102 offset:17088
	ds_read_u16 v193, v102 offset:17120
	ds_read_u16 v108, v102 offset:17424
	ds_read_u16 v194, v102 offset:17456
	ds_read_u16 v195, v102 offset:17488
	ds_read_u16 v196, v102 offset:17520
	ds_read_u16 v197, v102 offset:17552
	ds_read_u16 v198, v102 offset:17584
	ds_read_u16 v199, v102 offset:17616
	ds_read_u16 v200, v102 offset:17648
	v_cvt_f32_f16_e32 v138, v138
	s_waitcnt lgkmcnt(7)
	v_perm_b32 v108, v108, v35, s21
	v_cvt_pk_f16_f32 v35, v144, v178
	v_accvgpr_write_b32 a0, v139
	v_accvgpr_write_b32 a1, v140
	;; [unrolled: 1-line block ×4, first 2 shown]
	v_cvt_f32_f16_e32 v144, v136
	v_cvt_f32_f16_sdwa v136, v136 dst_sel:DWORD dst_unused:UNUSED_PAD src0_sel:WORD_1
	v_mfma_f32_16x16x16_f16 a[0:3], v[108:109], v[34:35], a[0:3]
	v_perm_b32 v109, v149, v145, s21
	v_perm_b32 v108, v167, v159, s21
	v_cvt_f32_f16_e32 v145, v134
	v_cvt_f32_f16_sdwa v134, v134 dst_sel:DWORD dst_unused:UNUSED_PAD src0_sel:WORD_1
	v_cvt_f32_f16_e32 v149, v132
	v_cvt_f32_f16_sdwa v132, v132 dst_sel:DWORD dst_unused:UNUSED_PAD src0_sel:WORD_1
	s_nop 1
	v_accvgpr_read_b32 v138, a0
	v_accvgpr_read_b32 v139, a1
	v_accvgpr_read_b32 v140, a2
	v_accvgpr_read_b32 v141, a3
	v_accvgpr_write_b32 a0, v142
	v_accvgpr_write_b32 a1, v137
	;; [unrolled: 1-line block ×4, first 2 shown]
	v_cvt_pk_f16_f32 v139, v138, v139
	v_cvt_pk_f16_f32 v138, v140, v141
	v_mfma_f32_16x16x16_f16 a[0:3], v[108:109], v[32:33], a[0:3]
	s_nop 7
	v_accvgpr_read_b32 v108, a0
	v_accvgpr_read_b32 v109, a1
	v_accvgpr_read_b32 v136, a2
	v_accvgpr_read_b32 v137, a3
	v_cvt_f16_f32_e32 v108, v108
	v_cvt_f16_f32_e32 v109, v109
	;; [unrolled: 1-line block ×4, first 2 shown]
	v_cvt_f32_f16_e32 v142, v108
	v_cvt_f32_f16_e32 v144, v109
	;; [unrolled: 1-line block ×4, first 2 shown]
	v_perm_b32 v109, v180, v143, s21
	s_waitcnt lgkmcnt(6)
	v_perm_b32 v108, v194, v187, s21
	v_accvgpr_write_b32 a0, v142
	v_accvgpr_write_b32 a1, v144
	;; [unrolled: 1-line block ×4, first 2 shown]
	v_cvt_f32_f16_e32 v144, v135
	v_cvt_f32_f16_sdwa v135, v135 dst_sel:DWORD dst_unused:UNUSED_PAD src0_sel:WORD_1
	v_mfma_f32_16x16x16_f16 a[0:3], v[108:109], v[34:35], a[0:3]
	v_perm_b32 v109, v151, v146, s21
	v_perm_b32 v108, v168, v160, s21
	v_cvt_f32_f16_e32 v146, v133
	v_cvt_f32_f16_sdwa v133, v133 dst_sel:DWORD dst_unused:UNUSED_PAD src0_sel:WORD_1
	v_cvt_f32_f16_e32 v151, v130
	v_cvt_f32_f16_sdwa v130, v130 dst_sel:DWORD dst_unused:UNUSED_PAD src0_sel:WORD_1
	s_nop 1
	v_accvgpr_read_b32 v136, a0
	v_accvgpr_read_b32 v137, a1
	;; [unrolled: 1-line block ×4, first 2 shown]
	v_accvgpr_write_b32 a0, v144
	v_accvgpr_write_b32 a1, v135
	;; [unrolled: 1-line block ×4, first 2 shown]
	v_cvt_pk_f16_f32 v137, v136, v137
	v_cvt_pk_f16_f32 v136, v142, v143
	v_mfma_f32_16x16x16_f16 a[0:3], v[108:109], v[32:33], a[0:3]
	s_nop 7
	v_accvgpr_read_b32 v108, a0
	v_accvgpr_read_b32 v109, a1
	v_accvgpr_read_b32 v134, a2
	v_accvgpr_read_b32 v135, a3
	v_cvt_f16_f32_e32 v108, v108
	v_cvt_f16_f32_e32 v109, v109
	v_cvt_f16_f32_e32 v134, v134
	v_cvt_f16_f32_e32 v135, v135
	v_cvt_f32_f16_e32 v144, v108
	v_cvt_f32_f16_e32 v145, v109
	v_cvt_f32_f16_e32 v134, v134
	v_cvt_f32_f16_e32 v135, v135
	v_perm_b32 v109, v181, v166, s21
	s_waitcnt lgkmcnt(5)
	v_perm_b32 v108, v195, v188, s21
	v_accvgpr_write_b32 a0, v144
	v_accvgpr_write_b32 a1, v145
	v_accvgpr_write_b32 a2, v134
	v_accvgpr_write_b32 a3, v135
	s_nop 1
	v_mfma_f32_16x16x16_f16 a[0:3], v[108:109], v[34:35], a[0:3]
	v_perm_b32 v109, v153, v147, s21
	v_perm_b32 v108, v169, v161, s21
	v_cvt_f32_f16_e32 v153, v128
	v_cvt_f32_f16_sdwa v128, v128 dst_sel:DWORD dst_unused:UNUSED_PAD src0_sel:WORD_1
	s_nop 3
	v_accvgpr_read_b32 v134, a0
	v_accvgpr_read_b32 v135, a1
	v_accvgpr_read_b32 v144, a2
	v_accvgpr_read_b32 v145, a3
	v_accvgpr_write_b32 a0, v146
	v_accvgpr_write_b32 a1, v133
	v_accvgpr_write_b32 a2, v149
	v_accvgpr_write_b32 a3, v132
	v_cvt_f32_f16_e32 v149, v131
	v_cvt_f32_f16_sdwa v131, v131 dst_sel:DWORD dst_unused:UNUSED_PAD src0_sel:WORD_1
	v_mfma_f32_16x16x16_f16 a[0:3], v[108:109], v[32:33], a[0:3]
	v_cvt_pk_f16_f32 v135, v134, v135
	v_cvt_pk_f16_f32 v134, v144, v145
	s_nop 5
	v_accvgpr_read_b32 v108, a0
	v_accvgpr_read_b32 v109, a1
	v_accvgpr_read_b32 v132, a2
	v_accvgpr_read_b32 v133, a3
	v_cvt_f16_f32_e32 v108, v108
	v_cvt_f16_f32_e32 v109, v109
	v_cvt_f16_f32_e32 v132, v132
	v_cvt_f16_f32_e32 v133, v133
	v_cvt_f32_f16_e32 v146, v108
	v_cvt_f32_f16_e32 v147, v109
	v_cvt_f32_f16_e32 v132, v132
	v_cvt_f32_f16_e32 v133, v133
	v_perm_b32 v109, v182, v174, s21
	s_waitcnt lgkmcnt(4)
	v_perm_b32 v108, v196, v189, s21
	v_accvgpr_write_b32 a0, v146
	v_accvgpr_write_b32 a1, v147
	v_accvgpr_write_b32 a2, v132
	v_accvgpr_write_b32 a3, v133
	s_nop 1
	v_mfma_f32_16x16x16_f16 a[0:3], v[108:109], v[34:35], a[0:3]
	v_perm_b32 v109, v155, v148, s21
	v_perm_b32 v108, v170, v162, s21
	v_cvt_f32_f16_e32 v155, v126
	v_cvt_f32_f16_sdwa v126, v126 dst_sel:DWORD dst_unused:UNUSED_PAD src0_sel:WORD_1
	s_nop 3
	v_accvgpr_read_b32 v132, a0
	v_accvgpr_read_b32 v133, a1
	v_accvgpr_read_b32 v146, a2
	v_accvgpr_read_b32 v147, a3
	v_accvgpr_write_b32 a0, v149
	v_accvgpr_write_b32 a1, v131
	v_accvgpr_write_b32 a2, v151
	v_accvgpr_write_b32 a3, v130
	v_cvt_f32_f16_e32 v151, v129
	v_cvt_f32_f16_sdwa v129, v129 dst_sel:DWORD dst_unused:UNUSED_PAD src0_sel:WORD_1
	v_mfma_f32_16x16x16_f16 a[0:3], v[108:109], v[32:33], a[0:3]
	v_cvt_pk_f16_f32 v133, v132, v133
	v_cvt_pk_f16_f32 v132, v146, v147
	;; [unrolled: 40-line block ×4, first 2 shown]
	s_nop 5
	v_accvgpr_read_b32 v108, a0
	v_accvgpr_read_b32 v109, a1
	v_accvgpr_read_b32 v126, a2
	v_accvgpr_read_b32 v127, a3
	v_cvt_f16_f32_e32 v108, v108
	v_cvt_f16_f32_e32 v109, v109
	v_cvt_f16_f32_e32 v126, v126
	v_cvt_f16_f32_e32 v127, v127
	v_cvt_f32_f16_e32 v152, v108
	v_cvt_f32_f16_e32 v153, v109
	;; [unrolled: 1-line block ×4, first 2 shown]
	v_perm_b32 v109, v185, v177, s21
	s_waitcnt lgkmcnt(1)
	v_perm_b32 v108, v199, v192, s21
	v_accvgpr_write_b32 a0, v152
	v_accvgpr_write_b32 a1, v153
	;; [unrolled: 1-line block ×4, first 2 shown]
	s_nop 1
	v_mfma_f32_16x16x16_f16 a[0:3], v[108:109], v[34:35], a[0:3]
	v_perm_b32 v109, v158, v154, s21
	v_perm_b32 v108, v173, v165, s21
	s_nop 5
	v_accvgpr_read_b32 v126, a0
	v_accvgpr_read_b32 v127, a1
	;; [unrolled: 1-line block ×4, first 2 shown]
	v_accvgpr_write_b32 a0, v155
	v_accvgpr_write_b32 a1, v125
	;; [unrolled: 1-line block ×4, first 2 shown]
	v_cvt_f32_f16_e32 v156, v123
	v_cvt_f32_f16_sdwa v123, v123 dst_sel:DWORD dst_unused:UNUSED_PAD src0_sel:WORD_1
	v_mfma_f32_16x16x16_f16 a[0:3], v[108:109], v[32:33], a[0:3]
	v_cvt_pk_f16_f32 v127, v126, v127
	v_cvt_pk_f16_f32 v126, v152, v153
	s_nop 5
	v_accvgpr_read_b32 v108, a0
	v_accvgpr_read_b32 v109, a1
	;; [unrolled: 1-line block ×4, first 2 shown]
	v_cvt_f16_f32_e32 v108, v108
	v_cvt_f16_f32_e32 v109, v109
	;; [unrolled: 1-line block ×4, first 2 shown]
	v_cvt_f32_f16_e32 v154, v108
	v_cvt_f32_f16_e32 v155, v109
	;; [unrolled: 1-line block ×4, first 2 shown]
	v_perm_b32 v109, v186, v179, s21
	s_waitcnt lgkmcnt(0)
	v_perm_b32 v108, v200, v193, s21
	v_accvgpr_write_b32 a0, v154
	v_accvgpr_write_b32 a1, v155
	;; [unrolled: 1-line block ×4, first 2 shown]
	s_nop 1
	v_mfma_f32_16x16x16_f16 a[0:3], v[108:109], v[34:35], a[0:3]
	ds_read_u16 v108, v102 offset:1312
	ds_read_u16 v158, v102 offset:1344
	;; [unrolled: 1-line block ×16, first 2 shown]
	s_waitcnt lgkmcnt(7)
	v_perm_b32 v109, v109, v108, s21
	ds_read_u16 v108, v102 offset:256
	ds_read_u16 v172, v102 offset:288
	;; [unrolled: 1-line block ×16, first 2 shown]
	s_waitcnt lgkmcnt(7)
	v_perm_b32 v108, v179, v108, s21
	v_accvgpr_read_b32 v124, a0
	v_accvgpr_read_b32 v125, a1
	;; [unrolled: 1-line block ×4, first 2 shown]
	v_accvgpr_write_b32 a0, v156
	v_accvgpr_write_b32 a1, v123
	;; [unrolled: 1-line block ×4, first 2 shown]
	v_cvt_pk_f16_f32 v125, v124, v125
	v_cvt_pk_f16_f32 v124, v154, v155
	v_mfma_f32_16x16x16_f16 a[0:3], v[108:109], v[32:33], a[0:3]
	s_nop 7
	v_accvgpr_read_b32 v108, a0
	v_accvgpr_read_b32 v109, a1
	v_cvt_f16_f32_e32 v108, v108
	v_cvt_f16_f32_e32 v109, v109
	v_accvgpr_read_b32 v122, a2
	v_accvgpr_read_b32 v123, a3
	v_cvt_f16_f32_e32 v122, v122
	v_cvt_f16_f32_e32 v123, v123
	v_cvt_f32_f16_e32 v156, v108
	v_cvt_f32_f16_e32 v157, v109
	ds_read_u16 v108, v102 offset:18208
	ds_read_u16 v179, v102 offset:18240
	;; [unrolled: 1-line block ×16, first 2 shown]
	s_waitcnt lgkmcnt(7)
	v_perm_b32 v109, v109, v108, s21
	ds_read_u16 v108, v102 offset:17152
	ds_read_u16 v200, v102 offset:17184
	;; [unrolled: 1-line block ×16, first 2 shown]
	v_cvt_f32_f16_e32 v122, v122
	v_cvt_f32_f16_e32 v123, v123
	s_waitcnt lgkmcnt(7)
	v_perm_b32 v108, v207, v108, s21
	v_accvgpr_write_b32 a0, v156
	v_accvgpr_write_b32 a1, v157
	;; [unrolled: 1-line block ×4, first 2 shown]
	v_cvt_f32_f16_e32 v207, v121
	v_cvt_f32_f16_sdwa v121, v121 dst_sel:DWORD dst_unused:UNUSED_PAD src0_sel:WORD_1
	v_mfma_f32_16x16x16_f16 a[0:3], v[108:109], v[34:35], a[0:3]
	v_perm_b32 v109, v165, v158, s21
	v_perm_b32 v108, v180, v172, s21
	v_cvt_f32_f16_e32 v172, v119
	v_cvt_f32_f16_sdwa v119, v119 dst_sel:DWORD dst_unused:UNUSED_PAD src0_sel:WORD_1
	s_waitcnt lgkmcnt(0)
	s_barrier
	s_nop 1
	v_accvgpr_read_b32 v122, a0
	v_accvgpr_read_b32 v123, a1
	;; [unrolled: 1-line block ×4, first 2 shown]
	v_accvgpr_write_b32 a0, v207
	v_accvgpr_write_b32 a1, v121
	v_accvgpr_write_b32 a2, v215
	v_accvgpr_write_b32 a3, v120
	v_cvt_pk_f16_f32 v123, v122, v123
	v_cvt_pk_f16_f32 v122, v156, v157
	v_mfma_f32_16x16x16_f16 a[0:3], v[108:109], v[32:33], a[0:3]
	s_nop 7
	v_accvgpr_read_b32 v108, a0
	v_accvgpr_read_b32 v109, a1
	;; [unrolled: 1-line block ×4, first 2 shown]
	v_cvt_f16_f32_e32 v108, v108
	v_cvt_f16_f32_e32 v109, v109
	;; [unrolled: 1-line block ×4, first 2 shown]
	v_cvt_f32_f16_e32 v158, v108
	v_cvt_f32_f16_e32 v165, v109
	;; [unrolled: 1-line block ×4, first 2 shown]
	v_perm_b32 v109, v193, v179, s21
	v_perm_b32 v108, v208, v200, s21
	v_accvgpr_write_b32 a0, v158
	v_accvgpr_write_b32 a1, v165
	;; [unrolled: 1-line block ×4, first 2 shown]
	v_cvt_f32_f16_e32 v179, v118
	v_cvt_f32_f16_sdwa v118, v118 dst_sel:DWORD dst_unused:UNUSED_PAD src0_sel:WORD_1
	v_mfma_f32_16x16x16_f16 a[0:3], v[108:109], v[34:35], a[0:3]
	v_perm_b32 v109, v166, v159, s21
	v_perm_b32 v108, v181, v173, s21
	v_cvt_f32_f16_e32 v173, v116
	v_cvt_f32_f16_sdwa v116, v116 dst_sel:DWORD dst_unused:UNUSED_PAD src0_sel:WORD_1
	s_nop 3
	v_accvgpr_read_b32 v120, a0
	v_accvgpr_read_b32 v121, a1
	;; [unrolled: 1-line block ×4, first 2 shown]
	v_accvgpr_write_b32 a0, v172
	v_accvgpr_write_b32 a1, v119
	;; [unrolled: 1-line block ×4, first 2 shown]
	v_cvt_f32_f16_e32 v172, v117
	v_cvt_f32_f16_sdwa v117, v117 dst_sel:DWORD dst_unused:UNUSED_PAD src0_sel:WORD_1
	v_mfma_f32_16x16x16_f16 a[0:3], v[108:109], v[32:33], a[0:3]
	v_cvt_pk_f16_f32 v121, v120, v121
	v_cvt_pk_f16_f32 v120, v158, v165
	s_nop 5
	v_accvgpr_read_b32 v108, a0
	v_accvgpr_read_b32 v109, a1
	v_accvgpr_read_b32 v118, a2
	v_accvgpr_read_b32 v119, a3
	v_cvt_f16_f32_e32 v108, v108
	v_cvt_f16_f32_e32 v109, v109
	v_cvt_f16_f32_e32 v118, v118
	v_cvt_f16_f32_e32 v119, v119
	v_cvt_f32_f16_e32 v159, v108
	v_cvt_f32_f16_e32 v166, v109
	v_cvt_f32_f16_e32 v118, v118
	v_cvt_f32_f16_e32 v119, v119
	v_perm_b32 v109, v194, v187, s21
	v_perm_b32 v108, v209, v201, s21
	v_accvgpr_write_b32 a0, v159
	v_accvgpr_write_b32 a1, v166
	v_accvgpr_write_b32 a2, v118
	v_accvgpr_write_b32 a3, v119
	s_nop 1
	v_mfma_f32_16x16x16_f16 a[0:3], v[108:109], v[34:35], a[0:3]
	v_perm_b32 v109, v167, v160, s21
	v_perm_b32 v108, v182, v174, s21
	s_nop 5
	v_accvgpr_read_b32 v118, a0
	v_accvgpr_read_b32 v119, a1
	v_accvgpr_read_b32 v159, a2
	v_accvgpr_read_b32 v166, a3
	v_accvgpr_write_b32 a0, v172
	v_accvgpr_write_b32 a1, v117
	v_accvgpr_write_b32 a2, v173
	v_accvgpr_write_b32 a3, v116
	v_cvt_f32_f16_e32 v172, v115
	v_cvt_f32_f16_sdwa v115, v115 dst_sel:DWORD dst_unused:UNUSED_PAD src0_sel:WORD_1
	v_mfma_f32_16x16x16_f16 a[0:3], v[108:109], v[32:33], a[0:3]
	v_cvt_f32_f16_e32 v173, v114
	v_cvt_f32_f16_sdwa v114, v114 dst_sel:DWORD dst_unused:UNUSED_PAD src0_sel:WORD_1
	v_cvt_pk_f16_f32 v119, v118, v119
	v_cvt_pk_f16_f32 v118, v159, v166
	s_nop 3
	v_accvgpr_read_b32 v108, a0
	v_accvgpr_read_b32 v109, a1
	v_accvgpr_read_b32 v116, a2
	v_accvgpr_read_b32 v117, a3
	v_cvt_f16_f32_e32 v108, v108
	v_cvt_f16_f32_e32 v109, v109
	v_cvt_f16_f32_e32 v116, v116
	v_cvt_f16_f32_e32 v117, v117
	v_cvt_f32_f16_e32 v160, v108
	v_cvt_f32_f16_e32 v167, v109
	v_cvt_f32_f16_e32 v116, v116
	v_cvt_f32_f16_e32 v117, v117
	v_perm_b32 v109, v195, v188, s21
	v_perm_b32 v108, v210, v202, s21
	v_accvgpr_write_b32 a0, v160
	v_accvgpr_write_b32 a1, v167
	v_accvgpr_write_b32 a2, v116
	v_accvgpr_write_b32 a3, v117
	s_nop 1
	v_mfma_f32_16x16x16_f16 a[0:3], v[108:109], v[34:35], a[0:3]
	v_perm_b32 v109, v168, v161, s21
	v_perm_b32 v108, v183, v175, s21
	s_nop 5
	v_accvgpr_read_b32 v116, a0
	v_accvgpr_read_b32 v117, a1
	v_accvgpr_read_b32 v160, a2
	v_accvgpr_read_b32 v167, a3
	v_accvgpr_write_b32 a0, v172
	v_accvgpr_write_b32 a1, v115
	v_accvgpr_write_b32 a2, v173
	v_accvgpr_write_b32 a3, v114
	v_cvt_f32_f16_e32 v172, v113
	v_cvt_f32_f16_sdwa v113, v113 dst_sel:DWORD dst_unused:UNUSED_PAD src0_sel:WORD_1
	v_mfma_f32_16x16x16_f16 a[0:3], v[108:109], v[32:33], a[0:3]
	v_cvt_f32_f16_e32 v173, v112
	v_cvt_f32_f16_sdwa v112, v112 dst_sel:DWORD dst_unused:UNUSED_PAD src0_sel:WORD_1
	;; [unrolled: 39-line block ×3, first 2 shown]
	v_cvt_pk_f16_f32 v115, v114, v115
	v_cvt_pk_f16_f32 v114, v161, v168
	s_nop 3
	v_accvgpr_read_b32 v108, a0
	v_accvgpr_read_b32 v109, a1
	;; [unrolled: 1-line block ×4, first 2 shown]
	v_cvt_f16_f32_e32 v108, v108
	v_cvt_f16_f32_e32 v109, v109
	;; [unrolled: 1-line block ×4, first 2 shown]
	v_cvt_f32_f16_e32 v162, v108
	v_cvt_f32_f16_e32 v169, v109
	;; [unrolled: 1-line block ×4, first 2 shown]
	v_perm_b32 v109, v197, v190, s21
	v_perm_b32 v108, v212, v204, s21
	v_accvgpr_write_b32 a0, v162
	v_accvgpr_write_b32 a1, v169
	;; [unrolled: 1-line block ×4, first 2 shown]
	s_nop 1
	v_mfma_f32_16x16x16_f16 a[0:3], v[108:109], v[34:35], a[0:3]
	v_perm_b32 v109, v170, v163, s21
	v_perm_b32 v108, v185, v177, s21
	s_nop 5
	v_accvgpr_read_b32 v112, a0
	v_accvgpr_read_b32 v113, a1
	;; [unrolled: 1-line block ×4, first 2 shown]
	v_accvgpr_write_b32 a0, v172
	v_accvgpr_write_b32 a1, v111
	;; [unrolled: 1-line block ×4, first 2 shown]
	v_cvt_f32_f16_e32 v172, v38
	v_cvt_f32_f16_sdwa v173, v38 dst_sel:DWORD dst_unused:UNUSED_PAD src0_sel:WORD_1
	v_mfma_f32_16x16x16_f16 a[0:3], v[108:109], v[32:33], a[0:3]
	v_perm_b32 v38, v186, v178, s21
	v_cvt_pk_f16_f32 v113, v112, v113
	v_cvt_pk_f16_f32 v112, v162, v169
	s_nop 4
	v_accvgpr_read_b32 v108, a0
	v_accvgpr_read_b32 v109, a1
	v_accvgpr_read_b32 v110, a2
	v_accvgpr_read_b32 v111, a3
	v_cvt_f16_f32_e32 v108, v108
	v_cvt_f16_f32_e32 v109, v109
	;; [unrolled: 1-line block ×4, first 2 shown]
	v_cvt_f32_f16_e32 v163, v108
	v_cvt_f32_f16_e32 v170, v109
	;; [unrolled: 1-line block ×4, first 2 shown]
	v_perm_b32 v109, v198, v191, s21
	v_perm_b32 v108, v213, v205, s21
	v_accvgpr_write_b32 a0, v163
	v_accvgpr_write_b32 a1, v170
	;; [unrolled: 1-line block ×4, first 2 shown]
	s_nop 1
	v_mfma_f32_16x16x16_f16 a[0:3], v[108:109], v[34:35], a[0:3]
	v_cvt_f32_f16_e32 v108, v39
	v_cvt_f32_f16_sdwa v109, v39 dst_sel:DWORD dst_unused:UNUSED_PAD src0_sel:WORD_1
	v_perm_b32 v39, v171, v164, s21
	s_nop 4
	v_accvgpr_read_b32 v110, a0
	v_accvgpr_read_b32 v111, a1
	;; [unrolled: 1-line block ×4, first 2 shown]
	v_accvgpr_write_b32 a0, v108
	v_accvgpr_write_b32 a1, v109
	;; [unrolled: 1-line block ×4, first 2 shown]
	v_cvt_pk_f16_f32 v111, v110, v111
	v_cvt_pk_f16_f32 v110, v163, v170
	v_mfma_f32_16x16x16_f16 a[0:3], v[38:39], v[32:33], a[0:3]
	s_nop 7
	v_accvgpr_read_b32 v32, a0
	v_accvgpr_read_b32 v33, a1
	v_accvgpr_read_b32 v38, a2
	v_accvgpr_read_b32 v39, a3
	v_cvt_f16_f32_e32 v32, v32
	v_cvt_f16_f32_e32 v33, v33
	;; [unrolled: 1-line block ×4, first 2 shown]
	v_cvt_f32_f16_e32 v108, v32
	v_cvt_f32_f16_e32 v109, v33
	;; [unrolled: 1-line block ×4, first 2 shown]
	v_perm_b32 v33, v199, v192, s21
	v_perm_b32 v32, v214, v206, s21
	v_accvgpr_write_b32 a0, v108
	v_accvgpr_write_b32 a1, v109
	;; [unrolled: 1-line block ×4, first 2 shown]
	s_nop 1
	v_mfma_f32_16x16x16_f16 a[0:3], v[32:33], v[34:35], a[0:3]
	s_nop 7
	v_accvgpr_read_b32 v32, a0
	v_accvgpr_read_b32 v33, a1
	;; [unrolled: 1-line block ×4, first 2 shown]
	v_cvt_pk_f16_f32 v109, v32, v33
	v_cvt_pk_f16_f32 v108, v34, v35
	s_cbranch_vccz .LBB32_478
; %bb.474:                              ;   in Loop: Header=BB32_441 Depth=1
	v_mov_b32_e32 v140, v37
	v_mov_b32_e32 v141, v36
	s_ashr_i32 s7, s6, 31
	s_and_saveexec_b64 s[8:9], s[0:1]
	s_cbranch_execnz .LBB32_440
	s_branch .LBB32_441
.LBB32_475:
                                        ; implicit-def: $sgpr56_sgpr57
	s_load_dwordx2 s[54:55], s[0:1], 0x74
	v_cvt_f32_u32_e32 v1, s33
	s_branch .LBB32_2
.LBB32_476:
                                        ; implicit-def: $sgpr6_sgpr7
	s_load_dwordx2 s[44:45], s[0:1], 0x5c
	v_mov_b64_e32 v[42:43], s[6:7]
	s_branch .LBB32_5
.LBB32_477:
	v_mov_b32_e32 v36, 0xfeffffff
	v_mov_b32_e32 v37, 0
	;; [unrolled: 1-line block ×34, first 2 shown]
.LBB32_478:
	s_lshl_b32 s0, s72, 6
	s_ashr_i32 s1, s0, 31
	v_cmp_gt_u32_e32 vcc, 4, v86
	s_and_saveexec_b64 s[6:7], vcc
	s_cbranch_execz .LBB32_480
; %bb.479:
	v_or_b32_e32 v32, s12, v86
	v_mul_hi_u32 v33, s44, v32
	v_add_u32_e32 v33, v32, v33
	v_lshrrev_b32_e32 v33, s45, v33
	s_lshl_b64 s[8:9], s[0:1], 1
	v_mul_lo_u32 v33, v33, s36
	s_add_u32 s4, s4, s8
	v_sub_u32_e32 v33, v32, v33
	s_addc_u32 s5, s5, s9
	v_mad_i64_i32 v[34:35], s[8:9], v33, s46, 0
	v_and_b32_e32 v32, 0x7c, v77
	v_lshl_add_u64 v[34:35], v[34:35], 1, s[4:5]
	v_mov_b32_e32 v33, 0
	v_lshl_add_u64 v[34:35], v[34:35], 0, v[32:33]
	global_load_dword v33, v[34:35], off
	v_mul_u32_u24_e32 v34, 0x90, v86
	v_add3_u32 v32, 0, v34, v32
	s_waitcnt vmcnt(0)
	ds_write_b32 v32, v33 offset:33792
.LBB32_480:
	s_or_b64 exec, exec, s[6:7]
	s_mul_hi_i32 s5, s0, s38
	s_mul_i32 s4, s0, s38
	s_lshl_b64 s[4:5], s[4:5], 2
	s_add_u32 s4, s13, s4
	s_addc_u32 s5, s14, s5
	s_lshl_b32 s1, s38, 3
	v_add_u32_e32 v38, s1, v42
	v_ashrrev_i32_e32 v39, 31, v38
	v_and_b32_e32 v32, 0x7c, v77
	v_lshl_add_u64 v[34:35], v[42:43], 2, s[4:5]
	v_lshl_add_u64 v[42:43], v[38:39], 2, s[4:5]
	v_add_u32_e32 v38, s1, v38
	v_mov_b32_e32 v33, 0
	v_lshlrev_b32_e32 v32, 2, v32
	v_ashrrev_i32_e32 v39, 31, v38
	v_lshl_add_u64 v[70:71], v[42:43], 0, v[32:33]
	v_lshl_add_u64 v[42:43], v[38:39], 2, s[4:5]
	v_add_u32_e32 v38, s1, v38
	v_ashrrev_i32_e32 v39, 31, v38
	v_lshl_add_u64 v[72:73], v[42:43], 0, v[32:33]
	v_lshl_add_u64 v[42:43], v[38:39], 2, s[4:5]
	v_add_u32_e32 v38, s1, v38
	;; [unrolled: 4-line block ×5, first 2 shown]
	v_ashrrev_i32_e32 v39, 31, v38
	v_lshl_add_u64 v[34:35], v[34:35], 0, v[32:33]
	v_lshl_add_u64 v[38:39], v[38:39], 2, s[4:5]
	;; [unrolled: 1-line block ×4, first 2 shown]
	global_load_dwordx4 v[42:45], v[34:35], off
	global_load_dwordx4 v[46:49], v[70:71], off
	;; [unrolled: 1-line block ×7, first 2 shown]
                                        ; kill: killed $vgpr70_vgpr71
                                        ; kill: killed $vgpr88_vgpr89
                                        ; kill: killed $vgpr72_vgpr73
                                        ; kill: killed $vgpr90_vgpr91
                                        ; kill: killed $vgpr74_vgpr75
                                        ; kill: killed $vgpr34_vgpr35
                                        ; kill: killed $vgpr92_vgpr93
	s_nop 0
	global_load_dwordx4 v[70:73], v[38:39], off
	v_and_b32_e32 v33, 16, v216
	v_add_u32_e32 v35, 0, v85
	v_mul_u32_u24_e32 v38, 0x210, v33
	v_mul_u32_u24_e32 v34, 0x210, v86
	v_add3_u32 v35, v35, v79, v38
	v_add3_u32 v34, 0, v34, v32
	v_add_u32_e32 v38, 0x4000, v35
	s_mov_b32 s1, 0x3f200000
	s_waitcnt vmcnt(7)
	ds_write_b128 v34, v[42:45]
	s_waitcnt vmcnt(6)
	ds_write_b128 v34, v[46:49] offset:4224
	s_waitcnt vmcnt(5)
	ds_write_b128 v34, v[50:53] offset:8448
	s_waitcnt vmcnt(4)
	ds_write_b128 v34, v[54:57] offset:12672
	s_waitcnt vmcnt(3)
	ds_write_b128 v34, v[58:61] offset:16896
	s_waitcnt vmcnt(2)
	ds_write_b128 v34, v[62:65] offset:21120
	s_waitcnt vmcnt(1)
	ds_write_b128 v34, v[66:69] offset:25344
	s_waitcnt vmcnt(0)
	ds_write_b128 v34, v[70:73] offset:29568
	s_waitcnt lgkmcnt(0)
	s_barrier
	ds_read2_b64 v[42:45], v35 offset1:4
	ds_read2_b64 v[46:49], v38 offset0:64 offset1:68
	s_waitcnt lgkmcnt(1)
	v_mfma_f32_16x16x16_f16 a[0:3], v[42:43], v[28:29], 0
	s_waitcnt lgkmcnt(0)
	v_mfma_f32_16x16x16_f16 a[4:7], v[46:47], v[28:29], 0
	v_mfma_f32_16x16x16_f16 a[0:3], v[44:45], v[30:31], a[0:3]
	ds_read2_b64 v[42:45], v38 offset0:72 offset1:76
	v_mfma_f32_16x16x16_f16 a[4:7], v[48:49], v[30:31], a[4:7]
	ds_read2_b64 v[28:31], v35 offset0:8 offset1:12
	s_waitcnt lgkmcnt(0)
	v_mfma_f32_16x16x16_f16 a[0:3], v[28:29], v[24:25], a[0:3]
	v_mfma_f32_16x16x16_f16 a[4:7], v[42:43], v[24:25], a[4:7]
	v_mfma_f32_16x16x16_f16 a[0:3], v[30:31], v[26:27], a[0:3]
	ds_read2_b64 v[28:31], v38 offset0:80 offset1:84
	v_mfma_f32_16x16x16_f16 a[4:7], v[44:45], v[26:27], a[4:7]
	ds_read2_b64 v[24:27], v35 offset0:16 offset1:20
	s_waitcnt lgkmcnt(0)
	v_mfma_f32_16x16x16_f16 a[0:3], v[24:25], v[20:21], a[0:3]
	;; [unrolled: 7-line block ×6, first 2 shown]
	v_mfma_f32_16x16x16_f16 a[4:7], v[12:13], v[4:5], a[4:7]
	v_mfma_f32_16x16x16_f16 a[0:3], v[10:11], v[6:7], a[0:3]
	ds_read2_b64 v[8:11], v38 offset0:120 offset1:124
	v_mfma_f32_16x16x16_f16 a[4:7], v[14:15], v[6:7], a[4:7]
	ds_read2_b64 v[4:7], v35 offset0:56 offset1:60
	s_waitcnt lgkmcnt(0)
	s_barrier
	v_mfma_f32_16x16x16_f16 a[0:3], v[4:5], v[0:1], a[0:3]
	v_mfma_f32_16x16x16_f16 a[8:11], v[8:9], v[0:1], a[4:7]
                                        ; implicit-def: $vgpr9
	v_mfma_f32_16x16x16_f16 a[4:7], v[6:7], v[2:3], a[0:3]
	v_mfma_f32_16x16x16_f16 a[0:3], v[10:11], v[2:3], a[8:11]
	s_nop 6
	v_accvgpr_read_b32 v8, a4
	v_cmp_nlt_f32_e64 s[4:5], |v8|, s1
	s_and_saveexec_b64 s[6:7], s[4:5]
	s_xor_b64 s[4:5], exec, s[6:7]
	s_cbranch_execz .LBB32_482
; %bb.481:
	v_add_f32_e64 v0, |v8|, |v8|
	v_mul_f32_e32 v1, 0x3fb8aa3b, v0
	s_mov_b32 s1, 0x3fb8aa3b
	v_rndne_f32_e32 v2, v1
	v_sub_f32_e32 v3, v1, v2
	v_fma_f32 v1, v0, s1, -v1
	v_fmamk_f32 v1, v0, 0x32a5705f, v1
	v_add_f32_e32 v1, v3, v1
	v_exp_f32_e32 v1, v1
	v_cvt_i32_f32_e32 v2, v2
	s_mov_b32 s1, 0xc2ce8ed0
	v_cmp_ngt_f32_e32 vcc, s1, v0
	s_mov_b32 s1, 0x42b17218
	v_ldexp_f32 v1, v1, v2
	v_cndmask_b32_e32 v1, 0, v1, vcc
	v_mov_b32_e32 v2, 0x7f800000
	v_cmp_nlt_f32_e32 vcc, s1, v0
	s_nop 1
	v_cndmask_b32_e32 v0, v2, v1, vcc
	v_add_f32_e32 v0, 1.0, v0
	v_rcp_f32_e32 v0, v0
	s_nop 0
	v_fma_f32 v9, v0, -2.0, 1.0
.LBB32_482:
	s_or_saveexec_b64 s[4:5], s[4:5]
	v_accvgpr_read_b32 v0, a4
	v_accvgpr_read_b32 v1, a5
	;; [unrolled: 1-line block ×4, first 2 shown]
	s_xor_b64 exec, exec, s[4:5]
; %bb.483:
	v_mul_f32_e32 v0, v8, v8
	v_mov_b32_e32 v4, 0x3ca908c9
	v_fmac_f32_e32 v4, 0xbbbac73d, v0
	v_fmaak_f32 v4, v0, v4, 0xbd5c1c4e
	v_fmaak_f32 v4, v0, v4, 0x3e088382
	;; [unrolled: 1-line block ×3, first 2 shown]
	v_mul_f32_e64 v4, |v8|, v4
	v_fma_f32 v9, v0, v4, |v8|
; %bb.484:
	s_or_b64 exec, exec, s[4:5]
	s_mov_b32 s1, 0x3f200000
	v_cmp_nlt_f32_e64 s[4:5], |v1|, s1
                                        ; implicit-def: $vgpr0
	s_and_saveexec_b64 s[6:7], s[4:5]
	s_xor_b64 s[4:5], exec, s[6:7]
	s_cbranch_execz .LBB32_486
; %bb.485:
	v_add_f32_e64 v0, |v1|, |v1|
	v_mul_f32_e32 v4, 0x3fb8aa3b, v0
	s_mov_b32 s1, 0x3fb8aa3b
	v_rndne_f32_e32 v5, v4
	v_sub_f32_e32 v6, v4, v5
	v_fma_f32 v4, v0, s1, -v4
	v_fmamk_f32 v4, v0, 0x32a5705f, v4
	v_add_f32_e32 v4, v6, v4
	v_exp_f32_e32 v4, v4
	v_cvt_i32_f32_e32 v5, v5
	s_mov_b32 s1, 0xc2ce8ed0
	v_cmp_ngt_f32_e32 vcc, s1, v0
	s_mov_b32 s1, 0x42b17218
	v_ldexp_f32 v4, v4, v5
	v_cndmask_b32_e32 v4, 0, v4, vcc
	v_mov_b32_e32 v5, 0x7f800000
	v_cmp_nlt_f32_e32 vcc, s1, v0
	s_nop 1
	v_cndmask_b32_e32 v0, v5, v4, vcc
	v_add_f32_e32 v0, 1.0, v0
	v_rcp_f32_e32 v0, v0
	s_nop 0
	v_fma_f32 v0, v0, -2.0, 1.0
.LBB32_486:
	s_andn2_saveexec_b64 s[4:5], s[4:5]
; %bb.487:
	v_mul_f32_e32 v0, v1, v1
	v_mov_b32_e32 v4, 0x3ca908c9
	v_fmac_f32_e32 v4, 0xbbbac73d, v0
	v_fmaak_f32 v4, v0, v4, 0xbd5c1c4e
	v_fmaak_f32 v4, v0, v4, 0x3e088382
	;; [unrolled: 1-line block ×3, first 2 shown]
	v_mul_f32_e64 v4, |v1|, v4
	v_fma_f32 v0, v0, v4, |v1|
; %bb.488:
	s_or_b64 exec, exec, s[4:5]
	s_mov_b32 s1, 0x3f200000
	v_cmp_nlt_f32_e64 s[4:5], |v2|, s1
                                        ; implicit-def: $vgpr10
	s_and_saveexec_b64 s[6:7], s[4:5]
	s_xor_b64 s[4:5], exec, s[6:7]
	s_cbranch_execz .LBB32_490
; %bb.489:
	v_add_f32_e64 v4, |v2|, |v2|
	v_mul_f32_e32 v5, 0x3fb8aa3b, v4
	s_mov_b32 s1, 0x3fb8aa3b
	v_rndne_f32_e32 v6, v5
	v_sub_f32_e32 v7, v5, v6
	v_fma_f32 v5, v4, s1, -v5
	v_fmamk_f32 v5, v4, 0x32a5705f, v5
	v_add_f32_e32 v5, v7, v5
	v_exp_f32_e32 v5, v5
	v_cvt_i32_f32_e32 v6, v6
	s_mov_b32 s1, 0xc2ce8ed0
	v_cmp_ngt_f32_e32 vcc, s1, v4
	s_mov_b32 s1, 0x42b17218
	v_ldexp_f32 v5, v5, v6
	v_cndmask_b32_e32 v5, 0, v5, vcc
	v_mov_b32_e32 v6, 0x7f800000
	v_cmp_nlt_f32_e32 vcc, s1, v4
	s_nop 1
	v_cndmask_b32_e32 v4, v6, v5, vcc
	v_add_f32_e32 v4, 1.0, v4
	v_rcp_f32_e32 v4, v4
	s_nop 0
	v_fma_f32 v10, v4, -2.0, 1.0
.LBB32_490:
	s_andn2_saveexec_b64 s[4:5], s[4:5]
; %bb.491:
	v_mul_f32_e32 v4, v2, v2
	v_mov_b32_e32 v5, 0x3ca908c9
	v_fmac_f32_e32 v5, 0xbbbac73d, v4
	v_fmaak_f32 v5, v4, v5, 0xbd5c1c4e
	v_fmaak_f32 v5, v4, v5, 0x3e088382
	;; [unrolled: 1-line block ×3, first 2 shown]
	v_mul_f32_e64 v5, |v2|, v5
	v_fma_f32 v10, v4, v5, |v2|
; %bb.492:
	s_or_b64 exec, exec, s[4:5]
	s_mov_b32 s1, 0x3f200000
	v_cmp_nlt_f32_e64 s[4:5], |v3|, s1
                                        ; implicit-def: $vgpr11
	s_and_saveexec_b64 s[6:7], s[4:5]
	s_xor_b64 s[4:5], exec, s[6:7]
	s_cbranch_execz .LBB32_494
; %bb.493:
	v_add_f32_e64 v4, |v3|, |v3|
	v_mul_f32_e32 v5, 0x3fb8aa3b, v4
	s_mov_b32 s1, 0x3fb8aa3b
	v_rndne_f32_e32 v6, v5
	v_sub_f32_e32 v7, v5, v6
	v_fma_f32 v5, v4, s1, -v5
	v_fmamk_f32 v5, v4, 0x32a5705f, v5
	v_add_f32_e32 v5, v7, v5
	v_exp_f32_e32 v5, v5
	v_cvt_i32_f32_e32 v6, v6
	s_mov_b32 s1, 0xc2ce8ed0
	v_cmp_ngt_f32_e32 vcc, s1, v4
	s_mov_b32 s1, 0x42b17218
	v_ldexp_f32 v5, v5, v6
	v_cndmask_b32_e32 v5, 0, v5, vcc
	v_mov_b32_e32 v6, 0x7f800000
	v_cmp_nlt_f32_e32 vcc, s1, v4
	s_nop 1
	v_cndmask_b32_e32 v4, v6, v5, vcc
	v_add_f32_e32 v4, 1.0, v4
	v_rcp_f32_e32 v4, v4
	s_nop 0
	v_fma_f32 v11, v4, -2.0, 1.0
.LBB32_494:
	s_or_saveexec_b64 s[4:5], s[4:5]
	v_accvgpr_read_b32 v7, a3
	v_accvgpr_read_b32 v6, a2
	;; [unrolled: 1-line block ×4, first 2 shown]
	s_xor_b64 exec, exec, s[4:5]
; %bb.495:
	v_mul_f32_e32 v11, v3, v3
	v_mov_b32_e32 v12, 0x3ca908c9
	v_fmac_f32_e32 v12, 0xbbbac73d, v11
	v_fmaak_f32 v12, v11, v12, 0xbd5c1c4e
	v_fmaak_f32 v12, v11, v12, 0x3e088382
	;; [unrolled: 1-line block ×3, first 2 shown]
	v_mul_f32_e64 v12, |v3|, v12
	v_fma_f32 v11, v11, v12, |v3|
; %bb.496:
	s_or_b64 exec, exec, s[4:5]
	s_mov_b32 s1, 0x3f200000
	v_cmp_nlt_f32_e64 s[4:5], |v4|, s1
                                        ; implicit-def: $vgpr12
	s_and_saveexec_b64 s[6:7], s[4:5]
	s_xor_b64 s[4:5], exec, s[6:7]
	s_cbranch_execz .LBB32_498
; %bb.497:
	v_add_f32_e64 v12, |v4|, |v4|
	v_mul_f32_e32 v13, 0x3fb8aa3b, v12
	s_mov_b32 s1, 0x3fb8aa3b
	v_rndne_f32_e32 v14, v13
	v_sub_f32_e32 v15, v13, v14
	v_fma_f32 v13, v12, s1, -v13
	v_fmamk_f32 v13, v12, 0x32a5705f, v13
	v_add_f32_e32 v13, v15, v13
	v_exp_f32_e32 v13, v13
	v_cvt_i32_f32_e32 v14, v14
	s_mov_b32 s1, 0xc2ce8ed0
	v_cmp_ngt_f32_e32 vcc, s1, v12
	s_mov_b32 s1, 0x42b17218
	v_ldexp_f32 v13, v13, v14
	v_cndmask_b32_e32 v13, 0, v13, vcc
	v_mov_b32_e32 v14, 0x7f800000
	v_cmp_nlt_f32_e32 vcc, s1, v12
	s_nop 1
	v_cndmask_b32_e32 v12, v14, v13, vcc
	v_add_f32_e32 v12, 1.0, v12
	v_rcp_f32_e32 v12, v12
	s_nop 0
	v_fma_f32 v12, v12, -2.0, 1.0
.LBB32_498:
	s_andn2_saveexec_b64 s[4:5], s[4:5]
; %bb.499:
	v_mul_f32_e32 v12, v4, v4
	v_mov_b32_e32 v13, 0x3ca908c9
	v_fmac_f32_e32 v13, 0xbbbac73d, v12
	v_fmaak_f32 v13, v12, v13, 0xbd5c1c4e
	v_fmaak_f32 v13, v12, v13, 0x3e088382
	;; [unrolled: 1-line block ×3, first 2 shown]
	v_mul_f32_e64 v13, |v4|, v13
	v_fma_f32 v12, v12, v13, |v4|
; %bb.500:
	s_or_b64 exec, exec, s[4:5]
	s_mov_b32 s1, 0x3f200000
	v_cmp_nlt_f32_e64 s[4:5], |v5|, s1
                                        ; implicit-def: $vgpr13
	s_and_saveexec_b64 s[6:7], s[4:5]
	s_xor_b64 s[4:5], exec, s[6:7]
	s_cbranch_execz .LBB32_502
; %bb.501:
	v_add_f32_e64 v13, |v5|, |v5|
	v_mul_f32_e32 v14, 0x3fb8aa3b, v13
	s_mov_b32 s1, 0x3fb8aa3b
	v_rndne_f32_e32 v15, v14
	v_sub_f32_e32 v16, v14, v15
	v_fma_f32 v14, v13, s1, -v14
	v_fmamk_f32 v14, v13, 0x32a5705f, v14
	v_add_f32_e32 v14, v16, v14
	v_exp_f32_e32 v14, v14
	v_cvt_i32_f32_e32 v15, v15
	s_mov_b32 s1, 0xc2ce8ed0
	v_cmp_ngt_f32_e32 vcc, s1, v13
	s_mov_b32 s1, 0x42b17218
	v_ldexp_f32 v14, v14, v15
	v_cndmask_b32_e32 v14, 0, v14, vcc
	v_mov_b32_e32 v15, 0x7f800000
	v_cmp_nlt_f32_e32 vcc, s1, v13
	s_nop 1
	v_cndmask_b32_e32 v13, v15, v14, vcc
	v_add_f32_e32 v13, 1.0, v13
	v_rcp_f32_e32 v13, v13
	s_nop 0
	v_fma_f32 v13, v13, -2.0, 1.0
.LBB32_502:
	s_andn2_saveexec_b64 s[4:5], s[4:5]
; %bb.503:
	v_mul_f32_e32 v13, v5, v5
	v_mov_b32_e32 v14, 0x3ca908c9
	v_fmac_f32_e32 v14, 0xbbbac73d, v13
	v_fmaak_f32 v14, v13, v14, 0xbd5c1c4e
	v_fmaak_f32 v14, v13, v14, 0x3e088382
	;; [unrolled: 1-line block ×3, first 2 shown]
	v_mul_f32_e64 v14, |v5|, v14
	v_fma_f32 v13, v13, v14, |v5|
; %bb.504:
	s_or_b64 exec, exec, s[4:5]
	s_mov_b32 s1, 0x3f200000
	v_cmp_nlt_f32_e64 s[4:5], |v6|, s1
                                        ; implicit-def: $vgpr14
	s_and_saveexec_b64 s[6:7], s[4:5]
	s_xor_b64 s[4:5], exec, s[6:7]
	s_cbranch_execz .LBB32_506
; %bb.505:
	v_add_f32_e64 v14, |v6|, |v6|
	v_mul_f32_e32 v15, 0x3fb8aa3b, v14
	s_mov_b32 s1, 0x3fb8aa3b
	v_rndne_f32_e32 v16, v15
	v_sub_f32_e32 v17, v15, v16
	v_fma_f32 v15, v14, s1, -v15
	v_fmamk_f32 v15, v14, 0x32a5705f, v15
	v_add_f32_e32 v15, v17, v15
	v_exp_f32_e32 v15, v15
	v_cvt_i32_f32_e32 v16, v16
	s_mov_b32 s1, 0xc2ce8ed0
	v_cmp_ngt_f32_e32 vcc, s1, v14
	s_mov_b32 s1, 0x42b17218
	v_ldexp_f32 v15, v15, v16
	v_cndmask_b32_e32 v15, 0, v15, vcc
	v_mov_b32_e32 v16, 0x7f800000
	v_cmp_nlt_f32_e32 vcc, s1, v14
	s_nop 1
	v_cndmask_b32_e32 v14, v16, v15, vcc
	v_add_f32_e32 v14, 1.0, v14
	v_rcp_f32_e32 v14, v14
	s_nop 0
	v_fma_f32 v14, v14, -2.0, 1.0
.LBB32_506:
	s_andn2_saveexec_b64 s[4:5], s[4:5]
; %bb.507:
	v_mul_f32_e32 v14, v6, v6
	v_mov_b32_e32 v15, 0x3ca908c9
	v_fmac_f32_e32 v15, 0xbbbac73d, v14
	v_fmaak_f32 v15, v14, v15, 0xbd5c1c4e
	v_fmaak_f32 v15, v14, v15, 0x3e088382
	;; [unrolled: 1-line block ×3, first 2 shown]
	v_mul_f32_e64 v15, |v6|, v15
	v_fma_f32 v14, v14, v15, |v6|
; %bb.508:
	s_or_b64 exec, exec, s[4:5]
	s_mov_b32 s1, 0x3f200000
	v_cmp_nlt_f32_e64 s[4:5], |v7|, s1
                                        ; implicit-def: $vgpr15
	s_and_saveexec_b64 s[6:7], s[4:5]
	s_xor_b64 s[4:5], exec, s[6:7]
	s_cbranch_execz .LBB32_510
; %bb.509:
	v_add_f32_e64 v15, |v7|, |v7|
	v_mul_f32_e32 v16, 0x3fb8aa3b, v15
	s_mov_b32 s1, 0x3fb8aa3b
	v_rndne_f32_e32 v17, v16
	v_sub_f32_e32 v18, v16, v17
	v_fma_f32 v16, v15, s1, -v16
	v_fmamk_f32 v16, v15, 0x32a5705f, v16
	v_add_f32_e32 v16, v18, v16
	v_exp_f32_e32 v16, v16
	v_cvt_i32_f32_e32 v17, v17
	s_mov_b32 s1, 0xc2ce8ed0
	v_cmp_ngt_f32_e32 vcc, s1, v15
	s_mov_b32 s1, 0x42b17218
	v_ldexp_f32 v16, v16, v17
	v_cndmask_b32_e32 v16, 0, v16, vcc
	v_mov_b32_e32 v17, 0x7f800000
	v_cmp_nlt_f32_e32 vcc, s1, v15
	s_nop 1
	v_cndmask_b32_e32 v15, v17, v16, vcc
	v_add_f32_e32 v15, 1.0, v15
	v_rcp_f32_e32 v15, v15
	s_nop 0
	v_fma_f32 v15, v15, -2.0, 1.0
.LBB32_510:
	s_or_saveexec_b64 s[4:5], s[4:5]
	v_add_u32_e32 v22, 0x1080, v34
	v_add_u32_e32 v23, 0x2100, v34
	;; [unrolled: 1-line block ×7, first 2 shown]
	s_xor_b64 exec, exec, s[4:5]
; %bb.511:
	v_mul_f32_e32 v15, v7, v7
	v_mov_b32_e32 v16, 0x3ca908c9
	v_fmac_f32_e32 v16, 0xbbbac73d, v15
	v_fmaak_f32 v16, v15, v16, 0xbd5c1c4e
	v_fmaak_f32 v16, v15, v16, 0x3e088382
	v_fmaak_f32 v16, v15, v16, 0xbeaaaa99
	v_mul_f32_e64 v16, |v7|, v16
	v_fma_f32 v15, v15, v16, |v7|
; %bb.512:
	s_or_b64 exec, exec, s[4:5]
	s_brev_b32 s1, -2
	v_bfi_b32 v4, s1, v12, v4
	v_bfi_b32 v5, s1, v13, v5
	;; [unrolled: 1-line block ×8, first 2 shown]
	v_and_b32_e32 v47, 0xfc, v82
	v_lshrrev_b32_e32 v0, 3, v84
	s_movk_i32 s1, 0x90
	v_mad_u32_u24 v2, v0, s1, 0
	v_add_u16_e32 v0, v47, v33
	v_lshrrev_b16_e32 v0, 1, v0
	v_lshlrev_b32_e32 v0, 2, v0
	s_mov_b32 s1, 0x8400
	v_add_u32_e32 v3, v47, v33
	v_add3_u32 v0, v2, v0, s1
	v_lshl_add_u32 v2, v3, 1, v2
	ds_read2_b32 v[0:1], v0 offset1:1
	v_add_u32_e32 v2, 0x8400, v2
	ds_read2_b32 v[2:3], v2 offset0:16 offset1:17
	s_mov_b32 s4, 0xc2ce8ed0
	s_mov_b32 s1, 0x42b17218
	s_waitcnt lgkmcnt(1)
	v_fma_mix_f32 v8, s3, v8, v0 op_sel_hi:[0,0,1]
	v_fma_mix_f32 v0, s3, v9, v0 op_sel:[0,0,1] op_sel_hi:[0,0,1]
	v_fma_mix_f32 v9, s3, v10, v1 op_sel_hi:[0,0,1]
	v_fma_mix_f32 v1, s3, v11, v1 op_sel:[0,0,1] op_sel_hi:[0,0,1]
	s_waitcnt lgkmcnt(0)
	v_fma_mix_f32 v10, s3, v4, v2 op_sel_hi:[0,0,1]
	v_fma_mix_f32 v11, s3, v6, v3 op_sel_hi:[0,0,1]
	v_fma_mix_f32 v7, s3, v7, v3 op_sel:[0,0,1] op_sel_hi:[0,0,1]
	v_add_f32_e32 v3, 0x40051340, v8
	v_add_f32_e32 v4, 0x40051340, v0
	v_fma_mix_f32 v2, s3, v5, v2 op_sel:[0,0,1] op_sel_hi:[0,0,1]
	v_max3_f32 v3, v36, v3, v4
	v_add_f32_e32 v4, 0x40051340, v9
	v_add_f32_e32 v5, 0x40051340, v1
	v_max3_f32 v3, v3, v4, v5
	v_add_f32_e32 v4, 0x40051340, v10
	v_add_f32_e32 v5, 0x40051340, v2
	;; [unrolled: 3-line block ×3, first 2 shown]
	v_max3_f32 v3, v3, v4, v5
	v_mbcnt_hi_u32_b32 v4, -1, v83
	v_and_b32_e32 v5, 64, v4
	v_add_u32_e32 v5, 64, v5
	v_xor_b32_e32 v6, 32, v4
	v_cmp_lt_i32_e32 vcc, v6, v5
	s_mov_b32 s3, 0x3fb8aa3b
	v_mov_b32_e32 v28, 0x7f800000
	v_cndmask_b32_e32 v6, v4, v6, vcc
	v_lshlrev_b32_e32 v6, 2, v6
	ds_bpermute_b32 v12, v6, v3
	s_mul_hi_i32 s7, s0, s34
	s_mul_i32 s6, s0, s34
	s_lshl_b64 s[6:7], s[6:7], 2
	s_add_u32 s6, s10, s6
	s_waitcnt lgkmcnt(0)
	v_max_f32_e32 v12, v12, v12
	v_max_f32_e32 v3, v3, v12
	v_xor_b32_e32 v12, 16, v4
	v_cmp_lt_i32_e32 vcc, v12, v5
	s_addc_u32 s7, s11, s7
	s_lshl_b32 s0, s34, 3
	v_cndmask_b32_e32 v4, v4, v12, vcc
	v_lshlrev_b32_e32 v4, 2, v4
	ds_bpermute_b32 v5, v4, v3
	v_mov_b32_e32 v33, 0
	v_mul_u32_u24_e32 v47, 0x210, v47
	v_or_b32_e32 v82, 3, v82
	v_mul_u32_u24_e32 v82, 0x210, v82
	s_waitcnt lgkmcnt(0)
	v_max_f32_e32 v5, v5, v5
	v_max_f32_e32 v5, v3, v5
	v_sub_f32_e32 v3, v8, v5
	v_mul_f32_e32 v8, 0x3fb8aa3b, v3
	v_fma_f32 v12, v3, s3, -v8
	v_rndne_f32_e32 v13, v8
	v_fmac_f32_e32 v12, 0x32a5705f, v3
	v_sub_f32_e32 v8, v8, v13
	v_add_f32_e32 v8, v8, v12
	v_exp_f32_e32 v8, v8
	v_cvt_i32_f32_e32 v12, v13
	v_cmp_ngt_f32_e32 vcc, s4, v3
	v_sub_f32_e32 v10, v10, v5
	v_sub_f32_e32 v7, v7, v5
	v_ldexp_f32 v8, v8, v12
	v_sub_f32_e32 v12, v0, v5
	v_mul_f32_e32 v0, 0x3fb8aa3b, v12
	v_fma_f32 v13, v12, s3, -v0
	v_rndne_f32_e32 v14, v0
	v_fmac_f32_e32 v13, 0x32a5705f, v12
	v_sub_f32_e32 v0, v0, v14
	v_add_f32_e32 v0, v0, v13
	v_exp_f32_e32 v13, v0
	v_cvt_i32_f32_e32 v14, v14
	v_cndmask_b32_e32 v8, 0, v8, vcc
	v_cmp_nlt_f32_e32 vcc, s1, v3
	v_ldexp_f32 v3, v13, v14
	s_nop 0
	v_cndmask_b32_e32 v0, v28, v8, vcc
	v_sub_f32_e32 v8, v9, v5
	v_mul_f32_e32 v9, 0x3fb8aa3b, v8
	v_fma_f32 v13, v8, s3, -v9
	v_rndne_f32_e32 v14, v9
	v_fmac_f32_e32 v13, 0x32a5705f, v8
	v_sub_f32_e32 v9, v9, v14
	v_add_f32_e32 v9, v9, v13
	v_exp_f32_e32 v9, v9
	v_cvt_i32_f32_e32 v13, v14
	v_cmp_ngt_f32_e32 vcc, s4, v12
	v_ldexp_f32 v9, v9, v13
	v_sub_f32_e32 v13, v1, v5
	v_mul_f32_e32 v1, 0x3fb8aa3b, v13
	v_fma_f32 v14, v13, s3, -v1
	v_rndne_f32_e32 v15, v1
	v_fmac_f32_e32 v14, 0x32a5705f, v13
	v_sub_f32_e32 v1, v1, v15
	v_cndmask_b32_e32 v3, 0, v3, vcc
	v_cmp_nlt_f32_e32 vcc, s1, v12
	v_add_f32_e32 v1, v1, v14
	v_exp_f32_e32 v14, v1
	v_cndmask_b32_e32 v3, v28, v3, vcc
	v_cmp_ngt_f32_e32 vcc, s4, v8
	v_cvt_i32_f32_e32 v15, v15
	v_add_f32_e32 v12, v0, v3
	v_cndmask_b32_e32 v9, 0, v9, vcc
	v_cmp_nlt_f32_e32 vcc, s1, v8
	v_cvt_pk_f16_f32 v0, v0, v3
	s_nop 0
	v_cndmask_b32_e32 v1, v28, v9, vcc
	v_add_f32_e32 v8, v1, v12
	v_mul_f32_e32 v12, 0x3fb8aa3b, v10
	v_ldexp_f32 v9, v14, v15
	v_fma_f32 v14, v10, s3, -v12
	v_rndne_f32_e32 v15, v12
	v_fmac_f32_e32 v14, 0x32a5705f, v10
	v_sub_f32_e32 v12, v12, v15
	v_add_f32_e32 v12, v12, v14
	v_exp_f32_e32 v12, v12
	v_cvt_i32_f32_e32 v14, v15
	v_cmp_ngt_f32_e32 vcc, s4, v13
	s_nop 1
	v_cndmask_b32_e32 v9, 0, v9, vcc
	v_cmp_nlt_f32_e32 vcc, s1, v13
	s_nop 1
	v_cndmask_b32_e32 v30, v28, v9, vcc
	v_ldexp_f32 v9, v12, v14
	v_sub_f32_e32 v12, v2, v5
	v_mul_f32_e32 v2, 0x3fb8aa3b, v12
	v_fma_f32 v13, v12, s3, -v2
	v_rndne_f32_e32 v14, v2
	v_fmac_f32_e32 v13, 0x32a5705f, v12
	v_sub_f32_e32 v2, v2, v14
	v_add_f32_e32 v2, v2, v13
	v_exp_f32_e32 v13, v2
	v_cvt_i32_f32_e32 v14, v14
	v_cmp_ngt_f32_e32 vcc, s4, v10
	v_add_f32_e32 v8, v30, v8
	v_cvt_pk_f16_f32 v1, v1, v30
	v_cndmask_b32_e32 v9, 0, v9, vcc
	v_cmp_nlt_f32_e32 vcc, s1, v10
	v_sub_f32_e32 v10, v11, v5
	v_mul_f32_e32 v11, 0x3fb8aa3b, v10
	v_cndmask_b32_e32 v2, v28, v9, vcc
	v_ldexp_f32 v9, v13, v14
	v_fma_f32 v13, v10, s3, -v11
	v_rndne_f32_e32 v14, v11
	v_fmac_f32_e32 v13, 0x32a5705f, v10
	v_sub_f32_e32 v11, v11, v14
	v_add_f32_e32 v11, v11, v13
	v_exp_f32_e32 v11, v11
	v_cvt_i32_f32_e32 v13, v14
	v_cmp_ngt_f32_e32 vcc, s4, v12
	v_add_f32_e32 v8, v2, v8
	s_nop 0
	v_cndmask_b32_e32 v9, 0, v9, vcc
	v_cmp_nlt_f32_e32 vcc, s1, v12
	s_nop 1
	v_cndmask_b32_e32 v26, v28, v9, vcc
	v_add_f32_e32 v29, v26, v8
	v_ldexp_f32 v8, v11, v13
	v_cmp_ngt_f32_e32 vcc, s4, v10
	v_cvt_pk_f16_f32 v2, v2, v26
	s_nop 0
	v_cndmask_b32_e32 v8, 0, v8, vcc
	v_cmp_nlt_f32_e32 vcc, s1, v10
	v_add_u32_e32 v10, s0, v40
	v_ashrrev_i32_e32 v11, 31, v10
	v_lshl_add_u64 v[12:13], v[10:11], 2, s[6:7]
	v_add_u32_e32 v10, s0, v10
	v_ashrrev_i32_e32 v11, 31, v10
	v_lshl_add_u64 v[14:15], v[10:11], 2, s[6:7]
	;; [unrolled: 3-line block ×6, first 2 shown]
	v_add_u32_e32 v10, s0, v10
	v_cndmask_b32_e32 v27, v28, v8, vcc
	v_lshl_add_u64 v[8:9], v[40:41], 2, s[6:7]
	v_ashrrev_i32_e32 v11, 31, v10
	v_lshl_add_u64 v[8:9], v[8:9], 0, v[32:33]
	v_lshl_add_u64 v[10:11], v[10:11], 2, s[6:7]
	;; [unrolled: 1-line block ×9, first 2 shown]
	global_load_dwordx4 v[48:51], v[8:9], off
	global_load_dwordx4 v[52:55], v[12:13], off
	;; [unrolled: 1-line block ×8, first 2 shown]
	v_mul_f32_e32 v9, 0x3fb8aa3b, v7
	v_fma_f32 v10, v7, s3, -v9
	v_rndne_f32_e32 v11, v9
	v_fmac_f32_e32 v10, 0x32a5705f, v7
	v_sub_f32_e32 v9, v9, v11
	v_add_f32_e32 v9, v9, v10
	v_cvt_i32_f32_e32 v10, v11
	v_sub_f32_e32 v11, v36, v5
	v_mul_f32_e32 v12, 0x3fb8aa3b, v11
	v_fma_f32 v13, v11, s3, -v12
	v_rndne_f32_e32 v14, v12
	v_fmac_f32_e32 v13, 0x32a5705f, v11
	v_sub_f32_e32 v12, v12, v14
	v_exp_f32_e32 v9, v9
	v_add_f32_e32 v12, v12, v13
	v_exp_f32_e32 v12, v12
	v_cvt_i32_f32_e32 v13, v14
	v_ldexp_f32 v9, v9, v10
	v_cmp_ngt_f32_e32 vcc, s4, v7
	s_mov_b32 s0, 0xc1a00000
	v_ldexp_f32 v10, v12, v13
	v_cndmask_b32_e32 v9, 0, v9, vcc
	v_cmp_ngt_f32_e32 vcc, s4, v11
	v_add_f32_e32 v8, v27, v29
	s_waitcnt vmcnt(7)
	ds_write_b128 v34, v[48:51]
	s_waitcnt vmcnt(6)
	ds_write_b128 v22, v[52:55]
	;; [unrolled: 2-line block ×8, first 2 shown]
	v_cndmask_b32_e32 v10, 0, v10, vcc
	v_cmp_nlt_f32_e32 vcc, s1, v11
	s_waitcnt lgkmcnt(0)
	s_barrier
	v_cndmask_b32_e32 v10, v28, v10, vcc
	v_cmp_le_f32_e32 vcc, s0, v11
	s_movk_i32 s0, 0x420
	v_mad_u32_u24 v23, v81, s0, 0
	v_cndmask_b32_e32 v10, 0, v10, vcc
	v_cvt_f16_f32_e32 v11, v10
	v_cmp_nlt_f32_e32 vcc, s1, v7
	v_add3_u32 v22, v23, v47, v80
	s_nop 0
	v_cndmask_b32_e32 v83, v28, v9, vcc
	v_add_f32_e32 v7, v83, v8
	v_mul_u32_u24_e32 v8, 0x10001, v11
	v_pk_mul_f16 v40, v139, v8
	v_pk_mul_f16 v41, v138, v8
	v_add3_u32 v23, v23, v82, v80
	v_cvt_f32_f16_e32 v34, v40
	v_cvt_f32_f16_sdwa v42, v40 dst_sel:DWORD dst_unused:UNUSED_PAD src0_sel:WORD_1
	v_cvt_f32_f16_e32 v43, v41
	v_cvt_f32_f16_sdwa v44, v41 dst_sel:DWORD dst_unused:UNUSED_PAD src0_sel:WORD_1
	s_mov_b32 s0, 0x5040100
	ds_read_u16 v40, v22 offset:1056
	ds_read_u16 v45, v22 offset:1088
	;; [unrolled: 1-line block ×8, first 2 shown]
	ds_read_u16 v41, v23
	ds_read_u16 v52, v23 offset:32
	ds_read_u16 v53, v23 offset:64
	;; [unrolled: 1-line block ×7, first 2 shown]
	s_waitcnt lgkmcnt(7)
	v_perm_b32 v41, v41, v40, s0
	ds_read_u16 v40, v22
	ds_read_u16 v59, v22 offset:32
	ds_read_u16 v60, v22 offset:64
	;; [unrolled: 1-line block ×15, first 2 shown]
	s_waitcnt lgkmcnt(7)
	v_perm_b32 v40, v66, v40, s0
	v_accvgpr_write_b32 a0, v34
	v_accvgpr_write_b32 a1, v42
	;; [unrolled: 1-line block ×4, first 2 shown]
	v_fmac_f32_e32 v7, v37, v10
	v_pk_mul_f16 v84, v137, v8
	v_mfma_f32_16x16x16_f16 a[0:3], v[40:41], v[0:1], a[0:3]
	v_pk_mul_f16 v85, v136, v8
	v_pk_mul_f16 v86, v135, v8
	;; [unrolled: 1-line block ×8, first 2 shown]
	v_accvgpr_read_b32 v3, a0
	v_accvgpr_read_b32 v40, a3
	v_cvt_f16_f32_e32 v3, v3
	v_cvt_f16_f32_e32 v40, v40
	v_accvgpr_read_b32 v30, a1
	v_accvgpr_read_b32 v34, a2
	v_cvt_f16_f32_e32 v30, v30
	v_cvt_f16_f32_e32 v34, v34
	v_cvt_f32_f16_e32 v42, v3
	v_cvt_f32_f16_e32 v43, v40
	ds_read_u16 v3, v22 offset:17952
	ds_read_u16 v44, v22 offset:17984
	;; [unrolled: 1-line block ×16, first 2 shown]
	v_pk_mul_f16 v33, v128, v8
	v_pk_mul_f16 v32, v127, v8
	;; [unrolled: 1-line block ×21, first 2 shown]
	s_waitcnt lgkmcnt(7)
	v_perm_b32 v41, v40, v3, s0
	ds_read_u16 v3, v22 offset:16896
	ds_read_u16 v96, v22 offset:16928
	;; [unrolled: 1-line block ×16, first 2 shown]
	v_cvt_f32_f16_e32 v30, v30
	v_cvt_f32_f16_e32 v34, v34
	s_waitcnt lgkmcnt(7)
	v_perm_b32 v40, v40, v3, s0
	v_cvt_pk_f16_f32 v3, v27, v83
	v_accvgpr_write_b32 a0, v42
	v_accvgpr_write_b32 a1, v30
	;; [unrolled: 1-line block ×4, first 2 shown]
	v_cvt_f32_f16_e32 v30, v84
	v_cvt_f32_f16_sdwa v34, v84 dst_sel:DWORD dst_unused:UNUSED_PAD src0_sel:WORD_1
	v_mfma_f32_16x16x16_f16 a[0:3], v[40:41], v[2:3], a[0:3]
	v_cvt_f32_f16_e32 v40, v85
	v_cvt_f32_f16_sdwa v41, v85 dst_sel:DWORD dst_unused:UNUSED_PAD src0_sel:WORD_1
	v_perm_b32 v27, v52, v45, s0
	v_perm_b32 v26, v67, v59, s0
	v_accvgpr_write_b32 a4, v30
	v_accvgpr_write_b32 a5, v34
	;; [unrolled: 1-line block ×4, first 2 shown]
	ds_bpermute_b32 v6, v6, v7
	s_movk_i32 s3, 0x210
	v_mfma_f32_16x16x16_f16 a[4:7], v[26:27], v[0:1], a[4:7]
	s_nop 7
	v_accvgpr_read_b32 v26, a4
	v_accvgpr_read_b32 v27, a5
	v_accvgpr_read_b32 v30, a6
	v_accvgpr_read_b32 v34, a7
	v_cvt_f16_f32_e32 v26, v26
	v_cvt_f16_f32_e32 v27, v27
	v_cvt_f16_f32_e32 v30, v30
	v_cvt_f16_f32_e32 v34, v34
	v_cvt_f32_f16_e32 v40, v26
	v_cvt_f32_f16_e32 v41, v27
	v_cvt_f32_f16_e32 v30, v30
	v_cvt_f32_f16_e32 v34, v34
	v_perm_b32 v27, v88, v44, s0
	s_waitcnt lgkmcnt(7)
	v_perm_b32 v26, v103, v96, s0
	v_accvgpr_write_b32 a4, v40
	v_accvgpr_write_b32 a5, v41
	v_accvgpr_write_b32 a6, v30
	v_accvgpr_write_b32 a7, v34
	v_cvt_f32_f16_e32 v30, v86
	v_cvt_f32_f16_sdwa v34, v86 dst_sel:DWORD dst_unused:UNUSED_PAD src0_sel:WORD_1
	v_mfma_f32_16x16x16_f16 a[4:7], v[26:27], v[2:3], a[4:7]
	v_cvt_f32_f16_e32 v40, v92
	v_cvt_f32_f16_sdwa v41, v92 dst_sel:DWORD dst_unused:UNUSED_PAD src0_sel:WORD_1
	v_perm_b32 v27, v53, v46, s0
	v_perm_b32 v26, v68, v60, s0
	v_accvgpr_write_b32 a8, v30
	v_accvgpr_write_b32 a9, v34
	v_accvgpr_write_b32 a10, v40
	v_accvgpr_write_b32 a11, v41
	s_nop 1
	v_mfma_f32_16x16x16_f16 a[8:11], v[26:27], v[0:1], a[8:11]
	s_nop 7
	v_accvgpr_read_b32 v26, a8
	v_accvgpr_read_b32 v27, a9
	v_accvgpr_read_b32 v30, a10
	v_accvgpr_read_b32 v34, a11
	v_cvt_f16_f32_e32 v26, v26
	v_cvt_f16_f32_e32 v27, v27
	v_cvt_f16_f32_e32 v30, v30
	v_cvt_f16_f32_e32 v34, v34
	v_cvt_f32_f16_e32 v40, v26
	v_cvt_f32_f16_e32 v41, v27
	v_cvt_f32_f16_e32 v30, v30
	v_cvt_f32_f16_e32 v34, v34
	v_perm_b32 v27, v89, v66, s0
	s_waitcnt lgkmcnt(6)
	v_perm_b32 v26, v104, v97, s0
	v_accvgpr_write_b32 a8, v40
	v_accvgpr_write_b32 a9, v41
	v_accvgpr_write_b32 a10, v30
	v_accvgpr_write_b32 a11, v34
	v_cvt_f32_f16_e32 v30, v39
	v_cvt_f32_f16_sdwa v34, v39 dst_sel:DWORD dst_unused:UNUSED_PAD src0_sel:WORD_1
	v_mfma_f32_16x16x16_f16 a[8:11], v[26:27], v[2:3], a[8:11]
	v_cvt_f32_f16_e32 v39, v38
	v_cvt_f32_f16_sdwa v38, v38 dst_sel:DWORD dst_unused:UNUSED_PAD src0_sel:WORD_1
	v_perm_b32 v27, v54, v47, s0
	v_perm_b32 v26, v69, v61, s0
	v_accvgpr_write_b32 a12, v30
	v_accvgpr_write_b32 a13, v34
	v_accvgpr_write_b32 a14, v39
	v_accvgpr_write_b32 a15, v38
	s_nop 1
	;; [unrolled: 33-line block ×6, first 2 shown]
	v_mfma_f32_16x16x16_f16 a[28:31], v[26:27], v[0:1], a[28:31]
	s_nop 7
	v_accvgpr_read_b32 v26, a28
	v_accvgpr_read_b32 v27, a29
	v_accvgpr_read_b32 v28, a30
	v_accvgpr_read_b32 v29, a31
	v_cvt_f16_f32_e32 v26, v26
	v_cvt_f16_f32_e32 v27, v27
	;; [unrolled: 1-line block ×4, first 2 shown]
	v_cvt_f32_f16_e32 v30, v26
	v_cvt_f32_f16_e32 v31, v27
	;; [unrolled: 1-line block ×4, first 2 shown]
	v_perm_b32 v27, v95, v82, s0
	s_waitcnt lgkmcnt(1)
	v_perm_b32 v26, v109, v102, s0
	v_accvgpr_write_b32 a28, v30
	v_accvgpr_write_b32 a29, v31
	;; [unrolled: 1-line block ×4, first 2 shown]
	v_cvt_f32_f16_e32 v28, v24
	v_cvt_f32_f16_sdwa v29, v24 dst_sel:DWORD dst_unused:UNUSED_PAD src0_sel:WORD_1
	v_mfma_f32_16x16x16_f16 a[28:31], v[26:27], v[2:3], a[28:31]
	v_cvt_f32_f16_e32 v26, v25
	v_cvt_f32_f16_sdwa v27, v25 dst_sel:DWORD dst_unused:UNUSED_PAD src0_sel:WORD_1
	ds_read_u16 v24, v22 offset:1312
	ds_read_u16 v30, v22 offset:1344
	;; [unrolled: 1-line block ×16, first 2 shown]
	s_waitcnt lgkmcnt(7)
	v_perm_b32 v25, v25, v24, s0
	ds_read_u16 v24, v22 offset:256
	ds_read_u16 v44, v22 offset:288
	;; [unrolled: 1-line block ×16, first 2 shown]
	s_waitcnt lgkmcnt(7)
	v_perm_b32 v24, v51, v24, s0
	v_accvgpr_write_b32 a32, v26
	v_accvgpr_write_b32 a33, v27
	;; [unrolled: 1-line block ×4, first 2 shown]
	ds_read_u16 v28, v22 offset:18208
	ds_read_u16 v29, v22 offset:18240
	;; [unrolled: 1-line block ×16, first 2 shown]
	v_mfma_f32_16x16x16_f16 a[32:35], v[24:25], v[0:1], a[32:35]
	s_waitcnt lgkmcnt(7)
	v_perm_b32 v23, v64, v28, s0
	ds_read_u16 v28, v22 offset:17152
	ds_read_u16 v64, v22 offset:17184
	;; [unrolled: 1-line block ×16, first 2 shown]
	s_waitcnt lgkmcnt(7)
	v_perm_b32 v22, v82, v28, s0
	v_accvgpr_read_b32 v24, a32
	v_accvgpr_read_b32 v25, a33
	;; [unrolled: 1-line block ×4, first 2 shown]
	v_cvt_f16_f32_e32 v24, v24
	v_cvt_f16_f32_e32 v25, v25
	;; [unrolled: 1-line block ×4, first 2 shown]
	v_cvt_f32_f16_e32 v24, v24
	v_cvt_f32_f16_e32 v25, v25
	;; [unrolled: 1-line block ×4, first 2 shown]
	v_accvgpr_write_b32 a32, v24
	v_accvgpr_write_b32 a33, v25
	;; [unrolled: 1-line block ×4, first 2 shown]
	v_cvt_f32_f16_e32 v24, v20
	v_cvt_f32_f16_sdwa v25, v20 dst_sel:DWORD dst_unused:UNUSED_PAD src0_sel:WORD_1
	v_mfma_f32_16x16x16_f16 a[32:35], v[22:23], v[2:3], a[32:35]
	v_cvt_f32_f16_e32 v22, v21
	v_cvt_f32_f16_sdwa v23, v21 dst_sel:DWORD dst_unused:UNUSED_PAD src0_sel:WORD_1
	v_perm_b32 v21, v37, v30, s0
	v_perm_b32 v20, v52, v44, s0
	v_accvgpr_write_b32 a36, v22
	v_accvgpr_write_b32 a37, v23
	;; [unrolled: 1-line block ×4, first 2 shown]
	s_waitcnt lgkmcnt(0)
	s_barrier
	v_mfma_f32_16x16x16_f16 a[36:39], v[20:21], v[0:1], a[36:39]
	s_nop 7
	v_accvgpr_read_b32 v20, a36
	v_accvgpr_read_b32 v21, a37
	v_accvgpr_read_b32 v22, a38
	v_accvgpr_read_b32 v23, a39
	v_cvt_f16_f32_e32 v20, v20
	v_cvt_f16_f32_e32 v21, v21
	v_cvt_f16_f32_e32 v22, v22
	v_cvt_f16_f32_e32 v23, v23
	v_cvt_f32_f16_e32 v24, v20
	v_cvt_f32_f16_e32 v25, v21
	v_cvt_f32_f16_e32 v22, v22
	v_cvt_f32_f16_e32 v23, v23
	v_perm_b32 v21, v65, v29, s0
	v_perm_b32 v20, v83, v64, s0
	v_accvgpr_write_b32 a36, v24
	v_accvgpr_write_b32 a37, v25
	v_accvgpr_write_b32 a38, v22
	v_accvgpr_write_b32 a39, v23
	v_cvt_f32_f16_e32 v22, v18
	v_cvt_f32_f16_sdwa v23, v18 dst_sel:DWORD dst_unused:UNUSED_PAD src0_sel:WORD_1
	v_mfma_f32_16x16x16_f16 a[36:39], v[20:21], v[2:3], a[36:39]
	v_cvt_f32_f16_e32 v20, v19
	v_cvt_f32_f16_sdwa v21, v19 dst_sel:DWORD dst_unused:UNUSED_PAD src0_sel:WORD_1
	v_perm_b32 v19, v38, v31, s0
	v_perm_b32 v18, v53, v45, s0
	v_accvgpr_write_b32 a40, v20
	v_accvgpr_write_b32 a41, v21
	v_accvgpr_write_b32 a42, v22
	v_accvgpr_write_b32 a43, v23
	s_nop 1
	v_mfma_f32_16x16x16_f16 a[40:43], v[18:19], v[0:1], a[40:43]
	s_nop 7
	v_accvgpr_read_b32 v18, a40
	v_accvgpr_read_b32 v19, a41
	v_accvgpr_read_b32 v20, a42
	v_accvgpr_read_b32 v21, a43
	v_cvt_f16_f32_e32 v18, v18
	v_cvt_f16_f32_e32 v19, v19
	v_cvt_f16_f32_e32 v20, v20
	v_cvt_f16_f32_e32 v21, v21
	v_cvt_f32_f16_e32 v22, v18
	v_cvt_f32_f16_e32 v23, v19
	v_cvt_f32_f16_e32 v20, v20
	v_cvt_f32_f16_e32 v21, v21
	v_perm_b32 v19, v66, v51, s0
	v_perm_b32 v18, v84, v72, s0
	v_accvgpr_write_b32 a40, v22
	v_accvgpr_write_b32 a41, v23
	v_accvgpr_write_b32 a42, v20
	v_accvgpr_write_b32 a43, v21
	v_cvt_f32_f16_e32 v20, v16
	v_cvt_f32_f16_sdwa v21, v16 dst_sel:DWORD dst_unused:UNUSED_PAD src0_sel:WORD_1
	v_mfma_f32_16x16x16_f16 a[40:43], v[18:19], v[2:3], a[40:43]
	v_cvt_f32_f16_e32 v18, v17
	v_cvt_f32_f16_sdwa v19, v17 dst_sel:DWORD dst_unused:UNUSED_PAD src0_sel:WORD_1
	v_perm_b32 v17, v39, v32, s0
	v_perm_b32 v16, v54, v46, s0
	v_accvgpr_write_b32 a44, v18
	v_accvgpr_write_b32 a45, v19
	v_accvgpr_write_b32 a46, v20
	v_accvgpr_write_b32 a47, v21
	s_nop 1
	;; [unrolled: 32-line block ×6, first 2 shown]
	v_mfma_f32_16x16x16_f16 a[60:63], v[8:9], v[0:1], a[60:63]
	s_nop 7
	v_accvgpr_read_b32 v0, a60
	v_accvgpr_read_b32 v1, a61
	;; [unrolled: 1-line block ×4, first 2 shown]
	v_cvt_f16_f32_e32 v0, v0
	v_cvt_f16_f32_e32 v1, v1
	v_cvt_f16_f32_e32 v8, v8
	v_cvt_f16_f32_e32 v9, v9
	v_cvt_f32_f16_e32 v10, v0
	v_cvt_f32_f16_e32 v11, v1
	;; [unrolled: 1-line block ×4, first 2 shown]
	v_perm_b32 v1, v71, v63, s0
	v_perm_b32 v0, v90, v81, s0
	v_accvgpr_write_b32 a60, v10
	v_accvgpr_write_b32 a61, v11
	;; [unrolled: 1-line block ×4, first 2 shown]
	v_cmp_gt_u32_e64 s[0:1], 16, v76
	s_nop 0
	v_mfma_f32_16x16x16_f16 a[60:63], v[0:1], v[2:3], a[60:63]
	v_add_f32_e32 v0, v7, v6
	ds_bpermute_b32 v1, v4, v0
	s_and_saveexec_b64 s[4:5], s[0:1]
	s_cbranch_execz .LBB32_514
; %bb.513:
	s_waitcnt lgkmcnt(0)
	v_add_f32_e32 v0, v0, v1
	v_or_b32_e32 v1, v216, v76
	v_mad_u32_u24 v1, v1, s3, 0
	ds_write2_b32 v1, v5, v0 offset0:128 offset1:129
.LBB32_514:
	s_or_b64 exec, exec, s[4:5]
	v_and_b32_e32 v0, 1, v87
	v_cmp_eq_u32_e32 vcc, 0, v0
	v_cmp_eq_u32_e64 s[4:5], 1, v0
	s_waitcnt lgkmcnt(0)
	s_barrier
	s_and_saveexec_b64 s[6:7], s[4:5]
	s_xor_b64 s[4:5], exec, s[6:7]
	s_cbranch_execz .LBB32_516
; %bb.515:
	s_barrier
                                        ; implicit-def: $vgpr217
                                        ; implicit-def: $vgpr4
.LBB32_516:
	s_andn2_saveexec_b64 s[6:7], s[4:5]
	s_cbranch_execz .LBB32_522
; %bb.517:
	v_and_or_b32 v1, v76, 31, v216
	v_mad_u32_u24 v0, v1, s3, 0
	ds_read_b64 v[6:7], v0 offset:512
	s_mov_b32 s3, 0x3fb8aa3b
	s_mov_b32 s8, 0x42b17218
	s_waitcnt lgkmcnt(0)
	s_barrier
	ds_bpermute_b32 v0, v4, v6
	v_max_f32_e32 v2, v6, v6
	s_waitcnt lgkmcnt(0)
	v_max_f32_e32 v0, v0, v0
	v_max_f32_e32 v0, v2, v0
	v_sub_f32_e32 v2, v6, v0
	v_mul_f32_e32 v3, 0x3fb8aa3b, v2
	v_fma_f32 v5, v2, s3, -v3
	v_rndne_f32_e32 v6, v3
	v_fmamk_f32 v5, v2, 0x32a5705f, v5
	v_sub_f32_e32 v3, v3, v6
	v_add_f32_e32 v3, v3, v5
	v_cvt_i32_f32_e32 v6, v6
	v_exp_f32_e32 v3, v3
	s_mov_b32 s3, 0xc2ce8ed0
	v_cmp_ngt_f32_e64 s[4:5], s3, v2
	v_mov_b32_e32 v5, 0x7f800000
	v_ldexp_f32 v3, v3, v6
	v_cndmask_b32_e64 v3, 0, v3, s[4:5]
	v_cmp_nlt_f32_e64 s[4:5], s8, v2
	s_nop 1
	v_cndmask_b32_e64 v2, v5, v3, s[4:5]
	v_mul_f32_e32 v3, v7, v2
	ds_bpermute_b32 v3, v4, v3
	v_cmp_gt_u32_e64 s[4:5], 32, v76
	s_waitcnt lgkmcnt(0)
	v_fmac_f32_e32 v3, v7, v2
	s_and_saveexec_b64 s[8:9], s[4:5]
; %bb.518:
	v_mul_u32_u24_e32 v1, 0x210, v1
	v_add_u32_e32 v1, 0, v1
	ds_write_b64 v1, v[2:3] offset:512
; %bb.519:
	s_or_b64 exec, exec, s[8:9]
	s_and_saveexec_b64 s[4:5], s[0:1]
	s_cbranch_execz .LBB32_521
; %bb.520:
	s_add_i32 s0, s33, s2
	s_lshl_b32 s0, s0, 5
	s_mov_b32 s1, 0
	s_lshl_b64 s[0:1], s[0:1], 3
	s_add_u32 s0, s30, s0
	v_or_b32_e32 v1, v217, v76
	s_addc_u32 s1, s31, s1
	v_lshlrev_b32_e32 v2, 3, v1
	v_mov_b32_e32 v1, v3
	global_store_dwordx2 v2, v[0:1], s[0:1]
.LBB32_521:
	s_or_b64 exec, exec, s[4:5]
.LBB32_522:
	s_or_b64 exec, exec, s[6:7]
	v_accvgpr_read_b32 v0, a60
	v_accvgpr_read_b32 v1, a61
	;; [unrolled: 1-line block ×3, first 2 shown]
	v_cvt_pk_f16_f32 v0, v0, v1
	v_or_b32_e32 v1, v216, v78
	v_accvgpr_read_b32 v62, a2
	v_accvgpr_read_b32 v61, a1
	;; [unrolled: 1-line block ×17, first 2 shown]
	v_mul_u32_u24_e32 v1, 0x210, v1
	v_accvgpr_read_b32 v58, a6
	v_accvgpr_read_b32 v57, a5
	;; [unrolled: 1-line block ×44, first 2 shown]
	v_cvt_pk_f16_f32 v62, v62, v63
	v_cvt_pk_f16_f32 v60, v60, v61
	s_mov_b32 s3, 0
	s_movk_i32 s4, 0x210
	v_add3_u32 v1, 0, v79, v1
	v_cvt_pk_f16_f32 v58, v58, v59
	v_cvt_pk_f16_f32 v56, v56, v57
	;; [unrolled: 1-line block ×29, first 2 shown]
	ds_write2_b32 v1, v60, v62 offset1:1
	ds_write2_b32 v1, v56, v58 offset0:8 offset1:9
	ds_write2_b32 v1, v52, v54 offset0:16 offset1:17
	ds_write2_b32 v1, v48, v50 offset0:24 offset1:25
	ds_write2_b32 v1, v44, v46 offset0:32 offset1:33
	ds_write2_b32 v1, v40, v42 offset0:40 offset1:41
	ds_write2_b32 v1, v36, v38 offset0:48 offset1:49
	ds_write2_b32 v1, v32, v34 offset0:56 offset1:57
	ds_write2_b32 v1, v28, v30 offset0:64 offset1:65
	ds_write2_b32 v1, v24, v26 offset0:72 offset1:73
	ds_write2_b32 v1, v20, v22 offset0:80 offset1:81
	ds_write2_b32 v1, v16, v18 offset0:88 offset1:89
	ds_write2_b32 v1, v12, v14 offset0:96 offset1:97
	ds_write2_b32 v1, v8, v10 offset0:104 offset1:105
	ds_write2_b32 v1, v4, v6 offset0:112 offset1:113
	ds_write2_b32 v1, v0, v2 offset0:120 offset1:121
	s_waitcnt lgkmcnt(0)
	s_barrier
	s_and_saveexec_b64 s[0:1], vcc
	s_cbranch_execz .LBB32_524
; %bb.523:
	s_lshl_b32 s2, s2, 12
	s_lshl_b64 s[6:7], s[2:3], 3
	s_add_u32 s5, s30, s6
	s_addc_u32 s6, s31, s7
	s_lshl_b32 s2, s33, 6
	s_lshl_b64 s[2:3], s[2:3], 3
	s_add_u32 s2, s5, s2
	v_bfe_u32 v1, v87, 1, 4
	s_movk_i32 s5, 0x3e0
	v_and_or_b32 v2, v87, s5, v1
	v_mad_u32_u24 v6, v2, s4, 0
	v_add_u32_e32 v4, v6, v77
	ds_read2st64_b32 v[2:3], v4 offset1:1
	ds_read2st64_b32 v[4:5], v4 offset0:33 offset1:34
	ds_read2st64_b32 v[6:7], v6 offset0:2 offset1:35
	v_lshrrev_b32_e32 v0, 1, v87
	v_lshlrev_b32_e32 v12, 6, v87
	s_waitcnt lgkmcnt(2)
	v_cvt_f32_f16_e32 v8, v2
	v_cvt_f32_f16_sdwa v9, v2 dst_sel:DWORD dst_unused:UNUSED_PAD src0_sel:WORD_1
	s_waitcnt lgkmcnt(1)
	v_cvt_f32_f16_e32 v10, v4
	v_cvt_f32_f16_sdwa v11, v4 dst_sel:DWORD dst_unused:UNUSED_PAD src0_sel:WORD_1
	s_waitcnt lgkmcnt(0)
	v_mov_b32_e32 v2, v7
	v_pk_fma_f32 v[8:9], v[6:7], v[8:9], 0 op_sel_hi:[0,1,0]
	s_addc_u32 s3, s6, s3
	v_add_lshl_u32 v12, v76, v12, 3
	v_pk_fma_f32 v[8:9], v[2:3], v[10:11], v[8:9] op_sel_hi:[0,1,1]
	v_add_u32_e32 v13, 2, v0
	global_store_dwordx2 v12, v[8:9], s[2:3]
	v_cvt_f32_f16_e32 v8, v3
	v_cvt_f32_f16_sdwa v9, v3 dst_sel:DWORD dst_unused:UNUSED_PAD src0_sel:WORD_1
	v_lshlrev_b32_e32 v3, 1, v13
	v_and_b32_e32 v7, 15, v13
	s_movk_i32 s5, 0x7e0
	v_and_or_b32 v3, v3, s5, v7
	v_mad_u32_u24 v14, v3, s4, 0
	v_add_u32_e32 v15, v14, v77
	v_cvt_f32_f16_e32 v4, v5
	v_cvt_f32_f16_sdwa v5, v5 dst_sel:DWORD dst_unused:UNUSED_PAD src0_sel:WORD_1
	ds_read2st64_b32 v[10:11], v15 offset1:1
	v_pk_fma_f32 v[6:7], v[6:7], v[8:9], 0 op_sel_hi:[0,1,0]
	v_pk_fma_f32 v[2:3], v[2:3], v[4:5], v[6:7] op_sel_hi:[0,1,1]
	ds_read2st64_b32 v[4:5], v14 offset0:2 offset1:35
	ds_read2st64_b32 v[6:7], v15 offset0:33 offset1:34
	s_waitcnt lgkmcnt(2)
	v_cvt_f32_f16_e32 v8, v10
	v_cvt_f32_f16_sdwa v9, v10 dst_sel:DWORD dst_unused:UNUSED_PAD src0_sel:WORD_1
	global_store_dwordx2 v12, v[2:3], s[2:3] offset:512
	v_lshlrev_b32_e32 v2, 7, v13
	v_add_lshl_u32 v14, v76, v2, 3
	s_waitcnt lgkmcnt(1)
	v_pk_fma_f32 v[2:3], v[4:5], v[8:9], 0 op_sel_hi:[0,1,0]
	s_waitcnt lgkmcnt(0)
	v_cvt_f32_f16_e32 v8, v6
	v_cvt_f32_f16_sdwa v9, v6 dst_sel:DWORD dst_unused:UNUSED_PAD src0_sel:WORD_1
	v_cvt_f32_f16_e32 v10, v11
	v_cvt_f32_f16_sdwa v11, v11 dst_sel:DWORD dst_unused:UNUSED_PAD src0_sel:WORD_1
	v_cvt_f32_f16_e32 v12, v7
	v_cvt_f32_f16_sdwa v13, v7 dst_sel:DWORD dst_unused:UNUSED_PAD src0_sel:WORD_1
	v_mov_b32_e32 v6, v5
	v_pk_fma_f32 v[2:3], v[6:7], v[8:9], v[2:3] op_sel_hi:[0,1,1]
	global_store_dwordx2 v14, v[2:3], s[2:3]
	v_pk_fma_f32 v[2:3], v[4:5], v[10:11], 0 op_sel_hi:[0,1,0]
	v_pk_fma_f32 v[2:3], v[6:7], v[12:13], v[2:3] op_sel_hi:[0,1,1]
	v_add_u32_e32 v6, 4, v0
	v_lshlrev_b32_e32 v4, 1, v6
	v_and_b32_e32 v5, 15, v6
	v_and_or_b32 v4, v4, s5, v5
	v_mad_u32_u24 v7, v4, s4, 0
	v_add_u32_e32 v8, v7, v77
	ds_read2st64_b32 v[4:5], v8 offset1:1
	global_store_dwordx2 v14, v[2:3], s[2:3] offset:512
	ds_read2st64_b32 v[2:3], v8 offset0:33 offset1:34
	v_lshlrev_b32_e32 v12, 7, v6
	ds_read2st64_b32 v[6:7], v7 offset0:2 offset1:35
	s_waitcnt lgkmcnt(2)
	v_cvt_f32_f16_e32 v8, v4
	v_cvt_f32_f16_sdwa v9, v4 dst_sel:DWORD dst_unused:UNUSED_PAD src0_sel:WORD_1
	s_waitcnt lgkmcnt(1)
	v_cvt_f32_f16_e32 v10, v2
	v_cvt_f32_f16_sdwa v11, v2 dst_sel:DWORD dst_unused:UNUSED_PAD src0_sel:WORD_1
	s_waitcnt lgkmcnt(0)
	v_mov_b32_e32 v2, v7
	v_pk_fma_f32 v[8:9], v[6:7], v[8:9], 0 op_sel_hi:[0,1,0]
	v_add_lshl_u32 v12, v76, v12, 3
	v_pk_fma_f32 v[8:9], v[2:3], v[10:11], v[8:9] op_sel_hi:[0,1,1]
	v_add_u32_e32 v13, 6, v0
	global_store_dwordx2 v12, v[8:9], s[2:3]
	v_cvt_f32_f16_e32 v8, v3
	v_cvt_f32_f16_sdwa v9, v3 dst_sel:DWORD dst_unused:UNUSED_PAD src0_sel:WORD_1
	v_lshlrev_b32_e32 v3, 1, v13
	v_and_b32_e32 v7, 15, v13
	v_and_or_b32 v3, v3, s5, v7
	v_mad_u32_u24 v7, v3, s4, 0
	v_cvt_f32_f16_e32 v4, v5
	v_cvt_f32_f16_sdwa v5, v5 dst_sel:DWORD dst_unused:UNUSED_PAD src0_sel:WORD_1
	v_add_u32_e32 v14, v7, v77
	ds_read2st64_b32 v[10:11], v14 offset1:1
	v_pk_fma_f32 v[4:5], v[6:7], v[4:5], 0 op_sel_hi:[0,1,0]
	v_pk_fma_f32 v[2:3], v[2:3], v[8:9], v[4:5] op_sel_hi:[0,1,1]
	ds_read2st64_b32 v[4:5], v7 offset0:2 offset1:35
	ds_read2st64_b32 v[6:7], v14 offset0:33 offset1:34
	s_waitcnt lgkmcnt(2)
	v_cvt_f32_f16_e32 v8, v10
	v_cvt_f32_f16_sdwa v9, v10 dst_sel:DWORD dst_unused:UNUSED_PAD src0_sel:WORD_1
	global_store_dwordx2 v12, v[2:3], s[2:3] offset:512
	v_lshlrev_b32_e32 v2, 7, v13
	v_add_lshl_u32 v14, v76, v2, 3
	s_waitcnt lgkmcnt(1)
	v_pk_fma_f32 v[2:3], v[4:5], v[8:9], 0 op_sel_hi:[0,1,0]
	s_waitcnt lgkmcnt(0)
	v_cvt_f32_f16_e32 v8, v6
	v_cvt_f32_f16_sdwa v9, v6 dst_sel:DWORD dst_unused:UNUSED_PAD src0_sel:WORD_1
	v_cvt_f32_f16_e32 v10, v11
	v_cvt_f32_f16_sdwa v11, v11 dst_sel:DWORD dst_unused:UNUSED_PAD src0_sel:WORD_1
	v_cvt_f32_f16_e32 v12, v7
	v_cvt_f32_f16_sdwa v13, v7 dst_sel:DWORD dst_unused:UNUSED_PAD src0_sel:WORD_1
	v_mov_b32_e32 v6, v5
	v_pk_fma_f32 v[2:3], v[6:7], v[8:9], v[2:3] op_sel_hi:[0,1,1]
	global_store_dwordx2 v14, v[2:3], s[2:3]
	v_pk_fma_f32 v[2:3], v[4:5], v[10:11], 0 op_sel_hi:[0,1,0]
	v_pk_fma_f32 v[2:3], v[6:7], v[12:13], v[2:3] op_sel_hi:[0,1,1]
	v_add_u32_e32 v6, 8, v0
	v_lshlrev_b32_e32 v4, 1, v6
	v_and_b32_e32 v5, 15, v6
	v_and_or_b32 v4, v4, s5, v5
	v_mad_u32_u24 v7, v4, s4, 0
	v_add_u32_e32 v8, v7, v77
	ds_read2st64_b32 v[4:5], v8 offset1:1
	global_store_dwordx2 v14, v[2:3], s[2:3] offset:512
	ds_read2st64_b32 v[2:3], v8 offset0:33 offset1:34
	v_lshlrev_b32_e32 v12, 7, v6
	ds_read2st64_b32 v[6:7], v7 offset0:2 offset1:35
	s_waitcnt lgkmcnt(2)
	v_cvt_f32_f16_e32 v8, v4
	v_cvt_f32_f16_sdwa v9, v4 dst_sel:DWORD dst_unused:UNUSED_PAD src0_sel:WORD_1
	s_waitcnt lgkmcnt(1)
	v_cvt_f32_f16_e32 v10, v2
	v_cvt_f32_f16_sdwa v11, v2 dst_sel:DWORD dst_unused:UNUSED_PAD src0_sel:WORD_1
	s_waitcnt lgkmcnt(0)
	v_mov_b32_e32 v2, v7
	v_pk_fma_f32 v[8:9], v[6:7], v[8:9], 0 op_sel_hi:[0,1,0]
	v_add_lshl_u32 v12, v76, v12, 3
	v_pk_fma_f32 v[8:9], v[2:3], v[10:11], v[8:9] op_sel_hi:[0,1,1]
	v_add_u32_e32 v13, 10, v0
	global_store_dwordx2 v12, v[8:9], s[2:3]
	v_cvt_f32_f16_e32 v8, v3
	v_cvt_f32_f16_sdwa v9, v3 dst_sel:DWORD dst_unused:UNUSED_PAD src0_sel:WORD_1
	v_lshlrev_b32_e32 v3, 1, v13
	v_and_b32_e32 v7, 15, v13
	v_and_or_b32 v3, v3, s5, v7
	v_mad_u32_u24 v7, v3, s4, 0
	v_cvt_f32_f16_e32 v4, v5
	v_cvt_f32_f16_sdwa v5, v5 dst_sel:DWORD dst_unused:UNUSED_PAD src0_sel:WORD_1
	v_add_u32_e32 v14, v7, v77
	;; [unrolled: 58-line block ×3, first 2 shown]
	ds_read2st64_b32 v[10:11], v14 offset1:1
	v_pk_fma_f32 v[4:5], v[6:7], v[4:5], 0 op_sel_hi:[0,1,0]
	v_pk_fma_f32 v[2:3], v[2:3], v[8:9], v[4:5] op_sel_hi:[0,1,1]
	ds_read2st64_b32 v[4:5], v7 offset0:2 offset1:35
	ds_read2st64_b32 v[6:7], v14 offset0:33 offset1:34
	s_waitcnt lgkmcnt(2)
	v_cvt_f32_f16_e32 v8, v10
	v_cvt_f32_f16_sdwa v9, v10 dst_sel:DWORD dst_unused:UNUSED_PAD src0_sel:WORD_1
	global_store_dwordx2 v12, v[2:3], s[2:3] offset:512
	v_lshlrev_b32_e32 v2, 7, v13
	v_add_lshl_u32 v14, v76, v2, 3
	s_waitcnt lgkmcnt(1)
	v_pk_fma_f32 v[2:3], v[4:5], v[8:9], 0 op_sel_hi:[0,1,0]
	s_waitcnt lgkmcnt(0)
	v_cvt_f32_f16_e32 v8, v6
	v_cvt_f32_f16_sdwa v9, v6 dst_sel:DWORD dst_unused:UNUSED_PAD src0_sel:WORD_1
	v_cvt_f32_f16_e32 v10, v11
	v_cvt_f32_f16_sdwa v11, v11 dst_sel:DWORD dst_unused:UNUSED_PAD src0_sel:WORD_1
	;; [unrolled: 2-line block ×3, first 2 shown]
	v_mov_b32_e32 v6, v5
	v_pk_fma_f32 v[2:3], v[6:7], v[8:9], v[2:3] op_sel_hi:[0,1,1]
	global_store_dwordx2 v14, v[2:3], s[2:3]
	v_pk_fma_f32 v[2:3], v[4:5], v[10:11], 0 op_sel_hi:[0,1,0]
	v_pk_fma_f32 v[2:3], v[6:7], v[12:13], v[2:3] op_sel_hi:[0,1,1]
	v_add_u32_e32 v6, 16, v0
	v_lshlrev_b32_e32 v4, 1, v6
	v_and_or_b32 v1, v4, s5, v1
	v_mad_u32_u24 v1, v1, s4, 0
	v_add_u32_e32 v7, v1, v77
	ds_read2st64_b32 v[4:5], v7 offset1:1
	global_store_dwordx2 v14, v[2:3], s[2:3] offset:512
	ds_read2st64_b32 v[2:3], v7 offset0:33 offset1:34
	v_lshlrev_b32_e32 v12, 7, v6
	ds_read2st64_b32 v[6:7], v1 offset0:2 offset1:35
	s_waitcnt lgkmcnt(2)
	v_cvt_f32_f16_e32 v8, v4
	v_cvt_f32_f16_sdwa v9, v4 dst_sel:DWORD dst_unused:UNUSED_PAD src0_sel:WORD_1
	s_waitcnt lgkmcnt(1)
	v_cvt_f32_f16_e32 v10, v2
	v_cvt_f32_f16_sdwa v11, v2 dst_sel:DWORD dst_unused:UNUSED_PAD src0_sel:WORD_1
	s_waitcnt lgkmcnt(0)
	v_mov_b32_e32 v2, v7
	v_pk_fma_f32 v[8:9], v[6:7], v[8:9], 0 op_sel_hi:[0,1,0]
	v_add_lshl_u32 v1, v76, v12, 3
	v_pk_fma_f32 v[8:9], v[2:3], v[10:11], v[8:9] op_sel_hi:[0,1,1]
	v_add_u32_e32 v12, 18, v0
	global_store_dwordx2 v1, v[8:9], s[2:3]
	v_cvt_f32_f16_e32 v8, v3
	v_cvt_f32_f16_sdwa v9, v3 dst_sel:DWORD dst_unused:UNUSED_PAD src0_sel:WORD_1
	v_lshlrev_b32_e32 v3, 1, v12
	v_and_b32_e32 v7, 15, v12
	v_and_or_b32 v3, v3, s5, v7
	v_mad_u32_u24 v7, v3, s4, 0
	v_cvt_f32_f16_e32 v4, v5
	v_cvt_f32_f16_sdwa v5, v5 dst_sel:DWORD dst_unused:UNUSED_PAD src0_sel:WORD_1
	v_add_u32_e32 v13, v7, v77
	ds_read2st64_b32 v[10:11], v13 offset1:1
	v_pk_fma_f32 v[4:5], v[6:7], v[4:5], 0 op_sel_hi:[0,1,0]
	v_pk_fma_f32 v[2:3], v[2:3], v[8:9], v[4:5] op_sel_hi:[0,1,1]
	ds_read2st64_b32 v[4:5], v7 offset0:2 offset1:35
	ds_read2st64_b32 v[6:7], v13 offset0:33 offset1:34
	s_waitcnt lgkmcnt(2)
	v_cvt_f32_f16_e32 v8, v10
	v_cvt_f32_f16_sdwa v9, v10 dst_sel:DWORD dst_unused:UNUSED_PAD src0_sel:WORD_1
	global_store_dwordx2 v1, v[2:3], s[2:3] offset:512
	v_cvt_f32_f16_e32 v10, v11
	v_cvt_f32_f16_sdwa v11, v11 dst_sel:DWORD dst_unused:UNUSED_PAD src0_sel:WORD_1
	s_waitcnt lgkmcnt(1)
	v_pk_fma_f32 v[2:3], v[4:5], v[8:9], 0 op_sel_hi:[0,1,0]
	s_waitcnt lgkmcnt(0)
	v_cvt_f32_f16_e32 v8, v6
	v_cvt_f32_f16_sdwa v9, v6 dst_sel:DWORD dst_unused:UNUSED_PAD src0_sel:WORD_1
	v_lshlrev_b32_e32 v1, 7, v12
	v_cvt_f32_f16_e32 v12, v7
	v_cvt_f32_f16_sdwa v13, v7 dst_sel:DWORD dst_unused:UNUSED_PAD src0_sel:WORD_1
	v_mov_b32_e32 v6, v5
	v_add_lshl_u32 v1, v76, v1, 3
	v_pk_fma_f32 v[2:3], v[6:7], v[8:9], v[2:3] op_sel_hi:[0,1,1]
	global_store_dwordx2 v1, v[2:3], s[2:3]
	v_pk_fma_f32 v[2:3], v[4:5], v[10:11], 0 op_sel_hi:[0,1,0]
	v_pk_fma_f32 v[2:3], v[6:7], v[12:13], v[2:3] op_sel_hi:[0,1,1]
	v_add_u32_e32 v6, 20, v0
	v_lshlrev_b32_e32 v4, 1, v6
	v_and_b32_e32 v5, 15, v6
	v_and_or_b32 v4, v4, s5, v5
	v_mad_u32_u24 v7, v4, s4, 0
	v_add_u32_e32 v8, v7, v77
	ds_read2st64_b32 v[4:5], v8 offset1:1
	global_store_dwordx2 v1, v[2:3], s[2:3] offset:512
	ds_read2st64_b32 v[2:3], v8 offset0:33 offset1:34
	v_lshlrev_b32_e32 v1, 7, v6
	ds_read2st64_b32 v[6:7], v7 offset0:2 offset1:35
	s_waitcnt lgkmcnt(2)
	v_cvt_f32_f16_e32 v8, v4
	v_cvt_f32_f16_sdwa v9, v4 dst_sel:DWORD dst_unused:UNUSED_PAD src0_sel:WORD_1
	s_waitcnt lgkmcnt(1)
	v_cvt_f32_f16_e32 v10, v2
	v_cvt_f32_f16_sdwa v11, v2 dst_sel:DWORD dst_unused:UNUSED_PAD src0_sel:WORD_1
	s_waitcnt lgkmcnt(0)
	v_mov_b32_e32 v2, v7
	v_pk_fma_f32 v[8:9], v[6:7], v[8:9], 0 op_sel_hi:[0,1,0]
	v_add_lshl_u32 v1, v76, v1, 3
	v_pk_fma_f32 v[8:9], v[2:3], v[10:11], v[8:9] op_sel_hi:[0,1,1]
	v_add_u32_e32 v12, 22, v0
	global_store_dwordx2 v1, v[8:9], s[2:3]
	v_cvt_f32_f16_e32 v8, v3
	v_cvt_f32_f16_sdwa v9, v3 dst_sel:DWORD dst_unused:UNUSED_PAD src0_sel:WORD_1
	v_lshlrev_b32_e32 v3, 1, v12
	v_and_b32_e32 v7, 15, v12
	v_and_or_b32 v3, v3, s5, v7
	v_mad_u32_u24 v7, v3, s4, 0
	v_cvt_f32_f16_e32 v4, v5
	v_cvt_f32_f16_sdwa v5, v5 dst_sel:DWORD dst_unused:UNUSED_PAD src0_sel:WORD_1
	v_add_u32_e32 v13, v7, v77
	ds_read2st64_b32 v[10:11], v13 offset1:1
	v_pk_fma_f32 v[4:5], v[6:7], v[4:5], 0 op_sel_hi:[0,1,0]
	v_pk_fma_f32 v[2:3], v[2:3], v[8:9], v[4:5] op_sel_hi:[0,1,1]
	ds_read2st64_b32 v[4:5], v7 offset0:2 offset1:35
	ds_read2st64_b32 v[6:7], v13 offset0:33 offset1:34
	s_waitcnt lgkmcnt(2)
	v_cvt_f32_f16_e32 v8, v10
	v_cvt_f32_f16_sdwa v9, v10 dst_sel:DWORD dst_unused:UNUSED_PAD src0_sel:WORD_1
	global_store_dwordx2 v1, v[2:3], s[2:3] offset:512
	v_cvt_f32_f16_e32 v10, v11
	v_cvt_f32_f16_sdwa v11, v11 dst_sel:DWORD dst_unused:UNUSED_PAD src0_sel:WORD_1
	s_waitcnt lgkmcnt(1)
	v_pk_fma_f32 v[2:3], v[4:5], v[8:9], 0 op_sel_hi:[0,1,0]
	s_waitcnt lgkmcnt(0)
	v_cvt_f32_f16_e32 v8, v6
	v_cvt_f32_f16_sdwa v9, v6 dst_sel:DWORD dst_unused:UNUSED_PAD src0_sel:WORD_1
	v_lshlrev_b32_e32 v1, 7, v12
	v_cvt_f32_f16_e32 v12, v7
	v_cvt_f32_f16_sdwa v13, v7 dst_sel:DWORD dst_unused:UNUSED_PAD src0_sel:WORD_1
	v_mov_b32_e32 v6, v5
	v_add_lshl_u32 v1, v76, v1, 3
	v_pk_fma_f32 v[2:3], v[6:7], v[8:9], v[2:3] op_sel_hi:[0,1,1]
	global_store_dwordx2 v1, v[2:3], s[2:3]
	v_pk_fma_f32 v[2:3], v[4:5], v[10:11], 0 op_sel_hi:[0,1,0]
	v_pk_fma_f32 v[2:3], v[6:7], v[12:13], v[2:3] op_sel_hi:[0,1,1]
	v_add_u32_e32 v6, 24, v0
	v_lshlrev_b32_e32 v4, 1, v6
	v_and_b32_e32 v5, 15, v6
	;; [unrolled: 58-line block ×3, first 2 shown]
	v_and_or_b32 v4, v4, s5, v5
	v_mad_u32_u24 v7, v4, s4, 0
	v_add_u32_e32 v8, v7, v77
	ds_read2st64_b32 v[4:5], v8 offset1:1
	global_store_dwordx2 v1, v[2:3], s[2:3] offset:512
	ds_read2st64_b32 v[2:3], v8 offset0:33 offset1:34
	v_lshlrev_b32_e32 v1, 7, v6
	ds_read2st64_b32 v[6:7], v7 offset0:2 offset1:35
	s_waitcnt lgkmcnt(2)
	v_cvt_f32_f16_e32 v8, v4
	v_cvt_f32_f16_sdwa v9, v4 dst_sel:DWORD dst_unused:UNUSED_PAD src0_sel:WORD_1
	s_waitcnt lgkmcnt(1)
	v_cvt_f32_f16_e32 v10, v2
	v_cvt_f32_f16_sdwa v11, v2 dst_sel:DWORD dst_unused:UNUSED_PAD src0_sel:WORD_1
	s_waitcnt lgkmcnt(0)
	v_mov_b32_e32 v2, v7
	v_pk_fma_f32 v[8:9], v[6:7], v[8:9], 0 op_sel_hi:[0,1,0]
	v_add_lshl_u32 v12, v76, v1, 3
	v_pk_fma_f32 v[8:9], v[2:3], v[10:11], v[8:9] op_sel_hi:[0,1,1]
	v_add_u32_e32 v10, 30, v0
	v_lshlrev_b32_e32 v0, 1, v10
	v_and_b32_e32 v1, 15, v10
	v_and_or_b32 v0, v0, s5, v1
	v_mad_u32_u24 v7, v0, s4, 0
	v_cvt_f32_f16_e32 v4, v5
	v_cvt_f32_f16_sdwa v5, v5 dst_sel:DWORD dst_unused:UNUSED_PAD src0_sel:WORD_1
	v_add_u32_e32 v11, v7, v77
	global_store_dwordx2 v12, v[8:9], s[2:3]
	v_cvt_f32_f16_e32 v8, v3
	v_cvt_f32_f16_sdwa v9, v3 dst_sel:DWORD dst_unused:UNUSED_PAD src0_sel:WORD_1
	ds_read2st64_b32 v[0:1], v11 offset1:1
	v_pk_fma_f32 v[4:5], v[6:7], v[4:5], 0 op_sel_hi:[0,1,0]
	v_pk_fma_f32 v[2:3], v[2:3], v[8:9], v[4:5] op_sel_hi:[0,1,1]
	ds_read2st64_b32 v[4:5], v7 offset0:2 offset1:35
	ds_read2st64_b32 v[6:7], v11 offset0:33 offset1:34
	s_waitcnt lgkmcnt(2)
	v_cvt_f32_f16_e32 v8, v0
	v_cvt_f32_f16_sdwa v9, v0 dst_sel:DWORD dst_unused:UNUSED_PAD src0_sel:WORD_1
	global_store_dwordx2 v12, v[2:3], s[2:3] offset:512
	v_lshlrev_b32_e32 v0, 7, v10
	v_cvt_f32_f16_e32 v10, v1
	s_waitcnt lgkmcnt(1)
	v_pk_fma_f32 v[2:3], v[4:5], v[8:9], 0 op_sel_hi:[0,1,0]
	s_waitcnt lgkmcnt(0)
	v_cvt_f32_f16_e32 v8, v6
	v_cvt_f32_f16_sdwa v9, v6 dst_sel:DWORD dst_unused:UNUSED_PAD src0_sel:WORD_1
	v_cvt_f32_f16_sdwa v11, v1 dst_sel:DWORD dst_unused:UNUSED_PAD src0_sel:WORD_1
	v_cvt_f32_f16_e32 v6, v7
	v_cvt_f32_f16_sdwa v7, v7 dst_sel:DWORD dst_unused:UNUSED_PAD src0_sel:WORD_1
	v_add_lshl_u32 v12, v76, v0, 3
	v_mov_b32_e32 v0, v5
	v_pk_fma_f32 v[2:3], v[0:1], v[8:9], v[2:3] op_sel_hi:[0,1,1]
	global_store_dwordx2 v12, v[2:3], s[2:3]
	v_pk_fma_f32 v[2:3], v[4:5], v[10:11], 0 op_sel_hi:[0,1,0]
	v_pk_fma_f32 v[0:1], v[0:1], v[6:7], v[2:3] op_sel_hi:[0,1,1]
	global_store_dwordx2 v12, v[0:1], s[2:3] offset:512
.LBB32_524:
	s_or_b64 exec, exec, s[0:1]
	s_barrier
	s_endpgm
	.section	.rodata,"a",@progbits
	.p2align	6, 0x0
	.amdhsa_kernel _ZL18flash_attn_ext_f16ILi256ELi256ELi4ELi8ELb1ELb0EEvPKcS1_S1_S1_S1_PKiPfP15HIP_vector_typeIfLj2EEffffjfiS5_IjLj3EEiiiiiiiiiiiliiliiiiil
		.amdhsa_group_segment_fixed_size 0
		.amdhsa_private_segment_fixed_size 0
		.amdhsa_kernarg_size 464
		.amdhsa_user_sgpr_count 2
		.amdhsa_user_sgpr_dispatch_ptr 0
		.amdhsa_user_sgpr_queue_ptr 0
		.amdhsa_user_sgpr_kernarg_segment_ptr 1
		.amdhsa_user_sgpr_dispatch_id 0
		.amdhsa_user_sgpr_kernarg_preload_length 0
		.amdhsa_user_sgpr_kernarg_preload_offset 0
		.amdhsa_user_sgpr_private_segment_size 0
		.amdhsa_uses_dynamic_stack 0
		.amdhsa_enable_private_segment 0
		.amdhsa_system_sgpr_workgroup_id_x 1
		.amdhsa_system_sgpr_workgroup_id_y 0
		.amdhsa_system_sgpr_workgroup_id_z 0
		.amdhsa_system_sgpr_workgroup_info 0
		.amdhsa_system_vgpr_workitem_id 1
		.amdhsa_next_free_vgpr 372
		.amdhsa_next_free_sgpr 98
		.amdhsa_accum_offset 256
		.amdhsa_reserve_vcc 1
		.amdhsa_float_round_mode_32 0
		.amdhsa_float_round_mode_16_64 0
		.amdhsa_float_denorm_mode_32 3
		.amdhsa_float_denorm_mode_16_64 3
		.amdhsa_dx10_clamp 1
		.amdhsa_ieee_mode 1
		.amdhsa_fp16_overflow 0
		.amdhsa_tg_split 0
		.amdhsa_exception_fp_ieee_invalid_op 0
		.amdhsa_exception_fp_denorm_src 0
		.amdhsa_exception_fp_ieee_div_zero 0
		.amdhsa_exception_fp_ieee_overflow 0
		.amdhsa_exception_fp_ieee_underflow 0
		.amdhsa_exception_fp_ieee_inexact 0
		.amdhsa_exception_int_div_zero 0
	.end_amdhsa_kernel
	.section	.text._ZL18flash_attn_ext_f16ILi256ELi256ELi4ELi8ELb1ELb0EEvPKcS1_S1_S1_S1_PKiPfP15HIP_vector_typeIfLj2EEffffjfiS5_IjLj3EEiiiiiiiiiiiliiliiiiil,"axG",@progbits,_ZL18flash_attn_ext_f16ILi256ELi256ELi4ELi8ELb1ELb0EEvPKcS1_S1_S1_S1_PKiPfP15HIP_vector_typeIfLj2EEffffjfiS5_IjLj3EEiiiiiiiiiiiliiliiiiil,comdat
.Lfunc_end32:
	.size	_ZL18flash_attn_ext_f16ILi256ELi256ELi4ELi8ELb1ELb0EEvPKcS1_S1_S1_S1_PKiPfP15HIP_vector_typeIfLj2EEffffjfiS5_IjLj3EEiiiiiiiiiiiliiliiiiil, .Lfunc_end32-_ZL18flash_attn_ext_f16ILi256ELi256ELi4ELi8ELb1ELb0EEvPKcS1_S1_S1_S1_PKiPfP15HIP_vector_typeIfLj2EEffffjfiS5_IjLj3EEiiiiiiiiiiiliiliiiiil
                                        ; -- End function
	.set _ZL18flash_attn_ext_f16ILi256ELi256ELi4ELi8ELb1ELb0EEvPKcS1_S1_S1_S1_PKiPfP15HIP_vector_typeIfLj2EEffffjfiS5_IjLj3EEiiiiiiiiiiiliiliiiiil.num_vgpr, 256
	.set _ZL18flash_attn_ext_f16ILi256ELi256ELi4ELi8ELb1ELb0EEvPKcS1_S1_S1_S1_PKiPfP15HIP_vector_typeIfLj2EEffffjfiS5_IjLj3EEiiiiiiiiiiiliiliiiiil.num_agpr, 116
	.set _ZL18flash_attn_ext_f16ILi256ELi256ELi4ELi8ELb1ELb0EEvPKcS1_S1_S1_S1_PKiPfP15HIP_vector_typeIfLj2EEffffjfiS5_IjLj3EEiiiiiiiiiiiliiliiiiil.numbered_sgpr, 98
	.set _ZL18flash_attn_ext_f16ILi256ELi256ELi4ELi8ELb1ELb0EEvPKcS1_S1_S1_S1_PKiPfP15HIP_vector_typeIfLj2EEffffjfiS5_IjLj3EEiiiiiiiiiiiliiliiiiil.num_named_barrier, 0
	.set _ZL18flash_attn_ext_f16ILi256ELi256ELi4ELi8ELb1ELb0EEvPKcS1_S1_S1_S1_PKiPfP15HIP_vector_typeIfLj2EEffffjfiS5_IjLj3EEiiiiiiiiiiiliiliiiiil.private_seg_size, 0
	.set _ZL18flash_attn_ext_f16ILi256ELi256ELi4ELi8ELb1ELb0EEvPKcS1_S1_S1_S1_PKiPfP15HIP_vector_typeIfLj2EEffffjfiS5_IjLj3EEiiiiiiiiiiiliiliiiiil.uses_vcc, 1
	.set _ZL18flash_attn_ext_f16ILi256ELi256ELi4ELi8ELb1ELb0EEvPKcS1_S1_S1_S1_PKiPfP15HIP_vector_typeIfLj2EEffffjfiS5_IjLj3EEiiiiiiiiiiiliiliiiiil.uses_flat_scratch, 0
	.set _ZL18flash_attn_ext_f16ILi256ELi256ELi4ELi8ELb1ELb0EEvPKcS1_S1_S1_S1_PKiPfP15HIP_vector_typeIfLj2EEffffjfiS5_IjLj3EEiiiiiiiiiiiliiliiiiil.has_dyn_sized_stack, 0
	.set _ZL18flash_attn_ext_f16ILi256ELi256ELi4ELi8ELb1ELb0EEvPKcS1_S1_S1_S1_PKiPfP15HIP_vector_typeIfLj2EEffffjfiS5_IjLj3EEiiiiiiiiiiiliiliiiiil.has_recursion, 0
	.set _ZL18flash_attn_ext_f16ILi256ELi256ELi4ELi8ELb1ELb0EEvPKcS1_S1_S1_S1_PKiPfP15HIP_vector_typeIfLj2EEffffjfiS5_IjLj3EEiiiiiiiiiiiliiliiiiil.has_indirect_call, 0
	.section	.AMDGPU.csdata,"",@progbits
; Kernel info:
; codeLenInByte = 89596
; TotalNumSgprs: 104
; NumVgprs: 256
; NumAgprs: 116
; TotalNumVgprs: 372
; ScratchSize: 0
; MemoryBound: 0
; FloatMode: 240
; IeeeMode: 1
; LDSByteSize: 0 bytes/workgroup (compile time only)
; SGPRBlocks: 12
; VGPRBlocks: 46
; NumSGPRsForWavesPerEU: 104
; NumVGPRsForWavesPerEU: 372
; AccumOffset: 256
; Occupancy: 1
; WaveLimiterHint : 1
; COMPUTE_PGM_RSRC2:SCRATCH_EN: 0
; COMPUTE_PGM_RSRC2:USER_SGPR: 2
; COMPUTE_PGM_RSRC2:TRAP_HANDLER: 0
; COMPUTE_PGM_RSRC2:TGID_X_EN: 1
; COMPUTE_PGM_RSRC2:TGID_Y_EN: 0
; COMPUTE_PGM_RSRC2:TGID_Z_EN: 0
; COMPUTE_PGM_RSRC2:TIDIG_COMP_CNT: 1
; COMPUTE_PGM_RSRC3_GFX90A:ACCUM_OFFSET: 63
; COMPUTE_PGM_RSRC3_GFX90A:TG_SPLIT: 0
	.section	.text._ZL33flash_attn_stream_k_fixup_uniformILi256ELi4ELi8EEvPfPK15HIP_vector_typeIfLj2EEiiiiiiS1_IjLj3EES5_S5_,"axG",@progbits,_ZL33flash_attn_stream_k_fixup_uniformILi256ELi4ELi8EEvPfPK15HIP_vector_typeIfLj2EEiiiiiiS1_IjLj3EES5_S5_,comdat
	.globl	_ZL33flash_attn_stream_k_fixup_uniformILi256ELi4ELi8EEvPfPK15HIP_vector_typeIfLj2EEiiiiiiS1_IjLj3EES5_S5_ ; -- Begin function _ZL33flash_attn_stream_k_fixup_uniformILi256ELi4ELi8EEvPfPK15HIP_vector_typeIfLj2EEiiiiiiS1_IjLj3EES5_S5_
	.p2align	8
	.type	_ZL33flash_attn_stream_k_fixup_uniformILi256ELi4ELi8EEvPfPK15HIP_vector_typeIfLj2EEiiiiiiS1_IjLj3EES5_S5_,@function
_ZL33flash_attn_stream_k_fixup_uniformILi256ELi4ELi8EEvPfPK15HIP_vector_typeIfLj2EEiiiiiiS1_IjLj3EES5_S5_: ; @_ZL33flash_attn_stream_k_fixup_uniformILi256ELi4ELi8EEvPfPK15HIP_vector_typeIfLj2EEiiiiiiS1_IjLj3EES5_S5_
; %bb.0:
	s_load_dwordx8 s[8:15], s[0:1], 0x1c
	s_load_dwordx2 s[6:7], s[0:1], 0x10
	s_load_dwordx4 s[20:23], s[0:1], 0x3c
	s_waitcnt lgkmcnt(0)
	s_mul_hi_u32 s5, s11, s2
	s_add_i32 s5, s2, s5
	s_lshr_b32 s5, s5, s12
	s_mul_i32 s11, s5, s13
	s_sub_i32 s11, s2, s11
	s_mul_hi_u32 s12, s11, s14
	s_add_i32 s12, s11, s12
	s_lshr_b32 s16, s12, s15
	s_mul_i32 s12, s16, s20
	s_sub_i32 s11, s11, s12
	;; [unrolled: 5-line block ×3, first 2 shown]
	s_lshl_b32 s11, s12, 3
	s_lshl_b32 s12, s17, 2
	s_add_i32 s12, s12, s3
	s_cmp_lt_i32 s12, s6
	s_cselect_b64 s[12:13], -1, 0
	s_add_i32 s14, s11, s4
	s_cmp_lt_i32 s14, s9
	s_cselect_b64 s[14:15], -1, 0
	s_and_b64 s[12:13], s[12:13], s[14:15]
	s_andn2_b64 vcc, exec, s[12:13]
	s_cbranch_vccnz .LBB33_6
; %bb.1:
	s_load_dwordx4 s[12:15], s[0:1], 0x0
	s_mul_i32 s0, s5, s6
	s_add_i32 s0, s0, s3
	s_mul_i32 s0, s0, s7
	s_mul_i32 s16, s16, s9
	s_add_i32 s0, s0, s4
	s_add_i32 s0, s0, s16
	s_mul_i32 s1, s7, s17
	s_add_i32 s0, s0, s11
	s_lshl_b32 s1, s1, 10
	s_lshl_b32 s0, s0, 8
	s_add_i32 s1, s1, s0
	v_or_b32_e32 v4, s1, v0
	s_waitcnt lgkmcnt(0)
	v_mov_b32_e32 v2, s12
	v_mov_b32_e32 v3, s13
	v_ashrrev_i32_e32 v5, 31, v4
	v_lshl_add_u64 v[2:3], v[4:5], 2, v[2:3]
	global_load_dword v5, v[2:3], off
	s_mul_i32 s5, s10, s2
	s_lshl_b32 s11, s3, 3
	s_add_i32 s9, s5, s10
	s_add_i32 s0, s11, s4
	s_lshl_b32 s1, s9, 5
	s_add_i32 s0, s0, s1
	s_sub_i32 s0, s0, 32
	s_ashr_i32 s1, s0, 31
	s_lshl_b64 s[0:1], s[0:1], 3
	s_add_u32 s0, s14, s0
	s_addc_u32 s1, s15, s1
	s_load_dword s12, s[0:1], 0x4
	s_add_i32 s6, s9, -2
	s_cmp_lt_i32 s6, s5
	s_cbranch_scc1 .LBB33_4
; %bb.2:
	s_lshl_b32 s6, s8, 7
	s_ashr_i32 s7, s6, 31
	s_lshl_b64 s[6:7], s[6:7], 2
	s_add_u32 s6, s14, s6
	s_addc_u32 s7, s15, s7
	s_add_i32 s2, s2, 1
	s_load_dword s0, s[0:1], 0x0
	s_mul_i32 s1, s10, s2
	s_lshl_b32 s3, s3, 11
	s_lshl_b32 s10, s4, 8
	;; [unrolled: 1-line block ×3, first 2 shown]
	s_add_i32 s3, s10, s3
	s_lshl_b32 s1, s1, 5
	s_add_i32 s3, s3, s2
	s_add_i32 s1, s4, s1
	s_lshl_b32 s2, s8, 5
	s_add_i32 s1, s1, s2
	v_or_b32_e32 v0, s3, v0
	s_add_i32 s1, s1, s11
	s_add_i32 s9, s9, -1
	v_add_u32_e32 v0, 0xffffc000, v0
	s_sub_i32 s2, s1, 64
	s_waitcnt lgkmcnt(0)
	v_mov_b32_e32 v7, s0
	v_mov_b32_e32 v4, s12
	s_mov_b32 s4, 0x3fb8aa3b
	s_mov_b32 s8, 0xc2ce8ed0
	;; [unrolled: 1-line block ×3, first 2 shown]
	v_mov_b32_e32 v6, 0x7f800000
	s_mov_b32 s11, 0xc1a00000
.LBB33_3:                               ; =>This Inner Loop Header: Depth=1
	v_ashrrev_i32_e32 v1, 31, v0
	v_lshl_add_u64 v[8:9], v[0:1], 2, s[6:7]
	global_load_dword v9, v[8:9], off
	s_ashr_i32 s3, s2, 31
	s_lshl_b64 s[0:1], s[2:3], 3
	s_add_u32 s0, s14, s0
	s_addc_u32 s1, s15, s1
	s_load_dwordx2 s[0:1], s[0:1], 0x0
	v_max_f32_e32 v1, v7, v7
	s_add_i32 s9, s9, -1
	s_sub_i32 s2, s2, 32
	v_add_u32_e32 v0, 0xffffe000, v0
	s_waitcnt lgkmcnt(0)
	v_max_f32_e64 v10, s0, s0
	v_max_f32_e32 v1, v1, v10
	v_sub_f32_e32 v11, s0, v1
	v_sub_f32_e32 v10, v7, v1
	v_mul_f32_e32 v12, 0x3fb8aa3b, v11
	v_mov_b32_e32 v7, v1
	v_mul_f32_e32 v1, 0x3fb8aa3b, v10
	v_fma_f32 v15, v11, s4, -v12
	v_rndne_f32_e32 v16, v12
	v_fma_f32 v13, v10, s4, -v1
	v_rndne_f32_e32 v14, v1
	v_fmac_f32_e32 v15, 0x32a5705f, v11
	v_sub_f32_e32 v12, v12, v16
	v_fmac_f32_e32 v13, 0x32a5705f, v10
	v_sub_f32_e32 v1, v1, v14
	v_add_f32_e32 v12, v12, v15
	v_cvt_i32_f32_e32 v16, v16
	v_add_f32_e32 v1, v1, v13
	v_exp_f32_e32 v12, v12
	v_cvt_i32_f32_e32 v14, v14
	v_exp_f32_e32 v1, v1
	v_cmp_ngt_f32_e32 vcc, s8, v11
	v_ldexp_f32 v12, v12, v16
	v_mov_b32_e32 v8, s1
	v_ldexp_f32 v1, v1, v14
	v_cmp_ngt_f32_e64 s[0:1], s8, v10
	v_cndmask_b32_e32 v12, 0, v12, vcc
	v_cmp_nlt_f32_e32 vcc, s10, v11
	v_cndmask_b32_e64 v1, 0, v1, s[0:1]
	v_cmp_nlt_f32_e64 s[0:1], s10, v10
	v_cndmask_b32_e32 v12, v6, v12, vcc
	v_cmp_le_f32_e32 vcc, s11, v11
	v_cndmask_b32_e64 v1, v6, v1, s[0:1]
	v_cmp_le_f32_e64 s[0:1], s11, v10
	v_cndmask_b32_e32 v12, 0, v12, vcc
	s_cmp_le_i32 s9, s5
	v_cndmask_b32_e64 v10, 0, v1, s[0:1]
	s_waitcnt vmcnt(0)
	v_pk_mul_f32 v[8:9], v[8:9], v[12:13] op_sel_hi:[1,0]
	s_nop 0
	v_pk_fma_f32 v[4:5], v[4:5], v[10:11], v[8:9] op_sel_hi:[1,0,1]
	s_cbranch_scc0 .LBB33_3
	s_branch .LBB33_5
.LBB33_4:
	s_waitcnt lgkmcnt(0)
	v_mov_b32_e32 v4, s12
.LBB33_5:
	s_waitcnt vmcnt(0)
	v_div_scale_f32 v0, s[0:1], v4, v4, v5
	v_rcp_f32_e32 v1, v0
	v_div_scale_f32 v6, vcc, v5, v4, v5
	v_fma_f32 v7, -v0, v1, 1.0
	v_fmac_f32_e32 v1, v7, v1
	v_mul_f32_e32 v7, v6, v1
	v_fma_f32 v8, -v0, v7, v6
	v_fmac_f32_e32 v7, v8, v1
	v_fma_f32 v0, -v0, v7, v6
	v_div_fmas_f32 v0, v0, v1, v7
	v_div_fixup_f32 v0, v0, v4, v5
	global_store_dword v[2:3], v0, off
.LBB33_6:
	s_endpgm
	.section	.rodata,"a",@progbits
	.p2align	6, 0x0
	.amdhsa_kernel _ZL33flash_attn_stream_k_fixup_uniformILi256ELi4ELi8EEvPfPK15HIP_vector_typeIfLj2EEiiiiiiS1_IjLj3EES5_S5_
		.amdhsa_group_segment_fixed_size 0
		.amdhsa_private_segment_fixed_size 0
		.amdhsa_kernarg_size 76
		.amdhsa_user_sgpr_count 2
		.amdhsa_user_sgpr_dispatch_ptr 0
		.amdhsa_user_sgpr_queue_ptr 0
		.amdhsa_user_sgpr_kernarg_segment_ptr 1
		.amdhsa_user_sgpr_dispatch_id 0
		.amdhsa_user_sgpr_kernarg_preload_length 0
		.amdhsa_user_sgpr_kernarg_preload_offset 0
		.amdhsa_user_sgpr_private_segment_size 0
		.amdhsa_uses_dynamic_stack 0
		.amdhsa_enable_private_segment 0
		.amdhsa_system_sgpr_workgroup_id_x 1
		.amdhsa_system_sgpr_workgroup_id_y 1
		.amdhsa_system_sgpr_workgroup_id_z 1
		.amdhsa_system_sgpr_workgroup_info 0
		.amdhsa_system_vgpr_workitem_id 0
		.amdhsa_next_free_vgpr 17
		.amdhsa_next_free_sgpr 24
		.amdhsa_accum_offset 20
		.amdhsa_reserve_vcc 1
		.amdhsa_float_round_mode_32 0
		.amdhsa_float_round_mode_16_64 0
		.amdhsa_float_denorm_mode_32 3
		.amdhsa_float_denorm_mode_16_64 3
		.amdhsa_dx10_clamp 1
		.amdhsa_ieee_mode 1
		.amdhsa_fp16_overflow 0
		.amdhsa_tg_split 0
		.amdhsa_exception_fp_ieee_invalid_op 0
		.amdhsa_exception_fp_denorm_src 0
		.amdhsa_exception_fp_ieee_div_zero 0
		.amdhsa_exception_fp_ieee_overflow 0
		.amdhsa_exception_fp_ieee_underflow 0
		.amdhsa_exception_fp_ieee_inexact 0
		.amdhsa_exception_int_div_zero 0
	.end_amdhsa_kernel
	.section	.text._ZL33flash_attn_stream_k_fixup_uniformILi256ELi4ELi8EEvPfPK15HIP_vector_typeIfLj2EEiiiiiiS1_IjLj3EES5_S5_,"axG",@progbits,_ZL33flash_attn_stream_k_fixup_uniformILi256ELi4ELi8EEvPfPK15HIP_vector_typeIfLj2EEiiiiiiS1_IjLj3EES5_S5_,comdat
.Lfunc_end33:
	.size	_ZL33flash_attn_stream_k_fixup_uniformILi256ELi4ELi8EEvPfPK15HIP_vector_typeIfLj2EEiiiiiiS1_IjLj3EES5_S5_, .Lfunc_end33-_ZL33flash_attn_stream_k_fixup_uniformILi256ELi4ELi8EEvPfPK15HIP_vector_typeIfLj2EEiiiiiiS1_IjLj3EES5_S5_
                                        ; -- End function
	.set _ZL33flash_attn_stream_k_fixup_uniformILi256ELi4ELi8EEvPfPK15HIP_vector_typeIfLj2EEiiiiiiS1_IjLj3EES5_S5_.num_vgpr, 17
	.set _ZL33flash_attn_stream_k_fixup_uniformILi256ELi4ELi8EEvPfPK15HIP_vector_typeIfLj2EEiiiiiiS1_IjLj3EES5_S5_.num_agpr, 0
	.set _ZL33flash_attn_stream_k_fixup_uniformILi256ELi4ELi8EEvPfPK15HIP_vector_typeIfLj2EEiiiiiiS1_IjLj3EES5_S5_.numbered_sgpr, 24
	.set _ZL33flash_attn_stream_k_fixup_uniformILi256ELi4ELi8EEvPfPK15HIP_vector_typeIfLj2EEiiiiiiS1_IjLj3EES5_S5_.num_named_barrier, 0
	.set _ZL33flash_attn_stream_k_fixup_uniformILi256ELi4ELi8EEvPfPK15HIP_vector_typeIfLj2EEiiiiiiS1_IjLj3EES5_S5_.private_seg_size, 0
	.set _ZL33flash_attn_stream_k_fixup_uniformILi256ELi4ELi8EEvPfPK15HIP_vector_typeIfLj2EEiiiiiiS1_IjLj3EES5_S5_.uses_vcc, 1
	.set _ZL33flash_attn_stream_k_fixup_uniformILi256ELi4ELi8EEvPfPK15HIP_vector_typeIfLj2EEiiiiiiS1_IjLj3EES5_S5_.uses_flat_scratch, 0
	.set _ZL33flash_attn_stream_k_fixup_uniformILi256ELi4ELi8EEvPfPK15HIP_vector_typeIfLj2EEiiiiiiS1_IjLj3EES5_S5_.has_dyn_sized_stack, 0
	.set _ZL33flash_attn_stream_k_fixup_uniformILi256ELi4ELi8EEvPfPK15HIP_vector_typeIfLj2EEiiiiiiS1_IjLj3EES5_S5_.has_recursion, 0
	.set _ZL33flash_attn_stream_k_fixup_uniformILi256ELi4ELi8EEvPfPK15HIP_vector_typeIfLj2EEiiiiiiS1_IjLj3EES5_S5_.has_indirect_call, 0
	.section	.AMDGPU.csdata,"",@progbits
; Kernel info:
; codeLenInByte = 836
; TotalNumSgprs: 30
; NumVgprs: 17
; NumAgprs: 0
; TotalNumVgprs: 17
; ScratchSize: 0
; MemoryBound: 0
; FloatMode: 240
; IeeeMode: 1
; LDSByteSize: 0 bytes/workgroup (compile time only)
; SGPRBlocks: 3
; VGPRBlocks: 2
; NumSGPRsForWavesPerEU: 30
; NumVGPRsForWavesPerEU: 17
; AccumOffset: 20
; Occupancy: 8
; WaveLimiterHint : 0
; COMPUTE_PGM_RSRC2:SCRATCH_EN: 0
; COMPUTE_PGM_RSRC2:USER_SGPR: 2
; COMPUTE_PGM_RSRC2:TRAP_HANDLER: 0
; COMPUTE_PGM_RSRC2:TGID_X_EN: 1
; COMPUTE_PGM_RSRC2:TGID_Y_EN: 1
; COMPUTE_PGM_RSRC2:TGID_Z_EN: 1
; COMPUTE_PGM_RSRC2:TIDIG_COMP_CNT: 0
; COMPUTE_PGM_RSRC3_GFX90A:ACCUM_OFFSET: 4
; COMPUTE_PGM_RSRC3_GFX90A:TG_SPLIT: 0
	.section	.text._ZL33flash_attn_stream_k_fixup_generalILi256ELi4ELi8EEvPfPK15HIP_vector_typeIfLj2EEiiiiS1_IjLj3EES5_S5_S5_,"axG",@progbits,_ZL33flash_attn_stream_k_fixup_generalILi256ELi4ELi8EEvPfPK15HIP_vector_typeIfLj2EEiiiiS1_IjLj3EES5_S5_S5_,comdat
	.globl	_ZL33flash_attn_stream_k_fixup_generalILi256ELi4ELi8EEvPfPK15HIP_vector_typeIfLj2EEiiiiS1_IjLj3EES5_S5_S5_ ; -- Begin function _ZL33flash_attn_stream_k_fixup_generalILi256ELi4ELi8EEvPfPK15HIP_vector_typeIfLj2EEiiiiS1_IjLj3EES5_S5_S5_
	.p2align	8
	.type	_ZL33flash_attn_stream_k_fixup_generalILi256ELi4ELi8EEvPfPK15HIP_vector_typeIfLj2EEiiiiS1_IjLj3EES5_S5_S5_,@function
_ZL33flash_attn_stream_k_fixup_generalILi256ELi4ELi8EEvPfPK15HIP_vector_typeIfLj2EEiiiiS1_IjLj3EES5_S5_S5_: ; @_ZL33flash_attn_stream_k_fixup_generalILi256ELi4ELi8EEvPfPK15HIP_vector_typeIfLj2EEiiiiS1_IjLj3EES5_S5_S5_
; %bb.0:
	s_load_dwordx4 s[8:11], s[0:1], 0x10
	s_load_dword s22, s[0:1], 0x50
	s_mov_b32 s12, 0
	s_waitcnt lgkmcnt(0)
	s_mul_hi_i32 s13, s11, s2
	s_cmp_lg_u64 s[12:13], 0
	s_mul_i32 s5, s11, s2
	s_cbranch_scc0 .LBB34_20
; %bb.1:
	s_add_u32 s6, s22, 0
	s_addc_u32 s7, 0, 0
	s_xor_b64 s[6:7], s[6:7], 0
	v_cvt_f32_u32_e32 v1, s6
	v_cvt_f32_u32_e32 v2, s7
	s_sub_u32 s12, 0, s6
	s_subb_u32 s18, 0, s7
	v_fmamk_f32 v1, v2, 0x4f800000, v1
	v_rcp_f32_e32 v1, v1
	s_nop 0
	v_mul_f32_e32 v1, 0x5f7ffffc, v1
	v_mul_f32_e32 v2, 0x2f800000, v1
	v_trunc_f32_e32 v2, v2
	v_fmamk_f32 v1, v2, 0xcf800000, v1
	v_cvt_u32_f32_e32 v2, v2
	v_cvt_u32_f32_e32 v1, v1
	v_readfirstlane_b32 s19, v2
	v_readfirstlane_b32 s14, v1
	s_mul_i32 s15, s12, s19
	s_mul_hi_u32 s21, s12, s14
	s_mul_i32 s20, s18, s14
	s_add_i32 s15, s21, s15
	s_add_i32 s15, s15, s20
	s_mul_i32 s23, s12, s14
	s_mul_i32 s21, s14, s15
	s_mul_hi_u32 s24, s14, s23
	s_mul_hi_u32 s20, s14, s15
	s_add_u32 s21, s24, s21
	s_addc_u32 s20, 0, s20
	s_mul_hi_u32 s25, s19, s23
	s_mul_i32 s23, s19, s23
	s_add_u32 s21, s21, s23
	s_mul_hi_u32 s24, s19, s15
	s_addc_u32 s20, s20, s25
	s_addc_u32 s21, s24, 0
	s_mul_i32 s15, s19, s15
	s_add_u32 s15, s20, s15
	s_addc_u32 s20, 0, s21
	s_add_u32 s21, s14, s15
	s_cselect_b64 s[14:15], -1, 0
	s_cmp_lg_u64 s[14:15], 0
	s_addc_u32 s19, s19, s20
	s_mul_i32 s14, s12, s19
	s_mul_hi_u32 s15, s12, s21
	s_add_i32 s14, s15, s14
	s_mul_i32 s18, s18, s21
	s_add_i32 s14, s14, s18
	s_mul_i32 s12, s12, s21
	s_mul_hi_u32 s18, s19, s12
	s_mul_i32 s20, s19, s12
	s_mul_i32 s24, s21, s14
	s_mul_hi_u32 s12, s21, s12
	s_mul_hi_u32 s23, s21, s14
	s_add_u32 s12, s12, s24
	s_addc_u32 s23, 0, s23
	s_add_u32 s12, s12, s20
	s_mul_hi_u32 s15, s19, s14
	s_addc_u32 s12, s23, s18
	s_addc_u32 s15, s15, 0
	s_mul_i32 s14, s19, s14
	s_add_u32 s12, s12, s14
	s_addc_u32 s18, 0, s15
	s_add_u32 s20, s21, s12
	s_cselect_b64 s[14:15], -1, 0
	s_cmp_lg_u64 s[14:15], 0
	s_addc_u32 s18, s19, s18
	s_ashr_i32 s14, s13, 31
	s_add_u32 s12, s5, s14
	s_mov_b32 s15, s14
	s_addc_u32 s13, s13, s14
	s_xor_b64 s[12:13], s[12:13], s[14:15]
	s_mul_i32 s21, s12, s18
	s_mul_hi_u32 s23, s12, s20
	s_mul_hi_u32 s19, s12, s18
	s_add_u32 s21, s23, s21
	s_addc_u32 s19, 0, s19
	s_mul_hi_u32 s24, s13, s20
	s_mul_i32 s20, s13, s20
	s_add_u32 s20, s21, s20
	s_mul_hi_u32 s23, s13, s18
	s_addc_u32 s19, s19, s24
	s_addc_u32 s20, s23, 0
	s_mul_i32 s18, s13, s18
	s_add_u32 s23, s19, s18
	s_addc_u32 s24, 0, s20
	s_mul_i32 s18, s6, s24
	s_mul_hi_u32 s19, s6, s23
	s_add_i32 s18, s19, s18
	s_mul_i32 s19, s7, s23
	s_add_i32 s25, s18, s19
	s_sub_i32 s20, s13, s25
	s_mul_i32 s18, s6, s23
	s_sub_u32 s12, s12, s18
	s_cselect_b64 s[18:19], -1, 0
	s_cmp_lg_u64 s[18:19], 0
	s_subb_u32 s26, s20, s7
	s_sub_u32 s27, s12, s6
	s_cselect_b64 s[20:21], -1, 0
	s_cmp_lg_u64 s[20:21], 0
	s_subb_u32 s20, s26, 0
	s_cmp_ge_u32 s20, s7
	s_cselect_b32 s21, -1, 0
	s_cmp_ge_u32 s27, s6
	s_cselect_b32 s26, -1, 0
	s_cmp_eq_u32 s20, s7
	s_cselect_b32 s20, s26, s21
	s_add_u32 s21, s23, 1
	s_addc_u32 s26, s24, 0
	s_add_u32 s27, s23, 2
	s_addc_u32 s28, s24, 0
	s_cmp_lg_u32 s20, 0
	s_cselect_b32 s20, s27, s21
	s_cselect_b32 s21, s28, s26
	s_cmp_lg_u64 s[18:19], 0
	s_subb_u32 s13, s13, s25
	s_cmp_ge_u32 s13, s7
	s_cselect_b32 s18, -1, 0
	s_cmp_ge_u32 s12, s6
	s_cselect_b32 s6, -1, 0
	s_cmp_eq_u32 s13, s7
	s_cselect_b32 s6, s6, s18
	s_cmp_lg_u32 s6, 0
	s_cselect_b32 s7, s21, s24
	s_cselect_b32 s6, s20, s23
	s_xor_b64 s[12:13], s[14:15], 0
	s_xor_b64 s[6:7], s[6:7], s[12:13]
	s_sub_u32 s6, s6, s12
	s_load_dwordx4 s[12:15], s[0:1], 0x44
	s_cbranch_execnz .LBB34_3
.LBB34_2:
	v_cvt_f32_u32_e32 v1, s22
	s_sub_i32 s6, 0, s22
	v_rcp_iflag_f32_e32 v1, v1
	s_nop 0
	v_mul_f32_e32 v1, 0x4f7ffffe, v1
	v_cvt_u32_f32_e32 v1, v1
	s_nop 0
	v_readfirstlane_b32 s7, v1
	s_mul_i32 s6, s6, s7
	s_mul_hi_u32 s6, s7, s6
	s_add_i32 s7, s7, s6
	s_mul_hi_u32 s6, s5, s7
	s_waitcnt lgkmcnt(0)
	s_mul_i32 s15, s6, s22
	s_sub_i32 s5, s5, s15
	s_add_i32 s7, s6, 1
	s_sub_i32 s15, s5, s22
	s_cmp_ge_u32 s5, s22
	s_cselect_b32 s6, s7, s6
	s_cselect_b32 s5, s15, s5
	s_add_i32 s7, s6, 1
	s_cmp_ge_u32 s5, s22
	s_cselect_b32 s6, s7, s6
.LBB34_3:
	s_add_i32 s5, s2, 1
	s_mul_hi_i32 s21, s11, s5
	s_mov_b32 s20, 0
	s_cmp_lg_u64 s[20:21], 0
	s_mul_i32 s5, s11, s5
	s_cbranch_scc0 .LBB34_21
; %bb.4:
	s_add_u32 s16, s22, 0
	s_addc_u32 s17, 0, 0
	s_xor_b64 s[18:19], s[16:17], 0
	v_cvt_f32_u32_e32 v1, s18
	v_cvt_f32_u32_e32 v2, s19
	s_sub_u32 s7, 0, s18
	s_waitcnt lgkmcnt(0)
	s_subb_u32 s15, 0, s19
	v_fmamk_f32 v1, v2, 0x4f800000, v1
	v_rcp_f32_e32 v1, v1
	s_nop 0
	v_mul_f32_e32 v1, 0x5f7ffffc, v1
	v_mul_f32_e32 v2, 0x2f800000, v1
	v_trunc_f32_e32 v2, v2
	v_fmamk_f32 v1, v2, 0xcf800000, v1
	v_cvt_u32_f32_e32 v2, v2
	v_cvt_u32_f32_e32 v1, v1
	v_readfirstlane_b32 s20, v2
	v_readfirstlane_b32 s23, v1
	s_mul_i32 s24, s7, s20
	s_mul_hi_u32 s26, s7, s23
	s_mul_i32 s25, s15, s23
	s_add_i32 s24, s26, s24
	s_add_i32 s24, s24, s25
	s_mul_i32 s27, s7, s23
	s_mul_i32 s26, s23, s24
	s_mul_hi_u32 s28, s23, s27
	s_mul_hi_u32 s25, s23, s24
	s_add_u32 s26, s28, s26
	s_addc_u32 s25, 0, s25
	s_mul_hi_u32 s29, s20, s27
	s_mul_i32 s27, s20, s27
	s_add_u32 s26, s26, s27
	s_mul_hi_u32 s28, s20, s24
	s_addc_u32 s25, s25, s29
	s_addc_u32 s26, s28, 0
	s_mul_i32 s24, s20, s24
	s_add_u32 s24, s25, s24
	s_addc_u32 s26, 0, s26
	s_add_u32 s23, s23, s24
	s_cselect_b64 s[24:25], -1, 0
	s_cmp_lg_u64 s[24:25], 0
	s_addc_u32 s20, s20, s26
	s_mul_i32 s24, s7, s20
	s_mul_hi_u32 s25, s7, s23
	s_add_i32 s24, s25, s24
	s_mul_i32 s15, s15, s23
	s_add_i32 s24, s24, s15
	s_mul_i32 s7, s7, s23
	s_mul_hi_u32 s25, s20, s7
	s_mul_i32 s26, s20, s7
	s_mul_i32 s28, s23, s24
	s_mul_hi_u32 s7, s23, s7
	s_mul_hi_u32 s27, s23, s24
	s_add_u32 s7, s7, s28
	s_addc_u32 s27, 0, s27
	s_add_u32 s7, s7, s26
	s_mul_hi_u32 s15, s20, s24
	s_addc_u32 s7, s27, s25
	s_addc_u32 s15, s15, 0
	s_mul_i32 s24, s20, s24
	s_add_u32 s7, s7, s24
	s_addc_u32 s15, 0, s15
	s_add_u32 s7, s23, s7
	s_cselect_b64 s[24:25], -1, 0
	s_cmp_lg_u64 s[24:25], 0
	s_addc_u32 s15, s20, s15
	s_ashr_i32 s24, s21, 31
	s_add_u32 s20, s5, s24
	s_mov_b32 s25, s24
	s_addc_u32 s21, s21, s24
	s_xor_b64 s[20:21], s[20:21], s[24:25]
	s_mul_i32 s26, s20, s15
	s_mul_hi_u32 s27, s20, s7
	s_mul_hi_u32 s23, s20, s15
	s_add_u32 s26, s27, s26
	s_addc_u32 s23, 0, s23
	s_mul_hi_u32 s28, s21, s7
	s_mul_i32 s7, s21, s7
	s_add_u32 s7, s26, s7
	s_mul_hi_u32 s27, s21, s15
	s_addc_u32 s7, s23, s28
	s_addc_u32 s23, s27, 0
	s_mul_i32 s15, s21, s15
	s_add_u32 s7, s7, s15
	s_addc_u32 s15, 0, s23
	s_mul_i32 s23, s18, s15
	s_mul_hi_u32 s26, s18, s7
	s_add_i32 s23, s26, s23
	s_mul_i32 s26, s19, s7
	s_add_i32 s23, s23, s26
	s_sub_i32 s28, s21, s23
	s_mul_i32 s26, s18, s7
	s_sub_u32 s20, s20, s26
	s_cselect_b64 s[26:27], -1, 0
	s_cmp_lg_u64 s[26:27], 0
	s_subb_u32 s30, s28, s19
	s_sub_u32 s31, s20, s18
	s_cselect_b64 s[28:29], -1, 0
	s_cmp_lg_u64 s[28:29], 0
	s_subb_u32 s28, s30, 0
	s_cmp_ge_u32 s28, s19
	s_cselect_b32 s29, -1, 0
	s_cmp_ge_u32 s31, s18
	s_cselect_b32 s30, -1, 0
	s_cmp_eq_u32 s28, s19
	s_cselect_b32 s28, s30, s29
	s_add_u32 s29, s7, 1
	s_addc_u32 s30, s15, 0
	s_add_u32 s31, s7, 2
	s_addc_u32 s33, s15, 0
	s_cmp_lg_u32 s28, 0
	s_cselect_b32 s28, s31, s29
	s_cselect_b32 s29, s33, s30
	s_cmp_lg_u64 s[26:27], 0
	s_subb_u32 s21, s21, s23
	s_cmp_ge_u32 s21, s19
	s_cselect_b32 s23, -1, 0
	s_cmp_ge_u32 s20, s18
	s_cselect_b32 s18, -1, 0
	s_cmp_eq_u32 s21, s19
	s_cselect_b32 s18, s18, s23
	s_cmp_lg_u32 s18, 0
	s_cselect_b32 s19, s29, s15
	s_cselect_b32 s18, s28, s7
	s_xor_b64 s[20:21], s[24:25], 0
	s_xor_b64 s[18:19], s[18:19], s[20:21]
	s_sub_u32 s18, s18, s20
	s_cbranch_execnz .LBB34_6
.LBB34_5:
	v_cvt_f32_u32_e32 v1, s22
	s_sub_i32 s7, 0, s22
	v_rcp_iflag_f32_e32 v1, v1
	s_nop 0
	v_mul_f32_e32 v1, 0x4f7ffffe, v1
	v_cvt_u32_f32_e32 v1, v1
	s_waitcnt lgkmcnt(0)
	v_readfirstlane_b32 s15, v1
	s_mul_i32 s7, s7, s15
	s_mul_hi_u32 s7, s15, s7
	s_add_i32 s15, s15, s7
	s_mul_hi_u32 s7, s5, s15
	s_mul_i32 s16, s7, s22
	s_sub_i32 s5, s5, s16
	s_add_i32 s15, s7, 1
	s_sub_i32 s16, s5, s22
	s_cmp_ge_u32 s5, s22
	s_cselect_b32 s7, s15, s7
	s_cselect_b32 s5, s16, s5
	s_add_i32 s15, s7, 1
	s_cmp_ge_u32 s5, s22
	s_cselect_b32 s18, s15, s7
.LBB34_6:
	s_cmp_eq_u32 s6, s18
	s_waitcnt lgkmcnt(0)
	s_mul_hi_u32 s5, s6, s12
	s_cselect_b64 s[16:17], -1, 0
	s_add_i32 s5, s5, s6
	s_lshr_b32 s7, s5, s13
	s_mul_i32 s5, s7, s14
	s_cmp_eq_u32 s5, s6
	s_mul_hi_u32 s5, s18, s12
	s_cselect_b64 s[20:21], -1, 0
	s_add_i32 s5, s5, s18
	s_lshr_b32 s5, s5, s13
	s_cmp_eq_u32 s7, s5
	s_mul_i32 s5, s5, s14
	s_cselect_b64 s[24:25], -1, 0
	s_cmp_lg_u32 s5, s18
	s_cselect_b64 s[18:19], -1, 0
	s_and_b64 s[18:19], s[24:25], s[18:19]
	s_or_b64 s[16:17], s[16:17], s[20:21]
	s_or_b64 s[16:17], s[16:17], s[18:19]
	s_and_b64 vcc, exec, s[16:17]
	s_cbranch_vccnz .LBB34_23
; %bb.7:
	s_load_dwordx8 s[24:31], s[0:1], 0x20
	s_load_dword s15, s[0:1], 0x40
	s_waitcnt lgkmcnt(0)
	s_mul_hi_u32 s5, s6, s24
	s_add_i32 s5, s5, s6
	s_lshr_b32 s5, s5, s25
	s_mul_i32 s16, s5, s26
	s_sub_i32 s16, s6, s16
	s_mul_hi_u32 s17, s16, s27
	s_add_i32 s17, s16, s17
	s_lshr_b32 s20, s17, s28
	s_mul_i32 s17, s20, s29
	s_sub_i32 s16, s16, s17
	;; [unrolled: 5-line block ×3, first 2 shown]
	s_mul_hi_u32 s16, s15, s12
	s_add_i32 s15, s15, s16
	s_lshr_b32 s23, s15, s13
	s_lshl_b32 s15, s23, 2
	s_lshl_b32 s21, s17, 3
	s_add_i32 s15, s15, s3
	s_cmp_lt_i32 s15, s8
	s_cselect_b64 s[16:17], -1, 0
	s_add_i32 s15, s21, s4
	s_cmp_lt_i32 s15, s10
	s_cselect_b64 s[18:19], -1, 0
	s_and_b64 s[16:17], s[16:17], s[18:19]
	s_andn2_b64 vcc, exec, s[16:17]
	s_cbranch_vccnz .LBB34_23
; %bb.8:
	s_load_dwordx4 s[16:19], s[0:1], 0x0
	s_mov_b32 s0, 0
	s_lshl_b32 s15, s3, 3
	s_lshl_b32 s24, s22, 7
	s_mov_b32 s25, s0
	s_add_i32 s15, s15, s4
	s_waitcnt lgkmcnt(0)
	v_mov_b32_e32 v2, s16
	v_mov_b32_e32 v3, s17
	s_lshl_b64 s[16:17], s[24:25], 2
	s_add_u32 s16, s18, s16
	s_mul_i32 s1, s5, s8
	s_addc_u32 s17, s19, s17
	s_add_i32 s1, s1, s3
	s_mul_i32 s1, s1, s9
	s_mul_i32 s20, s20, s10
	s_add_i32 s1, s1, s4
	s_add_i32 s1, s1, s20
	s_mul_i32 s5, s9, s23
	s_add_i32 s1, s1, s21
	s_lshl_b32 s5, s5, 10
	s_lshl_b32 s1, s1, 8
	s_add_i32 s5, s5, s1
	v_or_b32_e32 v4, s5, v0
	v_ashrrev_i32_e32 v5, 31, v4
	v_lshl_add_u64 v[2:3], v[4:5], 2, v[2:3]
	global_load_dword v1, v[2:3], off
	v_cvt_f32_u32_e32 v4, s22
	s_lshl_b32 s1, s2, 5
	s_add_i32 s4, s15, s1
	s_ashr_i32 s5, s4, 31
	s_lshl_b64 s[4:5], s[4:5], 3
	v_rcp_iflag_f32_e32 v4, v4
	s_add_u32 s4, s18, s4
	s_addc_u32 s5, s19, s5
	s_load_dwordx2 s[4:5], s[4:5], 0x0
	v_mul_f32_e32 v4, 0x4f7ffffe, v4
	v_cvt_u32_f32_e32 v7, v4
	s_add_i32 s24, s2, -1
	v_lshl_or_b32 v6, s15, 8, v0
	s_waitcnt lgkmcnt(0)
	v_mov_b32_e32 v0, s5
	v_mov_b32_e32 v9, s4
	s_mov_b32 s10, 0x3fb8aa3b
	s_mov_b32 s20, 0xc2ce8ed0
	;; [unrolled: 1-line block ×4, first 2 shown]
	v_mov_b32_e32 v8, 0x7f800000
	s_mul_hi_i32 s1, s24, s11
	s_cmp_lg_u64 s[0:1], 0
	s_mul_i32 s8, s24, s11
	s_cbranch_scc0 .LBB34_19
.LBB34_9:
	s_add_u32 s2, s22, 0
	s_addc_u32 s3, 0, 0
	s_xor_b64 s[2:3], s[2:3], 0
	v_cvt_f32_u32_e32 v4, s2
	v_cvt_f32_u32_e32 v5, s3
	s_sub_u32 s9, 0, s2
	s_subb_u32 s25, 0, s3
	v_fmac_f32_e32 v4, 0x4f800000, v5
	v_rcp_f32_e32 v4, v4
	s_nop 0
	v_mul_f32_e32 v4, 0x5f7ffffc, v4
	v_mul_f32_e32 v5, 0x2f800000, v4
	v_trunc_f32_e32 v5, v5
	v_fmac_f32_e32 v4, 0xcf800000, v5
	v_cvt_u32_f32_e32 v5, v5
	v_cvt_u32_f32_e32 v4, v4
	v_readfirstlane_b32 s26, v5
	v_readfirstlane_b32 s4, v4
	s_mul_i32 s5, s9, s26
	s_mul_hi_u32 s28, s9, s4
	s_mul_i32 s27, s25, s4
	s_add_i32 s5, s28, s5
	s_mul_i32 s29, s9, s4
	s_add_i32 s5, s5, s27
	s_mul_i32 s28, s4, s5
	s_mul_hi_u32 s30, s4, s29
	s_mul_hi_u32 s27, s4, s5
	s_add_u32 s28, s30, s28
	s_addc_u32 s27, 0, s27
	s_mul_hi_u32 s31, s26, s29
	s_mul_i32 s29, s26, s29
	s_add_u32 s28, s28, s29
	s_mul_hi_u32 s30, s26, s5
	s_addc_u32 s27, s27, s31
	s_addc_u32 s28, s30, 0
	s_mul_i32 s5, s26, s5
	s_add_u32 s5, s27, s5
	s_addc_u32 s27, 0, s28
	s_add_u32 s28, s4, s5
	s_cselect_b64 s[4:5], -1, 0
	s_cmp_lg_u64 s[4:5], 0
	s_addc_u32 s26, s26, s27
	s_mul_i32 s4, s9, s26
	s_mul_hi_u32 s5, s9, s28
	s_add_i32 s4, s5, s4
	s_mul_i32 s25, s25, s28
	s_add_i32 s4, s4, s25
	s_mul_i32 s9, s9, s28
	s_mul_hi_u32 s25, s26, s9
	s_mul_i32 s27, s26, s9
	s_mul_i32 s30, s28, s4
	s_mul_hi_u32 s9, s28, s9
	s_mul_hi_u32 s29, s28, s4
	s_add_u32 s9, s9, s30
	s_addc_u32 s29, 0, s29
	s_add_u32 s9, s9, s27
	s_mul_hi_u32 s5, s26, s4
	s_addc_u32 s9, s29, s25
	s_addc_u32 s5, s5, 0
	s_mul_i32 s4, s26, s4
	s_add_u32 s4, s9, s4
	s_addc_u32 s9, 0, s5
	s_add_u32 s25, s28, s4
	s_cselect_b64 s[4:5], -1, 0
	s_cmp_lg_u64 s[4:5], 0
	s_addc_u32 s9, s26, s9
	s_ashr_i32 s4, s1, 31
	s_add_u32 s26, s8, s4
	s_mov_b32 s5, s4
	s_addc_u32 s27, s1, s4
	s_xor_b64 s[26:27], s[26:27], s[4:5]
	s_mul_i32 s28, s26, s9
	s_mul_hi_u32 s29, s26, s25
	s_mul_hi_u32 s1, s26, s9
	s_add_u32 s28, s29, s28
	s_addc_u32 s1, 0, s1
	s_mul_hi_u32 s30, s27, s25
	s_mul_i32 s25, s27, s25
	s_add_u32 s25, s28, s25
	s_mul_hi_u32 s29, s27, s9
	s_addc_u32 s1, s1, s30
	s_addc_u32 s25, s29, 0
	s_mul_i32 s9, s27, s9
	s_add_u32 s1, s1, s9
	s_addc_u32 s9, 0, s25
	s_mul_i32 s25, s2, s9
	s_mul_hi_u32 s28, s2, s1
	s_add_i32 s25, s28, s25
	s_mul_i32 s28, s3, s1
	s_add_i32 s25, s25, s28
	s_sub_i32 s30, s27, s25
	s_mul_i32 s28, s2, s1
	s_sub_u32 s26, s26, s28
	s_cselect_b64 s[28:29], -1, 0
	s_cmp_lg_u64 s[28:29], 0
	s_subb_u32 s33, s30, s3
	s_sub_u32 s34, s26, s2
	s_cselect_b64 s[30:31], -1, 0
	s_cmp_lg_u64 s[30:31], 0
	s_subb_u32 s30, s33, 0
	s_cmp_ge_u32 s30, s3
	s_cselect_b32 s31, -1, 0
	s_cmp_ge_u32 s34, s2
	s_cselect_b32 s33, -1, 0
	s_cmp_eq_u32 s30, s3
	s_cselect_b32 s30, s33, s31
	s_add_u32 s31, s1, 1
	s_addc_u32 s33, s9, 0
	s_add_u32 s34, s1, 2
	s_addc_u32 s35, s9, 0
	s_cmp_lg_u32 s30, 0
	s_cselect_b32 s30, s34, s31
	s_cselect_b32 s31, s35, s33
	s_cmp_lg_u64 s[28:29], 0
	s_subb_u32 s25, s27, s25
	s_cmp_ge_u32 s25, s3
	s_cselect_b32 s27, -1, 0
	s_cmp_ge_u32 s26, s2
	s_cselect_b32 s2, -1, 0
	s_cmp_eq_u32 s25, s3
	s_cselect_b32 s2, s2, s27
	s_cmp_lg_u32 s2, 0
	s_cselect_b32 s3, s31, s9
	s_cselect_b32 s2, s30, s1
	s_xor_b64 s[4:5], s[4:5], 0
	s_xor_b64 s[2:3], s[2:3], s[4:5]
	s_sub_u32 s4, s2, s4
	s_cbranch_execnz .LBB34_11
.LBB34_10:
	s_sub_i32 s1, 0, s22
	v_readfirstlane_b32 s2, v7
	s_mul_i32 s1, s1, s2
	s_mul_hi_u32 s1, s2, s1
	s_add_i32 s2, s2, s1
	s_mul_hi_u32 s1, s8, s2
	s_mul_i32 s3, s1, s22
	s_sub_i32 s3, s8, s3
	s_add_i32 s2, s1, 1
	s_sub_i32 s4, s3, s22
	s_cmp_ge_u32 s3, s22
	s_cselect_b32 s1, s2, s1
	s_cselect_b32 s3, s4, s3
	s_add_i32 s2, s1, 1
	s_cmp_ge_u32 s3, s22
	s_cselect_b32 s4, s2, s1
.LBB34_11:
	s_cmp_lg_u32 s6, s4
	s_cbranch_scc0 .LBB34_15
; %bb.12:
	s_add_i32 s1, s24, s22
	s_lshl_b32 s1, s1, 5
	s_add_i32 s2, s1, s15
	s_mov_b32 s3, s0
	s_lshl_b64 s[2:3], s[2:3], 3
	s_add_u32 s8, s18, s2
	s_mul_hi_u32 s1, s4, s12
	s_addc_u32 s9, s19, s3
	s_add_i32 s1, s1, s4
	s_lshr_b32 s1, s1, s13
	s_mul_i32 s2, s1, s14
	s_cmp_eq_u32 s2, s4
	s_cselect_b64 s[2:3], -1, 0
	s_cmp_lt_u32 s1, s7
	s_cselect_b64 s[26:27], -1, 0
	s_or_b64 s[26:27], s[26:27], s[2:3]
	s_mov_b64 s[2:3], -1
	s_and_b64 vcc, exec, s[26:27]
	s_mov_b32 s1, s24
	s_mov_b32 s25, s6
	s_cbranch_vccnz .LBB34_14
; %bb.13:
	s_add_i32 s1, s24, -1
	s_mov_b64 s[2:3], 0
	s_mov_b32 s25, s4
.LBB34_14:
	v_lshl_add_u32 v4, s24, 13, v6
	v_ashrrev_i32_e32 v5, 31, v4
	v_lshl_add_u64 v[4:5], v[4:5], 2, s[16:17]
	global_load_dword v5, v[4:5], off
	s_load_dwordx2 s[4:5], s[8:9], 0x0
	v_max_f32_e32 v4, v9, v9
	s_waitcnt lgkmcnt(0)
	v_max_f32_e64 v10, s4, s4
	v_max_f32_e32 v10, v4, v10
	v_sub_f32_e32 v11, v9, v10
	v_sub_f32_e32 v13, s4, v10
	v_mul_f32_e32 v4, 0x3fb8aa3b, v11
	v_mul_f32_e32 v12, 0x3fb8aa3b, v13
	v_fma_f32 v14, v11, s10, -v4
	v_rndne_f32_e32 v15, v4
	v_fma_f32 v16, v13, s10, -v12
	v_rndne_f32_e32 v17, v12
	v_fmac_f32_e32 v14, 0x32a5705f, v11
	v_sub_f32_e32 v4, v4, v15
	v_fmac_f32_e32 v16, 0x32a5705f, v13
	v_sub_f32_e32 v12, v12, v17
	v_add_f32_e32 v4, v4, v14
	v_cvt_i32_f32_e32 v15, v15
	v_add_f32_e32 v12, v12, v16
	v_exp_f32_e32 v14, v4
	v_cvt_i32_f32_e32 v17, v17
	v_exp_f32_e32 v12, v12
	v_cmp_ngt_f32_e32 vcc, s20, v11
	v_ldexp_f32 v14, v14, v15
	v_mov_b32_e32 v4, s5
	v_ldexp_f32 v12, v12, v17
	v_cndmask_b32_e32 v14, 0, v14, vcc
	v_cmp_ngt_f32_e32 vcc, s20, v13
	s_nop 1
	v_cndmask_b32_e32 v12, 0, v12, vcc
	v_cmp_nlt_f32_e32 vcc, s21, v11
	s_nop 1
	v_cndmask_b32_e32 v14, v8, v14, vcc
	v_cmp_nlt_f32_e32 vcc, s21, v13
	s_nop 1
	v_cndmask_b32_e32 v15, v8, v12, vcc
	v_cmp_le_f32_e32 vcc, s23, v11
	s_nop 1
	v_cndmask_b32_e32 v12, 0, v14, vcc
	v_cmp_le_f32_e32 vcc, s23, v13
	s_nop 1
	v_cndmask_b32_e32 v14, 0, v15, vcc
	s_waitcnt vmcnt(0)
	v_pk_mul_f32 v[4:5], v[4:5], v[14:15] op_sel_hi:[1,0]
	s_nop 0
	v_pk_fma_f32 v[4:5], v[0:1], v[12:13], v[4:5] op_sel_hi:[1,0,1]
	s_cbranch_execz .LBB34_16
	s_branch .LBB34_17
.LBB34_15:
                                        ; implicit-def: $vgpr4_vgpr5
                                        ; implicit-def: $sgpr2_sgpr3
                                        ; implicit-def: $vgpr10
                                        ; implicit-def: $sgpr1
                                        ; implicit-def: $sgpr25
.LBB34_16:
	s_add_i32 s1, s24, -1
	s_mov_b64 s[2:3], 0
	s_mov_b32 s25, s6
	v_mov_b32_e32 v10, v9
	s_waitcnt vmcnt(0)
	v_mov_b64_e32 v[4:5], v[0:1]
.LBB34_17:
	s_andn2_b64 vcc, exec, s[2:3]
	s_cbranch_vccz .LBB34_22
; %bb.18:
	s_mov_b32 s6, s25
	s_mov_b32 s24, s1
	v_mov_b32_e32 v9, v10
	s_waitcnt vmcnt(0)
	v_mov_b64_e32 v[0:1], v[4:5]
	s_mul_hi_i32 s1, s24, s11
	s_cmp_lg_u64 s[0:1], 0
	s_mul_i32 s8, s24, s11
	s_cbranch_scc1 .LBB34_9
.LBB34_19:
                                        ; implicit-def: $sgpr4_sgpr5
	s_branch .LBB34_10
.LBB34_20:
                                        ; implicit-def: $sgpr6_sgpr7
	s_load_dwordx4 s[12:15], s[0:1], 0x44
	s_branch .LBB34_2
.LBB34_21:
                                        ; implicit-def: $sgpr18_sgpr19
	s_branch .LBB34_5
.LBB34_22:
	v_div_scale_f32 v0, s[0:1], v4, v4, v5
	s_waitcnt vmcnt(0)
	v_rcp_f32_e32 v1, v0
	v_div_scale_f32 v6, vcc, v5, v4, v5
	v_fma_f32 v7, -v0, v1, 1.0
	v_fmac_f32_e32 v1, v7, v1
	v_mul_f32_e32 v7, v6, v1
	v_fma_f32 v8, -v0, v7, v6
	v_fmac_f32_e32 v7, v8, v1
	v_fma_f32 v0, -v0, v7, v6
	v_div_fmas_f32 v0, v0, v1, v7
	v_div_fixup_f32 v0, v0, v4, v5
	global_store_dword v[2:3], v0, off
.LBB34_23:
	s_endpgm
	.section	.rodata,"a",@progbits
	.p2align	6, 0x0
	.amdhsa_kernel _ZL33flash_attn_stream_k_fixup_generalILi256ELi4ELi8EEvPfPK15HIP_vector_typeIfLj2EEiiiiS1_IjLj3EES5_S5_S5_
		.amdhsa_group_segment_fixed_size 0
		.amdhsa_private_segment_fixed_size 0
		.amdhsa_kernarg_size 336
		.amdhsa_user_sgpr_count 2
		.amdhsa_user_sgpr_dispatch_ptr 0
		.amdhsa_user_sgpr_queue_ptr 0
		.amdhsa_user_sgpr_kernarg_segment_ptr 1
		.amdhsa_user_sgpr_dispatch_id 0
		.amdhsa_user_sgpr_kernarg_preload_length 0
		.amdhsa_user_sgpr_kernarg_preload_offset 0
		.amdhsa_user_sgpr_private_segment_size 0
		.amdhsa_uses_dynamic_stack 0
		.amdhsa_enable_private_segment 0
		.amdhsa_system_sgpr_workgroup_id_x 1
		.amdhsa_system_sgpr_workgroup_id_y 1
		.amdhsa_system_sgpr_workgroup_id_z 1
		.amdhsa_system_sgpr_workgroup_info 0
		.amdhsa_system_vgpr_workitem_id 0
		.amdhsa_next_free_vgpr 18
		.amdhsa_next_free_sgpr 36
		.amdhsa_accum_offset 20
		.amdhsa_reserve_vcc 1
		.amdhsa_float_round_mode_32 0
		.amdhsa_float_round_mode_16_64 0
		.amdhsa_float_denorm_mode_32 3
		.amdhsa_float_denorm_mode_16_64 3
		.amdhsa_dx10_clamp 1
		.amdhsa_ieee_mode 1
		.amdhsa_fp16_overflow 0
		.amdhsa_tg_split 0
		.amdhsa_exception_fp_ieee_invalid_op 0
		.amdhsa_exception_fp_denorm_src 0
		.amdhsa_exception_fp_ieee_div_zero 0
		.amdhsa_exception_fp_ieee_overflow 0
		.amdhsa_exception_fp_ieee_underflow 0
		.amdhsa_exception_fp_ieee_inexact 0
		.amdhsa_exception_int_div_zero 0
	.end_amdhsa_kernel
	.section	.text._ZL33flash_attn_stream_k_fixup_generalILi256ELi4ELi8EEvPfPK15HIP_vector_typeIfLj2EEiiiiS1_IjLj3EES5_S5_S5_,"axG",@progbits,_ZL33flash_attn_stream_k_fixup_generalILi256ELi4ELi8EEvPfPK15HIP_vector_typeIfLj2EEiiiiS1_IjLj3EES5_S5_S5_,comdat
.Lfunc_end34:
	.size	_ZL33flash_attn_stream_k_fixup_generalILi256ELi4ELi8EEvPfPK15HIP_vector_typeIfLj2EEiiiiS1_IjLj3EES5_S5_S5_, .Lfunc_end34-_ZL33flash_attn_stream_k_fixup_generalILi256ELi4ELi8EEvPfPK15HIP_vector_typeIfLj2EEiiiiS1_IjLj3EES5_S5_S5_
                                        ; -- End function
	.set _ZL33flash_attn_stream_k_fixup_generalILi256ELi4ELi8EEvPfPK15HIP_vector_typeIfLj2EEiiiiS1_IjLj3EES5_S5_S5_.num_vgpr, 18
	.set _ZL33flash_attn_stream_k_fixup_generalILi256ELi4ELi8EEvPfPK15HIP_vector_typeIfLj2EEiiiiS1_IjLj3EES5_S5_S5_.num_agpr, 0
	.set _ZL33flash_attn_stream_k_fixup_generalILi256ELi4ELi8EEvPfPK15HIP_vector_typeIfLj2EEiiiiS1_IjLj3EES5_S5_S5_.numbered_sgpr, 36
	.set _ZL33flash_attn_stream_k_fixup_generalILi256ELi4ELi8EEvPfPK15HIP_vector_typeIfLj2EEiiiiS1_IjLj3EES5_S5_S5_.num_named_barrier, 0
	.set _ZL33flash_attn_stream_k_fixup_generalILi256ELi4ELi8EEvPfPK15HIP_vector_typeIfLj2EEiiiiS1_IjLj3EES5_S5_S5_.private_seg_size, 0
	.set _ZL33flash_attn_stream_k_fixup_generalILi256ELi4ELi8EEvPfPK15HIP_vector_typeIfLj2EEiiiiS1_IjLj3EES5_S5_S5_.uses_vcc, 1
	.set _ZL33flash_attn_stream_k_fixup_generalILi256ELi4ELi8EEvPfPK15HIP_vector_typeIfLj2EEiiiiS1_IjLj3EES5_S5_S5_.uses_flat_scratch, 0
	.set _ZL33flash_attn_stream_k_fixup_generalILi256ELi4ELi8EEvPfPK15HIP_vector_typeIfLj2EEiiiiS1_IjLj3EES5_S5_S5_.has_dyn_sized_stack, 0
	.set _ZL33flash_attn_stream_k_fixup_generalILi256ELi4ELi8EEvPfPK15HIP_vector_typeIfLj2EEiiiiS1_IjLj3EES5_S5_S5_.has_recursion, 0
	.set _ZL33flash_attn_stream_k_fixup_generalILi256ELi4ELi8EEvPfPK15HIP_vector_typeIfLj2EEiiiiS1_IjLj3EES5_S5_S5_.has_indirect_call, 0
	.section	.AMDGPU.csdata,"",@progbits
; Kernel info:
; codeLenInByte = 2940
; TotalNumSgprs: 42
; NumVgprs: 18
; NumAgprs: 0
; TotalNumVgprs: 18
; ScratchSize: 0
; MemoryBound: 0
; FloatMode: 240
; IeeeMode: 1
; LDSByteSize: 0 bytes/workgroup (compile time only)
; SGPRBlocks: 5
; VGPRBlocks: 2
; NumSGPRsForWavesPerEU: 42
; NumVGPRsForWavesPerEU: 18
; AccumOffset: 20
; Occupancy: 8
; WaveLimiterHint : 0
; COMPUTE_PGM_RSRC2:SCRATCH_EN: 0
; COMPUTE_PGM_RSRC2:USER_SGPR: 2
; COMPUTE_PGM_RSRC2:TRAP_HANDLER: 0
; COMPUTE_PGM_RSRC2:TGID_X_EN: 1
; COMPUTE_PGM_RSRC2:TGID_Y_EN: 1
; COMPUTE_PGM_RSRC2:TGID_Z_EN: 1
; COMPUTE_PGM_RSRC2:TIDIG_COMP_CNT: 0
; COMPUTE_PGM_RSRC3_GFX90A:ACCUM_OFFSET: 4
; COMPUTE_PGM_RSRC3_GFX90A:TG_SPLIT: 0
	.section	.text._ZL26flash_attn_combine_resultsILi256EEvPKfPK15HIP_vector_typeIfLj2EEPfi,"axG",@progbits,_ZL26flash_attn_combine_resultsILi256EEvPKfPK15HIP_vector_typeIfLj2EEPfi,comdat
	.globl	_ZL26flash_attn_combine_resultsILi256EEvPKfPK15HIP_vector_typeIfLj2EEPfi ; -- Begin function _ZL26flash_attn_combine_resultsILi256EEvPKfPK15HIP_vector_typeIfLj2EEPfi
	.p2align	8
	.type	_ZL26flash_attn_combine_resultsILi256EEvPKfPK15HIP_vector_typeIfLj2EEPfi,@function
_ZL26flash_attn_combine_resultsILi256EEvPKfPK15HIP_vector_typeIfLj2EEPfi: ; @_ZL26flash_attn_combine_resultsILi256EEvPKfPK15HIP_vector_typeIfLj2EEPfi
; %bb.0:
	s_load_dwordx2 s[6:7], s[0:1], 0x20
	s_load_dword s19, s[0:1], 0x18
	s_load_dwordx4 s[8:11], s[0:1], 0x0
	s_load_dwordx2 s[14:15], s[0:1], 0x10
	s_waitcnt lgkmcnt(0)
	s_mul_i32 s0, s6, s4
	s_add_i32 s0, s0, s2
	s_mul_i32 s18, s0, s7
	s_add_i32 s18, s18, s3
	s_lshl_b32 s20, s19, 1
	s_mul_i32 s2, s18, s19
	v_cmp_gt_i32_e32 vcc, s20, v0
	s_and_saveexec_b64 s[0:1], vcc
	s_cbranch_execz .LBB35_13
; %bb.1:
	v_xad_u32 v1, v0, -1, s20
	s_movk_i32 s4, 0xff
	s_ashr_i32 s3, s2, 31
	v_cmp_lt_u32_e32 vcc, s4, v1
	s_mov_b64 s[6:7], -1
	v_mov_b32_e32 v2, v0
	s_and_saveexec_b64 s[4:5], vcc
	s_cbranch_execz .LBB35_10
; %bb.2:
	v_lshrrev_b32_e32 v6, 8, v1
	s_lshl_b64 s[6:7], s[2:3], 3
	v_add_u32_e32 v2, -1, v6
	s_add_u32 s6, s10, s6
	v_or_b32_e32 v1, 0x100, v0
	v_lshrrev_b32_e32 v3, 1, v2
	s_addc_u32 s7, s11, s7
	s_mov_b32 s21, 0
	v_add_u32_e32 v7, 1, v3
	v_cmp_lt_u32_e32 vcc, 13, v2
	v_mov_b32_e32 v4, 0
	v_mov_b64_e32 v[2:3], v[0:1]
	s_and_saveexec_b64 s[12:13], vcc
	s_cbranch_execz .LBB35_6
; %bb.3:
	v_and_b32_e32 v8, -8, v7
	v_lshl_add_u32 v9, v0, 2, 0
	s_mov_b64 s[16:17], 0
	v_mov_b32_e32 v5, 0
	v_mov_b64_e32 v[2:3], v[0:1]
.LBB35_4:                               ; =>This Inner Loop Header: Depth=1
	v_mov_b32_e32 v4, v2
	v_lshl_add_u64 v[24:25], v[4:5], 2, s[6:7]
	v_mov_b32_e32 v4, v3
	v_add_u32_e32 v10, 0x200, v3
	v_mov_b32_e32 v11, v5
	v_lshl_add_u64 v[26:27], v[4:5], 2, s[6:7]
	v_add_u32_e32 v4, 0x200, v2
	v_lshl_add_u64 v[10:11], v[10:11], 2, s[6:7]
	global_load_dword v1, v[24:25], off
	v_lshl_add_u64 v[24:25], v[4:5], 2, s[6:7]
	v_add_u32_e32 v4, 0x400, v2
	global_load_dword v28, v[26:27], off
	global_load_dword v29, v[24:25], off
	;; [unrolled: 1-line block ×3, first 2 shown]
	v_lshl_add_u64 v[10:11], v[4:5], 2, s[6:7]
	v_add_u32_e32 v4, 0x600, v2
	v_add_u32_e32 v12, 0x400, v3
	v_mov_b32_e32 v13, v5
	v_add_u32_e32 v14, 0x600, v3
	v_mov_b32_e32 v15, v5
	v_lshl_add_u64 v[24:25], v[4:5], 2, s[6:7]
	v_add_u32_e32 v4, 0x800, v2
	v_lshl_add_u64 v[12:13], v[12:13], 2, s[6:7]
	v_lshl_add_u64 v[14:15], v[14:15], 2, s[6:7]
	global_load_dword v26, v[10:11], off
	global_load_dword v27, v[12:13], off
	;; [unrolled: 1-line block ×4, first 2 shown]
	v_lshl_add_u64 v[10:11], v[4:5], 2, s[6:7]
	v_add_u32_e32 v4, 0xa00, v2
	v_add_u32_e32 v16, 0x800, v3
	v_mov_b32_e32 v17, v5
	v_add_u32_e32 v18, 0xa00, v3
	v_mov_b32_e32 v19, v5
	v_lshl_add_u64 v[12:13], v[4:5], 2, s[6:7]
	v_add_u32_e32 v4, 0xc00, v2
	v_add_u32_e32 v20, 0xc00, v3
	v_mov_b32_e32 v21, v5
	v_add_u32_e32 v22, 0xe00, v3
	v_mov_b32_e32 v23, v5
	v_lshl_add_u64 v[16:17], v[16:17], 2, s[6:7]
	v_lshl_add_u64 v[18:19], v[18:19], 2, s[6:7]
	global_load_dword v14, v[10:11], off
	global_load_dword v15, v[16:17], off
	;; [unrolled: 1-line block ×4, first 2 shown]
	v_lshl_add_u64 v[10:11], v[4:5], 2, s[6:7]
	v_add_u32_e32 v4, 0xe00, v2
	v_lshl_add_u64 v[20:21], v[20:21], 2, s[6:7]
	v_lshl_add_u64 v[22:23], v[22:23], 2, s[6:7]
	;; [unrolled: 1-line block ×3, first 2 shown]
	global_load_dword v16, v[10:11], off
	global_load_dword v17, v[20:21], off
	;; [unrolled: 1-line block ×4, first 2 shown]
	v_add_u32_e32 v8, -8, v8
	s_add_i32 s21, s21, 16
	v_cmp_eq_u32_e32 vcc, 0, v8
	v_add_u32_e32 v3, 0x1000, v3
	v_mov_b32_e32 v4, s21
	s_or_b64 s[16:17], vcc, s[16:17]
	v_add_u32_e32 v2, 0x1000, v2
	s_waitcnt vmcnt(14)
	ds_write2st64_b32 v9, v1, v28 offset1:4
	s_waitcnt vmcnt(12)
	ds_write2st64_b32 v9, v29, v30 offset0:8 offset1:12
	s_waitcnt vmcnt(10)
	ds_write2st64_b32 v9, v26, v27 offset0:16 offset1:20
	;; [unrolled: 2-line block ×7, first 2 shown]
	v_add_u32_e32 v9, 0x4000, v9
	s_andn2_b64 exec, exec, s[16:17]
	s_cbranch_execnz .LBB35_4
; %bb.5:
	s_or_b64 exec, exec, s[16:17]
.LBB35_6:
	s_or_b64 exec, exec, s[12:13]
	v_and_b32_e32 v1, 7, v7
	v_cmp_ne_u32_e32 vcc, 0, v1
	s_and_saveexec_b64 s[12:13], vcc
	s_cbranch_execz .LBB35_9
; %bb.7:
	v_lshlrev_b32_e32 v5, 2, v0
	v_lshl_or_b32 v4, v4, 10, v5
	v_add_u32_e32 v7, 0, v4
	s_mov_b64 s[16:17], 0
	v_mov_b32_e32 v5, 0
.LBB35_8:                               ; =>This Inner Loop Header: Depth=1
	v_mov_b32_e32 v4, v2
	v_lshl_add_u64 v[8:9], v[4:5], 2, s[6:7]
	v_mov_b32_e32 v4, v3
	v_lshl_add_u64 v[10:11], v[4:5], 2, s[6:7]
	global_load_dword v4, v[8:9], off
	global_load_dword v12, v[10:11], off
	v_add_u32_e32 v1, -1, v1
	v_cmp_eq_u32_e32 vcc, 0, v1
	v_add_u32_e32 v2, 0x200, v2
	v_add_u32_e32 v3, 0x200, v3
	s_or_b64 s[16:17], vcc, s[16:17]
	s_waitcnt vmcnt(0)
	ds_write2st64_b32 v7, v4, v12 offset1:4
	v_add_u32_e32 v7, 0x800, v7
	s_andn2_b64 exec, exec, s[16:17]
	s_cbranch_execnz .LBB35_8
.LBB35_9:
	s_or_b64 exec, exec, s[12:13]
	v_add_u32_e32 v1, 1, v6
	v_and_b32_e32 v3, 0x1fffffe, v1
	v_cmp_ne_u32_e32 vcc, v1, v3
	v_lshl_or_b32 v2, v3, 8, v0
	s_orn2_b64 s[6:7], vcc, exec
.LBB35_10:
	s_or_b64 exec, exec, s[4:5]
	s_and_b64 exec, exec, s[6:7]
	s_cbranch_execz .LBB35_13
; %bb.11:
	s_lshl_b64 s[4:5], s[2:3], 3
	s_add_u32 s4, s10, s4
	v_mov_b32_e32 v3, 0
	s_addc_u32 s5, s11, s5
	v_lshl_add_u64 v[4:5], v[2:3], 2, s[4:5]
	v_lshl_add_u32 v1, v2, 2, 0
	s_mov_b64 s[4:5], 0
	s_mov_b64 s[6:7], 0x400
.LBB35_12:                              ; =>This Inner Loop Header: Depth=1
	global_load_dword v3, v[4:5], off
	v_add_u32_e32 v2, 0x100, v2
	v_cmp_le_i32_e32 vcc, s20, v2
	v_lshl_add_u64 v[4:5], v[4:5], 0, s[6:7]
	s_or_b64 s[4:5], vcc, s[4:5]
	s_waitcnt vmcnt(0)
	ds_write_b32 v1, v3
	v_add_u32_e32 v1, 0x400, v1
	s_andn2_b64 exec, exec, s[4:5]
	s_cbranch_execnz .LBB35_12
.LBB35_13:
	s_or_b64 exec, exec, s[0:1]
	v_mov_b32_e32 v1, 0
	s_waitcnt lgkmcnt(0)
	s_barrier
	ds_read_b32 v1, v1
	s_cmp_lt_i32 s19, 2
	s_cbranch_scc1 .LBB35_21
; %bb.14:
	s_cmp_eq_u32 s19, 2
	s_cbranch_scc1 .LBB35_18
; %bb.15:
	s_add_i32 s3, s19, -1
	s_and_b32 s4, s3, -2
	s_add_i32 s6, 0, 8
	s_mov_b32 s5, 2
	s_waitcnt lgkmcnt(0)
	v_mov_b32_e32 v4, v1
.LBB35_16:                              ; =>This Inner Loop Header: Depth=1
	v_mov_b32_e32 v2, v1
	v_mov_b32_e32 v1, s6
	;; [unrolled: 1-line block ×3, first 2 shown]
	ds_read2_b32 v[4:5], v1 offset1:2
	s_cmp_lg_u32 s4, s5
	s_cselect_b64 s[10:11], -1, 0
	v_max_f32_e32 v1, v3, v3
	v_max_f32_e32 v6, v2, v2
	s_waitcnt lgkmcnt(0)
	v_cmp_u_f32_e32 vcc, v5, v5
	v_max_f32_e32 v7, v5, v5
	v_max_f32_e32 v8, v4, v4
	v_cndmask_b32_e64 v5, 0, 1, vcc
	v_cmp_u_f32_e32 vcc, v4, v4
	v_readfirstlane_b32 s0, v5
	s_lshl_b32 s0, s0, 1
	v_cndmask_b32_e64 v9, 0, 1, vcc
	v_max_f32_e32 v4, v1, v7
	v_readfirstlane_b32 s1, v9
	s_or_b32 s0, s1, s0
	s_and_b32 s7, s0, 3
	s_cmp_lg_u32 s7, 0
	s_cselect_b64 s[0:1], -1, 0
	s_cmp_eq_u32 s7, 0
	s_cselect_b64 s[12:13], -1, 0
	s_and_b64 s[10:11], s[12:13], s[10:11]
	v_max_f32_e32 v1, v6, v8
	s_add_i32 s5, s5, 2
	s_add_i32 s6, s6, 16
	s_and_b64 vcc, exec, s[10:11]
	s_cbranch_vccnz .LBB35_16
; %bb.17:
	s_add_i32 s5, s5, -4
	s_and_b64 s[6:7], s[0:1], exec
	s_cselect_b32 s5, s5, s3
	s_or_b32 s5, s5, 1
	v_cndmask_b32_e64 v1, v1, v2, s[0:1]
	v_cndmask_b32_e64 v2, v4, v3, s[0:1]
	s_cmp_lg_u32 s3, s4
	v_max_f32_e32 v2, v2, v2
	v_max_f32_e32 v1, v1, v1
	s_cselect_b64 s[6:7], -1, 0
	v_max_f32_e32 v1, v1, v2
	s_or_b64 s[0:1], s[6:7], s[0:1]
	s_and_b64 vcc, exec, s[0:1]
	s_cbranch_vccnz .LBB35_19
	s_branch .LBB35_21
.LBB35_18:
	s_mov_b32 s5, 1
	s_cbranch_execz .LBB35_21
.LBB35_19:
	s_lshl_b32 s1, s5, 3
	s_sub_i32 s0, s19, s5
	s_add_i32 s1, s1, 0
.LBB35_20:                              ; =>This Inner Loop Header: Depth=1
	v_mov_b32_e32 v2, s1
	ds_read_b32 v2, v2
	s_waitcnt lgkmcnt(1)
	v_max_f32_e32 v1, v1, v1
	s_add_i32 s0, s0, -1
	s_add_i32 s1, s1, 8
	s_cmp_eq_u32 s0, 0
	s_waitcnt lgkmcnt(0)
	v_max_f32_e32 v2, v2, v2
	v_max_f32_e32 v1, v1, v2
	s_cbranch_scc0 .LBB35_20
.LBB35_21:
	s_cmp_lt_i32 s19, 1
	s_cbranch_scc1 .LBB35_26
; %bb.22:
	s_lshl_b32 s0, s2, 8
	s_ashr_i32 s1, s0, 31
	s_lshl_b64 s[0:1], s[0:1], 2
	s_add_u32 s16, s8, s0
	s_addc_u32 s17, s9, s1
	s_cmp_lt_u32 s19, 8
	s_cbranch_scc1 .LBB35_27
; %bb.23:
	v_mov_b32_e32 v7, 0
	s_and_b32 s20, s19, 0x7ffffff8
	v_or_b32_e32 v4, 0x700, v0
	s_mov_b32 s21, 0
	s_mov_b32 s22, 0x3fb8aa3b
	;; [unrolled: 1-line block ×4, first 2 shown]
	v_mov_b32_e32 v8, 0x7f800000
	s_mov_b32 s25, 0
	v_mov_b32_e32 v2, v7
	v_mov_b32_e32 v3, v7
.LBB35_24:                              ; =>This Inner Loop Header: Depth=1
	v_add_u32_e32 v6, 0xfffff900, v4
	v_lshl_add_u64 v[26:27], v[6:7], 2, s[16:17]
	v_add_u32_e32 v6, 0xfffffa00, v4
	v_mov_b32_e32 v9, s21
	v_lshl_add_u64 v[30:31], v[6:7], 2, s[16:17]
	v_add_u32_e32 v6, 0xfffffb00, v4
	ds_read2_b64 v[10:13], v9 offset1:1
	ds_read2_b64 v[14:17], v9 offset0:2 offset1:3
	ds_read2_b64 v[18:21], v9 offset0:4 offset1:5
	ds_read2_b64 v[22:25], v9 offset0:6 offset1:7
	global_load_dword v33, v[26:27], off
	global_load_dword v35, v[30:31], off
	v_lshl_add_u64 v[26:27], v[6:7], 2, s[16:17]
	v_add_u32_e32 v6, 0xfffffc00, v4
	v_lshl_add_u64 v[30:31], v[6:7], 2, s[16:17]
	v_add_u32_e32 v6, 0xfffffd00, v4
	global_load_dword v37, v[26:27], off
	global_load_dword v39, v[30:31], off
	v_lshl_add_u64 v[26:27], v[6:7], 2, s[16:17]
	v_add_u32_e32 v6, 0xfffffe00, v4
	s_waitcnt lgkmcnt(3)
	v_mov_b32_e32 v32, v11
	v_sub_f32_e32 v9, v12, v1
	v_mov_b32_e32 v34, v13
	global_load_dword v11, v[26:27], off
	v_lshl_add_u64 v[12:13], v[6:7], 2, s[16:17]
	s_waitcnt lgkmcnt(2)
	v_mov_b32_e32 v36, v15
	v_add_u32_e32 v6, 0xffffff00, v4
	global_load_dword v15, v[12:13], off
	v_mov_b32_e32 v5, v7
	v_lshl_add_u64 v[12:13], v[6:7], 2, s[16:17]
	v_lshl_add_u64 v[28:29], v[4:5], 2, s[16:17]
	v_sub_f32_e32 v5, v10, v1
	v_mov_b32_e32 v38, v17
	s_waitcnt lgkmcnt(1)
	v_mov_b32_e32 v10, v19
	global_load_dword v17, v[12:13], off
	global_load_dword v19, v[28:29], off
	v_sub_f32_e32 v30, v14, v1
	v_sub_f32_e32 v31, v16, v1
	;; [unrolled: 1-line block ×3, first 2 shown]
	v_mov_b32_e32 v14, v21
	s_waitcnt lgkmcnt(0)
	v_sub_f32_e32 v21, v22, v1
	v_mov_b32_e32 v16, v23
	v_sub_f32_e32 v22, v24, v1
	v_mul_f32_e32 v23, 0x3fb8aa3b, v5
	v_mov_b32_e32 v18, v25
	v_mul_f32_e32 v24, 0x3fb8aa3b, v9
	v_mul_f32_e32 v25, 0x3fb8aa3b, v30
	;; [unrolled: 1-line block ×5, first 2 shown]
	v_fma_f32 v43, v5, s22, -v23
	v_rndne_f32_e32 v44, v23
	v_sub_f32_e32 v20, v20, v1
	v_fma_f32 v45, v9, s22, -v24
	v_rndne_f32_e32 v46, v24
	v_fma_f32 v47, v30, s22, -v25
	v_rndne_f32_e32 v48, v25
	;; [unrolled: 2-line block ×5, first 2 shown]
	v_fmac_f32_e32 v43, 0x32a5705f, v5
	v_sub_f32_e32 v12, v23, v44
	v_mul_f32_e32 v26, 0x3fb8aa3b, v31
	v_mul_f32_e32 v41, 0x3fb8aa3b, v20
	v_fmac_f32_e32 v45, 0x32a5705f, v9
	v_sub_f32_e32 v23, v24, v46
	v_fmac_f32_e32 v47, 0x32a5705f, v30
	v_sub_f32_e32 v25, v25, v48
	;; [unrolled: 2-line block ×5, first 2 shown]
	v_add_f32_e32 v12, v12, v43
	v_fma_f32 v49, v31, s22, -v26
	v_rndne_f32_e32 v50, v26
	v_fma_f32 v53, v20, s22, -v41
	v_rndne_f32_e32 v54, v41
	v_cvt_i32_f32_e32 v13, v44
	v_add_f32_e32 v23, v23, v45
	v_add_f32_e32 v25, v25, v47
	;; [unrolled: 1-line block ×5, first 2 shown]
	v_exp_f32_e32 v12, v12
	v_cvt_i32_f32_e32 v24, v46
	v_cvt_i32_f32_e32 v28, v48
	v_fmac_f32_e32 v49, 0x32a5705f, v31
	v_sub_f32_e32 v26, v26, v50
	v_cvt_i32_f32_e32 v29, v50
	v_cvt_i32_f32_e32 v44, v52
	v_fmac_f32_e32 v53, 0x32a5705f, v20
	v_sub_f32_e32 v41, v41, v54
	v_cvt_i32_f32_e32 v48, v56
	v_cvt_i32_f32_e32 v50, v58
	v_exp_f32_e32 v23, v23
	v_exp_f32_e32 v25, v25
	;; [unrolled: 1-line block ×5, first 2 shown]
	v_add_f32_e32 v26, v26, v49
	v_add_f32_e32 v41, v41, v53
	v_cvt_i32_f32_e32 v46, v54
	v_exp_f32_e32 v26, v26
	v_exp_f32_e32 v41, v41
	v_ldexp_f32 v12, v12, v13
	v_cmp_ngt_f32_e64 s[12:13], s23, v5
	v_ldexp_f32 v13, v23, v24
	v_cmp_ngt_f32_e32 vcc, s23, v9
	v_ldexp_f32 v23, v25, v28
	v_ldexp_f32 v25, v27, v44
	;; [unrolled: 1-line block ×3, first 2 shown]
	v_cmp_ngt_f32_e64 s[8:9], s23, v21
	v_ldexp_f32 v6, v6, v50
	v_cmp_ngt_f32_e64 s[10:11], s23, v22
	v_cndmask_b32_e64 v12, 0, v12, s[12:13]
	v_cmp_nlt_f32_e64 s[12:13], s24, v5
	v_cmp_ngt_f32_e64 s[0:1], s23, v30
	v_cndmask_b32_e32 v13, 0, v13, vcc
	v_cmp_nlt_f32_e32 vcc, s24, v9
	v_cndmask_b32_e64 v27, 0, v27, s[8:9]
	v_cmp_nlt_f32_e64 s[8:9], s24, v21
	v_cndmask_b32_e64 v21, 0, v6, s[10:11]
	v_cndmask_b32_e64 v6, v8, v12, s[12:13]
	v_ldexp_f32 v24, v26, v29
	v_cmp_ngt_f32_e64 s[2:3], s23, v31
	v_cmp_ngt_f32_e64 s[4:5], s23, v40
	v_ldexp_f32 v26, v41, v46
	v_cmp_ngt_f32_e64 s[6:7], s23, v20
	v_cndmask_b32_e64 v9, 0, v23, s[0:1]
	v_cmp_nlt_f32_e64 s[0:1], s24, v30
	v_cndmask_b32_e32 v12, v8, v13, vcc
	s_waitcnt vmcnt(7)
	v_pk_fma_f32 v[2:3], v[6:7], v[32:33], v[2:3] op_sel_hi:[0,1,1]
	v_cndmask_b32_e64 v23, 0, v24, s[2:3]
	v_cmp_nlt_f32_e64 s[2:3], s24, v31
	v_cndmask_b32_e64 v24, 0, v25, s[4:5]
	v_cndmask_b32_e64 v25, 0, v26, s[6:7]
	v_cmp_nlt_f32_e64 s[6:7], s24, v20
	v_cndmask_b32_e64 v20, v8, v9, s[0:1]
	s_waitcnt vmcnt(6)
	v_pk_fma_f32 v[2:3], v[12:13], v[34:35], v[2:3] op_sel_hi:[0,1,1]
	v_cmp_nlt_f32_e64 s[4:5], s24, v40
	v_cmp_nlt_f32_e64 s[10:11], s24, v22
	v_cndmask_b32_e64 v22, v8, v23, s[2:3]
	s_waitcnt vmcnt(5)
	v_pk_fma_f32 v[2:3], v[20:21], v[36:37], v[2:3] op_sel_hi:[0,1,1]
	v_cndmask_b32_e64 v24, v8, v24, s[4:5]
	s_waitcnt vmcnt(4)
	v_pk_fma_f32 v[2:3], v[22:23], v[38:39], v[2:3] op_sel_hi:[0,1,1]
	;; [unrolled: 3-line block ×4, first 2 shown]
	s_add_i32 s25, s25, 8
	s_add_i32 s21, s21, 64
	v_cndmask_b32_e64 v30, v8, v21, s[10:11]
	s_waitcnt vmcnt(1)
	v_pk_fma_f32 v[2:3], v[28:29], v[16:17], v[2:3] op_sel_hi:[0,1,1]
	s_cmp_eq_u32 s20, s25
	v_add_u32_e32 v4, 0x800, v4
	s_waitcnt vmcnt(0)
	v_pk_fma_f32 v[2:3], v[30:31], v[18:19], v[2:3] op_sel_hi:[0,1,1]
	s_cbranch_scc0 .LBB35_24
; %bb.25:
	s_and_b32 s0, s19, 7
	s_cmp_eq_u32 s0, 0
	s_cbranch_scc0 .LBB35_28
	s_branch .LBB35_30
.LBB35_26:
	s_waitcnt lgkmcnt(0)
	v_mov_b32_e32 v1, 0x7fc00000
	s_branch .LBB35_31
.LBB35_27:
	v_mov_b32_e32 v2, 0
	s_mov_b32 s20, 0
	v_mov_b32_e32 v3, v2
	s_and_b32 s0, s19, 7
	s_cmp_eq_u32 s0, 0
	s_cbranch_scc1 .LBB35_30
.LBB35_28:
	s_lshl_b32 s1, s20, 3
	v_lshl_or_b32 v4, s20, 8, v0
	s_add_i32 s1, s1, 0
	s_mov_b32 s2, 0x3fb8aa3b
	s_mov_b32 s3, 0xc2ce8ed0
	;; [unrolled: 1-line block ×3, first 2 shown]
	v_mov_b32_e32 v6, 0x7f800000
	v_mov_b32_e32 v5, 0
.LBB35_29:                              ; =>This Inner Loop Header: Depth=1
	v_lshl_add_u64 v[8:9], v[4:5], 2, s[16:17]
	global_load_dword v9, v[8:9], off
	v_mov_b32_e32 v7, s1
	ds_read_b64 v[10:11], v7
	s_add_i32 s1, s1, 8
	s_add_i32 s0, s0, -1
	v_add_u32_e32 v4, 0x100, v4
	s_cmp_lg_u32 s0, 0
	s_waitcnt lgkmcnt(0)
	v_sub_f32_e32 v7, v10, v1
	v_mul_f32_e32 v8, 0x3fb8aa3b, v7
	v_fma_f32 v10, v7, s2, -v8
	v_rndne_f32_e32 v12, v8
	v_fmac_f32_e32 v10, 0x32a5705f, v7
	v_sub_f32_e32 v8, v8, v12
	v_add_f32_e32 v8, v8, v10
	v_cvt_i32_f32_e32 v12, v12
	v_exp_f32_e32 v10, v8
	v_cmp_ngt_f32_e32 vcc, s3, v7
	v_mov_b32_e32 v8, v11
	v_ldexp_f32 v10, v10, v12
	v_cndmask_b32_e32 v10, 0, v10, vcc
	v_cmp_nlt_f32_e32 vcc, s4, v7
	s_nop 1
	v_cndmask_b32_e32 v10, v6, v10, vcc
	s_waitcnt vmcnt(0)
	v_pk_fma_f32 v[2:3], v[10:11], v[8:9], v[2:3] op_sel_hi:[0,1,1]
	s_cbranch_scc1 .LBB35_29
.LBB35_30:
	s_waitcnt lgkmcnt(0)
	v_div_scale_f32 v1, s[0:1], v2, v2, v3
	v_rcp_f32_e32 v4, v1
	v_div_scale_f32 v5, vcc, v3, v2, v3
	v_fma_f32 v6, -v1, v4, 1.0
	v_fmac_f32_e32 v4, v6, v4
	v_mul_f32_e32 v6, v5, v4
	v_fma_f32 v7, -v1, v6, v5
	v_fmac_f32_e32 v6, v7, v4
	v_fma_f32 v1, -v1, v6, v5
	v_div_fmas_f32 v1, v1, v4, v6
	v_div_fixup_f32 v1, v1, v2, v3
.LBB35_31:
	s_lshl_b32 s0, s18, 8
	s_ashr_i32 s1, s0, 31
	s_lshl_b64 s[0:1], s[0:1], 2
	s_add_u32 s0, s14, s0
	s_addc_u32 s1, s15, s1
	v_lshlrev_b32_e32 v0, 2, v0
	global_store_dword v0, v1, s[0:1]
	s_endpgm
	.section	.rodata,"a",@progbits
	.p2align	6, 0x0
	.amdhsa_kernel _ZL26flash_attn_combine_resultsILi256EEvPKfPK15HIP_vector_typeIfLj2EEPfi
		.amdhsa_group_segment_fixed_size 0
		.amdhsa_private_segment_fixed_size 0
		.amdhsa_kernarg_size 288
		.amdhsa_user_sgpr_count 2
		.amdhsa_user_sgpr_dispatch_ptr 0
		.amdhsa_user_sgpr_queue_ptr 0
		.amdhsa_user_sgpr_kernarg_segment_ptr 1
		.amdhsa_user_sgpr_dispatch_id 0
		.amdhsa_user_sgpr_kernarg_preload_length 0
		.amdhsa_user_sgpr_kernarg_preload_offset 0
		.amdhsa_user_sgpr_private_segment_size 0
		.amdhsa_uses_dynamic_stack 0
		.amdhsa_enable_private_segment 0
		.amdhsa_system_sgpr_workgroup_id_x 1
		.amdhsa_system_sgpr_workgroup_id_y 1
		.amdhsa_system_sgpr_workgroup_id_z 1
		.amdhsa_system_sgpr_workgroup_info 0
		.amdhsa_system_vgpr_workitem_id 0
		.amdhsa_next_free_vgpr 59
		.amdhsa_next_free_sgpr 26
		.amdhsa_accum_offset 60
		.amdhsa_reserve_vcc 1
		.amdhsa_float_round_mode_32 0
		.amdhsa_float_round_mode_16_64 0
		.amdhsa_float_denorm_mode_32 3
		.amdhsa_float_denorm_mode_16_64 3
		.amdhsa_dx10_clamp 1
		.amdhsa_ieee_mode 1
		.amdhsa_fp16_overflow 0
		.amdhsa_tg_split 0
		.amdhsa_exception_fp_ieee_invalid_op 0
		.amdhsa_exception_fp_denorm_src 0
		.amdhsa_exception_fp_ieee_div_zero 0
		.amdhsa_exception_fp_ieee_overflow 0
		.amdhsa_exception_fp_ieee_underflow 0
		.amdhsa_exception_fp_ieee_inexact 0
		.amdhsa_exception_int_div_zero 0
	.end_amdhsa_kernel
	.section	.text._ZL26flash_attn_combine_resultsILi256EEvPKfPK15HIP_vector_typeIfLj2EEPfi,"axG",@progbits,_ZL26flash_attn_combine_resultsILi256EEvPKfPK15HIP_vector_typeIfLj2EEPfi,comdat
.Lfunc_end35:
	.size	_ZL26flash_attn_combine_resultsILi256EEvPKfPK15HIP_vector_typeIfLj2EEPfi, .Lfunc_end35-_ZL26flash_attn_combine_resultsILi256EEvPKfPK15HIP_vector_typeIfLj2EEPfi
                                        ; -- End function
	.set _ZL26flash_attn_combine_resultsILi256EEvPKfPK15HIP_vector_typeIfLj2EEPfi.num_vgpr, 59
	.set _ZL26flash_attn_combine_resultsILi256EEvPKfPK15HIP_vector_typeIfLj2EEPfi.num_agpr, 0
	.set _ZL26flash_attn_combine_resultsILi256EEvPKfPK15HIP_vector_typeIfLj2EEPfi.numbered_sgpr, 26
	.set _ZL26flash_attn_combine_resultsILi256EEvPKfPK15HIP_vector_typeIfLj2EEPfi.num_named_barrier, 0
	.set _ZL26flash_attn_combine_resultsILi256EEvPKfPK15HIP_vector_typeIfLj2EEPfi.private_seg_size, 0
	.set _ZL26flash_attn_combine_resultsILi256EEvPKfPK15HIP_vector_typeIfLj2EEPfi.uses_vcc, 1
	.set _ZL26flash_attn_combine_resultsILi256EEvPKfPK15HIP_vector_typeIfLj2EEPfi.uses_flat_scratch, 0
	.set _ZL26flash_attn_combine_resultsILi256EEvPKfPK15HIP_vector_typeIfLj2EEPfi.has_dyn_sized_stack, 0
	.set _ZL26flash_attn_combine_resultsILi256EEvPKfPK15HIP_vector_typeIfLj2EEPfi.has_recursion, 0
	.set _ZL26flash_attn_combine_resultsILi256EEvPKfPK15HIP_vector_typeIfLj2EEPfi.has_indirect_call, 0
	.section	.AMDGPU.csdata,"",@progbits
; Kernel info:
; codeLenInByte = 2924
; TotalNumSgprs: 32
; NumVgprs: 59
; NumAgprs: 0
; TotalNumVgprs: 59
; ScratchSize: 0
; MemoryBound: 0
; FloatMode: 240
; IeeeMode: 1
; LDSByteSize: 0 bytes/workgroup (compile time only)
; SGPRBlocks: 3
; VGPRBlocks: 7
; NumSGPRsForWavesPerEU: 32
; NumVGPRsForWavesPerEU: 59
; AccumOffset: 60
; Occupancy: 8
; WaveLimiterHint : 0
; COMPUTE_PGM_RSRC2:SCRATCH_EN: 0
; COMPUTE_PGM_RSRC2:USER_SGPR: 2
; COMPUTE_PGM_RSRC2:TRAP_HANDLER: 0
; COMPUTE_PGM_RSRC2:TGID_X_EN: 1
; COMPUTE_PGM_RSRC2:TGID_Y_EN: 1
; COMPUTE_PGM_RSRC2:TGID_Z_EN: 1
; COMPUTE_PGM_RSRC2:TIDIG_COMP_CNT: 0
; COMPUTE_PGM_RSRC3_GFX90A:ACCUM_OFFSET: 14
; COMPUTE_PGM_RSRC3_GFX90A:TG_SPLIT: 0
	.section	.text._ZL18flash_attn_ext_f16ILi512ELi512ELi4ELi8ELb0ELb0EEvPKcS1_S1_S1_S1_PKiPfP15HIP_vector_typeIfLj2EEffffjfiS5_IjLj3EEiiiiiiiiiiiliiliiiiil,"axG",@progbits,_ZL18flash_attn_ext_f16ILi512ELi512ELi4ELi8ELb0ELb0EEvPKcS1_S1_S1_S1_PKiPfP15HIP_vector_typeIfLj2EEffffjfiS5_IjLj3EEiiiiiiiiiiiliiliiiiil,comdat
	.globl	_ZL18flash_attn_ext_f16ILi512ELi512ELi4ELi8ELb0ELb0EEvPKcS1_S1_S1_S1_PKiPfP15HIP_vector_typeIfLj2EEffffjfiS5_IjLj3EEiiiiiiiiiiiliiliiiiil ; -- Begin function _ZL18flash_attn_ext_f16ILi512ELi512ELi4ELi8ELb0ELb0EEvPKcS1_S1_S1_S1_PKiPfP15HIP_vector_typeIfLj2EEffffjfiS5_IjLj3EEiiiiiiiiiiiliiliiiiil
	.p2align	8
	.type	_ZL18flash_attn_ext_f16ILi512ELi512ELi4ELi8ELb0ELb0EEvPKcS1_S1_S1_S1_PKiPfP15HIP_vector_typeIfLj2EEffffjfiS5_IjLj3EEiiiiiiiiiiiliiliiiiil,@function
_ZL18flash_attn_ext_f16ILi512ELi512ELi4ELi8ELb0ELb0EEvPKcS1_S1_S1_S1_PKiPfP15HIP_vector_typeIfLj2EEffffjfiS5_IjLj3EEiiiiiiiiiiiliiliiiiil: ; @_ZL18flash_attn_ext_f16ILi512ELi512ELi4ELi8ELb0ELb0EEvPKcS1_S1_S1_S1_PKiPfP15HIP_vector_typeIfLj2EEffffjfiS5_IjLj3EEiiiiiiiiiiiliiliiiiil
; %bb.0:
	s_add_u32 s8, s0, 0xd0
	s_addc_u32 s9, s1, 0
	s_getpc_b64 s[0:1]
	s_add_u32 s0, s0, _ZL14no_device_codePKciS0_iS0_@rel32@lo+4
	s_addc_u32 s1, s1, _ZL14no_device_codePKciS0_iS0_@rel32@hi+12
	v_mov_b32_e32 v0, 0x6ea
	s_mov_b32 s32, 0
	s_swappc_b64 s[30:31], s[0:1]
	.section	.rodata,"a",@progbits
	.p2align	6, 0x0
	.amdhsa_kernel _ZL18flash_attn_ext_f16ILi512ELi512ELi4ELi8ELb0ELb0EEvPKcS1_S1_S1_S1_PKiPfP15HIP_vector_typeIfLj2EEffffjfiS5_IjLj3EEiiiiiiiiiiiliiliiiiil
		.amdhsa_group_segment_fixed_size 0
		.amdhsa_private_segment_fixed_size 16
		.amdhsa_kernarg_size 464
		.amdhsa_user_sgpr_count 2
		.amdhsa_user_sgpr_dispatch_ptr 0
		.amdhsa_user_sgpr_queue_ptr 0
		.amdhsa_user_sgpr_kernarg_segment_ptr 1
		.amdhsa_user_sgpr_dispatch_id 0
		.amdhsa_user_sgpr_kernarg_preload_length 0
		.amdhsa_user_sgpr_kernarg_preload_offset 0
		.amdhsa_user_sgpr_private_segment_size 0
		.amdhsa_uses_dynamic_stack 0
		.amdhsa_enable_private_segment 1
		.amdhsa_system_sgpr_workgroup_id_x 1
		.amdhsa_system_sgpr_workgroup_id_y 0
		.amdhsa_system_sgpr_workgroup_id_z 0
		.amdhsa_system_sgpr_workgroup_info 0
		.amdhsa_system_vgpr_workitem_id 0
		.amdhsa_next_free_vgpr 52
		.amdhsa_next_free_sgpr 34
		.amdhsa_accum_offset 52
		.amdhsa_reserve_vcc 1
		.amdhsa_float_round_mode_32 0
		.amdhsa_float_round_mode_16_64 0
		.amdhsa_float_denorm_mode_32 3
		.amdhsa_float_denorm_mode_16_64 3
		.amdhsa_dx10_clamp 1
		.amdhsa_ieee_mode 1
		.amdhsa_fp16_overflow 0
		.amdhsa_tg_split 0
		.amdhsa_exception_fp_ieee_invalid_op 0
		.amdhsa_exception_fp_denorm_src 0
		.amdhsa_exception_fp_ieee_div_zero 0
		.amdhsa_exception_fp_ieee_overflow 0
		.amdhsa_exception_fp_ieee_underflow 0
		.amdhsa_exception_fp_ieee_inexact 0
		.amdhsa_exception_int_div_zero 0
	.end_amdhsa_kernel
	.section	.text._ZL18flash_attn_ext_f16ILi512ELi512ELi4ELi8ELb0ELb0EEvPKcS1_S1_S1_S1_PKiPfP15HIP_vector_typeIfLj2EEffffjfiS5_IjLj3EEiiiiiiiiiiiliiliiiiil,"axG",@progbits,_ZL18flash_attn_ext_f16ILi512ELi512ELi4ELi8ELb0ELb0EEvPKcS1_S1_S1_S1_PKiPfP15HIP_vector_typeIfLj2EEffffjfiS5_IjLj3EEiiiiiiiiiiiliiliiiiil,comdat
.Lfunc_end36:
	.size	_ZL18flash_attn_ext_f16ILi512ELi512ELi4ELi8ELb0ELb0EEvPKcS1_S1_S1_S1_PKiPfP15HIP_vector_typeIfLj2EEffffjfiS5_IjLj3EEiiiiiiiiiiiliiliiiiil, .Lfunc_end36-_ZL18flash_attn_ext_f16ILi512ELi512ELi4ELi8ELb0ELb0EEvPKcS1_S1_S1_S1_PKiPfP15HIP_vector_typeIfLj2EEffffjfiS5_IjLj3EEiiiiiiiiiiiliiliiiiil
                                        ; -- End function
	.set _ZL18flash_attn_ext_f16ILi512ELi512ELi4ELi8ELb0ELb0EEvPKcS1_S1_S1_S1_PKiPfP15HIP_vector_typeIfLj2EEffffjfiS5_IjLj3EEiiiiiiiiiiiliiliiiiil.num_vgpr, max(1, .L_ZL14no_device_codePKciS0_iS0_.num_vgpr)
	.set _ZL18flash_attn_ext_f16ILi512ELi512ELi4ELi8ELb0ELb0EEvPKcS1_S1_S1_S1_PKiPfP15HIP_vector_typeIfLj2EEffffjfiS5_IjLj3EEiiiiiiiiiiiliiliiiiil.num_agpr, max(0, .L_ZL14no_device_codePKciS0_iS0_.num_agpr)
	.set _ZL18flash_attn_ext_f16ILi512ELi512ELi4ELi8ELb0ELb0EEvPKcS1_S1_S1_S1_PKiPfP15HIP_vector_typeIfLj2EEffffjfiS5_IjLj3EEiiiiiiiiiiiliiliiiiil.numbered_sgpr, max(33, .L_ZL14no_device_codePKciS0_iS0_.numbered_sgpr)
	.set _ZL18flash_attn_ext_f16ILi512ELi512ELi4ELi8ELb0ELb0EEvPKcS1_S1_S1_S1_PKiPfP15HIP_vector_typeIfLj2EEffffjfiS5_IjLj3EEiiiiiiiiiiiliiliiiiil.num_named_barrier, max(0, .L_ZL14no_device_codePKciS0_iS0_.num_named_barrier)
	.set _ZL18flash_attn_ext_f16ILi512ELi512ELi4ELi8ELb0ELb0EEvPKcS1_S1_S1_S1_PKiPfP15HIP_vector_typeIfLj2EEffffjfiS5_IjLj3EEiiiiiiiiiiiliiliiiiil.private_seg_size, 0+max(.L_ZL14no_device_codePKciS0_iS0_.private_seg_size)
	.set _ZL18flash_attn_ext_f16ILi512ELi512ELi4ELi8ELb0ELb0EEvPKcS1_S1_S1_S1_PKiPfP15HIP_vector_typeIfLj2EEffffjfiS5_IjLj3EEiiiiiiiiiiiliiliiiiil.uses_vcc, or(1, .L_ZL14no_device_codePKciS0_iS0_.uses_vcc)
	.set _ZL18flash_attn_ext_f16ILi512ELi512ELi4ELi8ELb0ELb0EEvPKcS1_S1_S1_S1_PKiPfP15HIP_vector_typeIfLj2EEffffjfiS5_IjLj3EEiiiiiiiiiiiliiliiiiil.uses_flat_scratch, or(0, .L_ZL14no_device_codePKciS0_iS0_.uses_flat_scratch)
	.set _ZL18flash_attn_ext_f16ILi512ELi512ELi4ELi8ELb0ELb0EEvPKcS1_S1_S1_S1_PKiPfP15HIP_vector_typeIfLj2EEffffjfiS5_IjLj3EEiiiiiiiiiiiliiliiiiil.has_dyn_sized_stack, or(0, .L_ZL14no_device_codePKciS0_iS0_.has_dyn_sized_stack)
	.set _ZL18flash_attn_ext_f16ILi512ELi512ELi4ELi8ELb0ELb0EEvPKcS1_S1_S1_S1_PKiPfP15HIP_vector_typeIfLj2EEffffjfiS5_IjLj3EEiiiiiiiiiiiliiliiiiil.has_recursion, or(0, .L_ZL14no_device_codePKciS0_iS0_.has_recursion)
	.set _ZL18flash_attn_ext_f16ILi512ELi512ELi4ELi8ELb0ELb0EEvPKcS1_S1_S1_S1_PKiPfP15HIP_vector_typeIfLj2EEffffjfiS5_IjLj3EEiiiiiiiiiiiliiliiiiil.has_indirect_call, or(0, .L_ZL14no_device_codePKciS0_iS0_.has_indirect_call)
	.section	.AMDGPU.csdata,"",@progbits
; Kernel info:
; codeLenInByte = 48
; TotalNumSgprs: 40
; NumVgprs: 52
; NumAgprs: 0
; TotalNumVgprs: 52
; ScratchSize: 16
; MemoryBound: 0
; FloatMode: 240
; IeeeMode: 1
; LDSByteSize: 0 bytes/workgroup (compile time only)
; SGPRBlocks: 4
; VGPRBlocks: 6
; NumSGPRsForWavesPerEU: 40
; NumVGPRsForWavesPerEU: 52
; AccumOffset: 52
; Occupancy: 8
; WaveLimiterHint : 1
; COMPUTE_PGM_RSRC2:SCRATCH_EN: 1
; COMPUTE_PGM_RSRC2:USER_SGPR: 2
; COMPUTE_PGM_RSRC2:TRAP_HANDLER: 0
; COMPUTE_PGM_RSRC2:TGID_X_EN: 1
; COMPUTE_PGM_RSRC2:TGID_Y_EN: 0
; COMPUTE_PGM_RSRC2:TGID_Z_EN: 0
; COMPUTE_PGM_RSRC2:TIDIG_COMP_CNT: 0
; COMPUTE_PGM_RSRC3_GFX90A:ACCUM_OFFSET: 12
; COMPUTE_PGM_RSRC3_GFX90A:TG_SPLIT: 0
	.section	.text._ZL18flash_attn_ext_f16ILi512ELi512ELi4ELi8ELb1ELb0EEvPKcS1_S1_S1_S1_PKiPfP15HIP_vector_typeIfLj2EEffffjfiS5_IjLj3EEiiiiiiiiiiiliiliiiiil,"axG",@progbits,_ZL18flash_attn_ext_f16ILi512ELi512ELi4ELi8ELb1ELb0EEvPKcS1_S1_S1_S1_PKiPfP15HIP_vector_typeIfLj2EEffffjfiS5_IjLj3EEiiiiiiiiiiiliiliiiiil,comdat
	.globl	_ZL18flash_attn_ext_f16ILi512ELi512ELi4ELi8ELb1ELb0EEvPKcS1_S1_S1_S1_PKiPfP15HIP_vector_typeIfLj2EEffffjfiS5_IjLj3EEiiiiiiiiiiiliiliiiiil ; -- Begin function _ZL18flash_attn_ext_f16ILi512ELi512ELi4ELi8ELb1ELb0EEvPKcS1_S1_S1_S1_PKiPfP15HIP_vector_typeIfLj2EEffffjfiS5_IjLj3EEiiiiiiiiiiiliiliiiiil
	.p2align	8
	.type	_ZL18flash_attn_ext_f16ILi512ELi512ELi4ELi8ELb1ELb0EEvPKcS1_S1_S1_S1_PKiPfP15HIP_vector_typeIfLj2EEffffjfiS5_IjLj3EEiiiiiiiiiiiliiliiiiil,@function
_ZL18flash_attn_ext_f16ILi512ELi512ELi4ELi8ELb1ELb0EEvPKcS1_S1_S1_S1_PKiPfP15HIP_vector_typeIfLj2EEffffjfiS5_IjLj3EEiiiiiiiiiiiliiliiiiil: ; @_ZL18flash_attn_ext_f16ILi512ELi512ELi4ELi8ELb1ELb0EEvPKcS1_S1_S1_S1_PKiPfP15HIP_vector_typeIfLj2EEffffjfiS5_IjLj3EEiiiiiiiiiiiliiliiiiil
; %bb.0:
	s_add_u32 s8, s0, 0xd0
	s_addc_u32 s9, s1, 0
	s_getpc_b64 s[0:1]
	s_add_u32 s0, s0, _ZL14no_device_codePKciS0_iS0_@rel32@lo+4
	s_addc_u32 s1, s1, _ZL14no_device_codePKciS0_iS0_@rel32@hi+12
	v_mov_b32_e32 v0, 0x6ea
	s_mov_b32 s32, 0
	s_swappc_b64 s[30:31], s[0:1]
	.section	.rodata,"a",@progbits
	.p2align	6, 0x0
	.amdhsa_kernel _ZL18flash_attn_ext_f16ILi512ELi512ELi4ELi8ELb1ELb0EEvPKcS1_S1_S1_S1_PKiPfP15HIP_vector_typeIfLj2EEffffjfiS5_IjLj3EEiiiiiiiiiiiliiliiiiil
		.amdhsa_group_segment_fixed_size 0
		.amdhsa_private_segment_fixed_size 16
		.amdhsa_kernarg_size 464
		.amdhsa_user_sgpr_count 2
		.amdhsa_user_sgpr_dispatch_ptr 0
		.amdhsa_user_sgpr_queue_ptr 0
		.amdhsa_user_sgpr_kernarg_segment_ptr 1
		.amdhsa_user_sgpr_dispatch_id 0
		.amdhsa_user_sgpr_kernarg_preload_length 0
		.amdhsa_user_sgpr_kernarg_preload_offset 0
		.amdhsa_user_sgpr_private_segment_size 0
		.amdhsa_uses_dynamic_stack 0
		.amdhsa_enable_private_segment 1
		.amdhsa_system_sgpr_workgroup_id_x 1
		.amdhsa_system_sgpr_workgroup_id_y 0
		.amdhsa_system_sgpr_workgroup_id_z 0
		.amdhsa_system_sgpr_workgroup_info 0
		.amdhsa_system_vgpr_workitem_id 0
		.amdhsa_next_free_vgpr 52
		.amdhsa_next_free_sgpr 34
		.amdhsa_accum_offset 52
		.amdhsa_reserve_vcc 1
		.amdhsa_float_round_mode_32 0
		.amdhsa_float_round_mode_16_64 0
		.amdhsa_float_denorm_mode_32 3
		.amdhsa_float_denorm_mode_16_64 3
		.amdhsa_dx10_clamp 1
		.amdhsa_ieee_mode 1
		.amdhsa_fp16_overflow 0
		.amdhsa_tg_split 0
		.amdhsa_exception_fp_ieee_invalid_op 0
		.amdhsa_exception_fp_denorm_src 0
		.amdhsa_exception_fp_ieee_div_zero 0
		.amdhsa_exception_fp_ieee_overflow 0
		.amdhsa_exception_fp_ieee_underflow 0
		.amdhsa_exception_fp_ieee_inexact 0
		.amdhsa_exception_int_div_zero 0
	.end_amdhsa_kernel
	.section	.text._ZL18flash_attn_ext_f16ILi512ELi512ELi4ELi8ELb1ELb0EEvPKcS1_S1_S1_S1_PKiPfP15HIP_vector_typeIfLj2EEffffjfiS5_IjLj3EEiiiiiiiiiiiliiliiiiil,"axG",@progbits,_ZL18flash_attn_ext_f16ILi512ELi512ELi4ELi8ELb1ELb0EEvPKcS1_S1_S1_S1_PKiPfP15HIP_vector_typeIfLj2EEffffjfiS5_IjLj3EEiiiiiiiiiiiliiliiiiil,comdat
.Lfunc_end37:
	.size	_ZL18flash_attn_ext_f16ILi512ELi512ELi4ELi8ELb1ELb0EEvPKcS1_S1_S1_S1_PKiPfP15HIP_vector_typeIfLj2EEffffjfiS5_IjLj3EEiiiiiiiiiiiliiliiiiil, .Lfunc_end37-_ZL18flash_attn_ext_f16ILi512ELi512ELi4ELi8ELb1ELb0EEvPKcS1_S1_S1_S1_PKiPfP15HIP_vector_typeIfLj2EEffffjfiS5_IjLj3EEiiiiiiiiiiiliiliiiiil
                                        ; -- End function
	.set _ZL18flash_attn_ext_f16ILi512ELi512ELi4ELi8ELb1ELb0EEvPKcS1_S1_S1_S1_PKiPfP15HIP_vector_typeIfLj2EEffffjfiS5_IjLj3EEiiiiiiiiiiiliiliiiiil.num_vgpr, max(1, .L_ZL14no_device_codePKciS0_iS0_.num_vgpr)
	.set _ZL18flash_attn_ext_f16ILi512ELi512ELi4ELi8ELb1ELb0EEvPKcS1_S1_S1_S1_PKiPfP15HIP_vector_typeIfLj2EEffffjfiS5_IjLj3EEiiiiiiiiiiiliiliiiiil.num_agpr, max(0, .L_ZL14no_device_codePKciS0_iS0_.num_agpr)
	.set _ZL18flash_attn_ext_f16ILi512ELi512ELi4ELi8ELb1ELb0EEvPKcS1_S1_S1_S1_PKiPfP15HIP_vector_typeIfLj2EEffffjfiS5_IjLj3EEiiiiiiiiiiiliiliiiiil.numbered_sgpr, max(33, .L_ZL14no_device_codePKciS0_iS0_.numbered_sgpr)
	.set _ZL18flash_attn_ext_f16ILi512ELi512ELi4ELi8ELb1ELb0EEvPKcS1_S1_S1_S1_PKiPfP15HIP_vector_typeIfLj2EEffffjfiS5_IjLj3EEiiiiiiiiiiiliiliiiiil.num_named_barrier, max(0, .L_ZL14no_device_codePKciS0_iS0_.num_named_barrier)
	.set _ZL18flash_attn_ext_f16ILi512ELi512ELi4ELi8ELb1ELb0EEvPKcS1_S1_S1_S1_PKiPfP15HIP_vector_typeIfLj2EEffffjfiS5_IjLj3EEiiiiiiiiiiiliiliiiiil.private_seg_size, 0+max(.L_ZL14no_device_codePKciS0_iS0_.private_seg_size)
	.set _ZL18flash_attn_ext_f16ILi512ELi512ELi4ELi8ELb1ELb0EEvPKcS1_S1_S1_S1_PKiPfP15HIP_vector_typeIfLj2EEffffjfiS5_IjLj3EEiiiiiiiiiiiliiliiiiil.uses_vcc, or(1, .L_ZL14no_device_codePKciS0_iS0_.uses_vcc)
	.set _ZL18flash_attn_ext_f16ILi512ELi512ELi4ELi8ELb1ELb0EEvPKcS1_S1_S1_S1_PKiPfP15HIP_vector_typeIfLj2EEffffjfiS5_IjLj3EEiiiiiiiiiiiliiliiiiil.uses_flat_scratch, or(0, .L_ZL14no_device_codePKciS0_iS0_.uses_flat_scratch)
	.set _ZL18flash_attn_ext_f16ILi512ELi512ELi4ELi8ELb1ELb0EEvPKcS1_S1_S1_S1_PKiPfP15HIP_vector_typeIfLj2EEffffjfiS5_IjLj3EEiiiiiiiiiiiliiliiiiil.has_dyn_sized_stack, or(0, .L_ZL14no_device_codePKciS0_iS0_.has_dyn_sized_stack)
	.set _ZL18flash_attn_ext_f16ILi512ELi512ELi4ELi8ELb1ELb0EEvPKcS1_S1_S1_S1_PKiPfP15HIP_vector_typeIfLj2EEffffjfiS5_IjLj3EEiiiiiiiiiiiliiliiiiil.has_recursion, or(0, .L_ZL14no_device_codePKciS0_iS0_.has_recursion)
	.set _ZL18flash_attn_ext_f16ILi512ELi512ELi4ELi8ELb1ELb0EEvPKcS1_S1_S1_S1_PKiPfP15HIP_vector_typeIfLj2EEffffjfiS5_IjLj3EEiiiiiiiiiiiliiliiiiil.has_indirect_call, or(0, .L_ZL14no_device_codePKciS0_iS0_.has_indirect_call)
	.section	.AMDGPU.csdata,"",@progbits
; Kernel info:
; codeLenInByte = 48
; TotalNumSgprs: 40
; NumVgprs: 52
; NumAgprs: 0
; TotalNumVgprs: 52
; ScratchSize: 16
; MemoryBound: 0
; FloatMode: 240
; IeeeMode: 1
; LDSByteSize: 0 bytes/workgroup (compile time only)
; SGPRBlocks: 4
; VGPRBlocks: 6
; NumSGPRsForWavesPerEU: 40
; NumVGPRsForWavesPerEU: 52
; AccumOffset: 52
; Occupancy: 8
; WaveLimiterHint : 1
; COMPUTE_PGM_RSRC2:SCRATCH_EN: 1
; COMPUTE_PGM_RSRC2:USER_SGPR: 2
; COMPUTE_PGM_RSRC2:TRAP_HANDLER: 0
; COMPUTE_PGM_RSRC2:TGID_X_EN: 1
; COMPUTE_PGM_RSRC2:TGID_Y_EN: 0
; COMPUTE_PGM_RSRC2:TGID_Z_EN: 0
; COMPUTE_PGM_RSRC2:TIDIG_COMP_CNT: 0
; COMPUTE_PGM_RSRC3_GFX90A:ACCUM_OFFSET: 12
; COMPUTE_PGM_RSRC3_GFX90A:TG_SPLIT: 0
	.section	.text._ZL33flash_attn_stream_k_fixup_uniformILi512ELi4ELi8EEvPfPK15HIP_vector_typeIfLj2EEiiiiiiS1_IjLj3EES5_S5_,"axG",@progbits,_ZL33flash_attn_stream_k_fixup_uniformILi512ELi4ELi8EEvPfPK15HIP_vector_typeIfLj2EEiiiiiiS1_IjLj3EES5_S5_,comdat
	.globl	_ZL33flash_attn_stream_k_fixup_uniformILi512ELi4ELi8EEvPfPK15HIP_vector_typeIfLj2EEiiiiiiS1_IjLj3EES5_S5_ ; -- Begin function _ZL33flash_attn_stream_k_fixup_uniformILi512ELi4ELi8EEvPfPK15HIP_vector_typeIfLj2EEiiiiiiS1_IjLj3EES5_S5_
	.p2align	8
	.type	_ZL33flash_attn_stream_k_fixup_uniformILi512ELi4ELi8EEvPfPK15HIP_vector_typeIfLj2EEiiiiiiS1_IjLj3EES5_S5_,@function
_ZL33flash_attn_stream_k_fixup_uniformILi512ELi4ELi8EEvPfPK15HIP_vector_typeIfLj2EEiiiiiiS1_IjLj3EES5_S5_: ; @_ZL33flash_attn_stream_k_fixup_uniformILi512ELi4ELi8EEvPfPK15HIP_vector_typeIfLj2EEiiiiiiS1_IjLj3EES5_S5_
; %bb.0:
	s_load_dwordx8 s[8:15], s[0:1], 0x1c
	s_load_dwordx2 s[6:7], s[0:1], 0x10
	s_load_dwordx4 s[20:23], s[0:1], 0x3c
	s_waitcnt lgkmcnt(0)
	s_mul_hi_u32 s5, s11, s2
	s_add_i32 s5, s2, s5
	s_lshr_b32 s5, s5, s12
	s_mul_i32 s11, s5, s13
	s_sub_i32 s11, s2, s11
	s_mul_hi_u32 s12, s11, s14
	s_add_i32 s12, s11, s12
	s_lshr_b32 s16, s12, s15
	s_mul_i32 s12, s16, s20
	s_sub_i32 s11, s11, s12
	;; [unrolled: 5-line block ×3, first 2 shown]
	s_lshl_b32 s11, s12, 3
	s_lshl_b32 s12, s17, 2
	s_add_i32 s12, s12, s3
	s_cmp_lt_i32 s12, s6
	s_cselect_b64 s[12:13], -1, 0
	s_add_i32 s14, s11, s4
	s_cmp_lt_i32 s14, s9
	s_cselect_b64 s[14:15], -1, 0
	s_and_b64 s[12:13], s[12:13], s[14:15]
	s_andn2_b64 vcc, exec, s[12:13]
	s_cbranch_vccnz .LBB38_6
; %bb.1:
	s_load_dwordx4 s[12:15], s[0:1], 0x0
	s_mul_i32 s0, s5, s6
	s_add_i32 s0, s0, s3
	s_mul_i32 s0, s0, s7
	s_mul_i32 s16, s16, s9
	s_add_i32 s0, s0, s4
	s_add_i32 s0, s0, s16
	s_mul_i32 s1, s7, s17
	s_add_i32 s0, s0, s11
	s_lshl_b32 s1, s1, 11
	s_lshl_b32 s0, s0, 9
	s_add_i32 s1, s1, s0
	v_or_b32_e32 v4, s1, v0
	s_waitcnt lgkmcnt(0)
	v_mov_b32_e32 v2, s12
	v_mov_b32_e32 v3, s13
	v_ashrrev_i32_e32 v5, 31, v4
	v_lshl_add_u64 v[2:3], v[4:5], 2, v[2:3]
	global_load_dword v5, v[2:3], off
	s_mul_i32 s5, s10, s2
	s_lshl_b32 s11, s3, 3
	s_add_i32 s9, s5, s10
	s_add_i32 s0, s11, s4
	s_lshl_b32 s1, s9, 5
	s_add_i32 s0, s0, s1
	s_sub_i32 s0, s0, 32
	s_ashr_i32 s1, s0, 31
	s_lshl_b64 s[0:1], s[0:1], 3
	s_add_u32 s0, s14, s0
	s_addc_u32 s1, s15, s1
	s_load_dword s12, s[0:1], 0x4
	s_add_i32 s6, s9, -2
	s_cmp_lt_i32 s6, s5
	s_cbranch_scc1 .LBB38_4
; %bb.2:
	s_lshl_b32 s6, s8, 7
	s_ashr_i32 s7, s6, 31
	s_lshl_b64 s[6:7], s[6:7], 2
	s_add_u32 s6, s14, s6
	s_addc_u32 s7, s15, s7
	s_add_i32 s2, s2, 1
	s_load_dword s0, s[0:1], 0x0
	s_mul_i32 s1, s10, s2
	s_lshl_b32 s3, s3, 12
	s_lshl_b32 s10, s4, 9
	;; [unrolled: 1-line block ×3, first 2 shown]
	s_add_i32 s3, s10, s3
	s_lshl_b32 s1, s1, 5
	s_add_i32 s3, s3, s2
	s_add_i32 s1, s4, s1
	s_lshl_b32 s2, s8, 5
	s_add_i32 s1, s1, s2
	v_or_b32_e32 v0, s3, v0
	s_add_i32 s1, s1, s11
	s_add_i32 s9, s9, -1
	v_add_u32_e32 v0, 0xffff8000, v0
	s_sub_i32 s2, s1, 64
	s_waitcnt lgkmcnt(0)
	v_mov_b32_e32 v7, s0
	v_mov_b32_e32 v4, s12
	s_mov_b32 s4, 0x3fb8aa3b
	s_mov_b32 s8, 0xc2ce8ed0
	s_mov_b32 s10, 0x42b17218
	v_mov_b32_e32 v6, 0x7f800000
	s_mov_b32 s11, 0xc1a00000
.LBB38_3:                               ; =>This Inner Loop Header: Depth=1
	v_ashrrev_i32_e32 v1, 31, v0
	v_lshl_add_u64 v[8:9], v[0:1], 2, s[6:7]
	global_load_dword v9, v[8:9], off
	s_ashr_i32 s3, s2, 31
	s_lshl_b64 s[0:1], s[2:3], 3
	s_add_u32 s0, s14, s0
	s_addc_u32 s1, s15, s1
	s_load_dwordx2 s[0:1], s[0:1], 0x0
	v_max_f32_e32 v1, v7, v7
	s_add_i32 s9, s9, -1
	s_sub_i32 s2, s2, 32
	v_add_u32_e32 v0, 0xffffc000, v0
	s_waitcnt lgkmcnt(0)
	v_max_f32_e64 v10, s0, s0
	v_max_f32_e32 v1, v1, v10
	v_sub_f32_e32 v11, s0, v1
	v_sub_f32_e32 v10, v7, v1
	v_mul_f32_e32 v12, 0x3fb8aa3b, v11
	v_mov_b32_e32 v7, v1
	v_mul_f32_e32 v1, 0x3fb8aa3b, v10
	v_fma_f32 v15, v11, s4, -v12
	v_rndne_f32_e32 v16, v12
	v_fma_f32 v13, v10, s4, -v1
	v_rndne_f32_e32 v14, v1
	v_fmac_f32_e32 v15, 0x32a5705f, v11
	v_sub_f32_e32 v12, v12, v16
	v_fmac_f32_e32 v13, 0x32a5705f, v10
	v_sub_f32_e32 v1, v1, v14
	v_add_f32_e32 v12, v12, v15
	v_cvt_i32_f32_e32 v16, v16
	v_add_f32_e32 v1, v1, v13
	v_exp_f32_e32 v12, v12
	v_cvt_i32_f32_e32 v14, v14
	v_exp_f32_e32 v1, v1
	v_cmp_ngt_f32_e32 vcc, s8, v11
	v_ldexp_f32 v12, v12, v16
	v_mov_b32_e32 v8, s1
	v_ldexp_f32 v1, v1, v14
	v_cmp_ngt_f32_e64 s[0:1], s8, v10
	v_cndmask_b32_e32 v12, 0, v12, vcc
	v_cmp_nlt_f32_e32 vcc, s10, v11
	v_cndmask_b32_e64 v1, 0, v1, s[0:1]
	v_cmp_nlt_f32_e64 s[0:1], s10, v10
	v_cndmask_b32_e32 v12, v6, v12, vcc
	v_cmp_le_f32_e32 vcc, s11, v11
	v_cndmask_b32_e64 v1, v6, v1, s[0:1]
	v_cmp_le_f32_e64 s[0:1], s11, v10
	v_cndmask_b32_e32 v12, 0, v12, vcc
	s_cmp_le_i32 s9, s5
	v_cndmask_b32_e64 v10, 0, v1, s[0:1]
	s_waitcnt vmcnt(0)
	v_pk_mul_f32 v[8:9], v[8:9], v[12:13] op_sel_hi:[1,0]
	s_nop 0
	v_pk_fma_f32 v[4:5], v[4:5], v[10:11], v[8:9] op_sel_hi:[1,0,1]
	s_cbranch_scc0 .LBB38_3
	s_branch .LBB38_5
.LBB38_4:
	s_waitcnt lgkmcnt(0)
	v_mov_b32_e32 v4, s12
.LBB38_5:
	s_waitcnt vmcnt(0)
	v_div_scale_f32 v0, s[0:1], v4, v4, v5
	v_rcp_f32_e32 v1, v0
	v_div_scale_f32 v6, vcc, v5, v4, v5
	v_fma_f32 v7, -v0, v1, 1.0
	v_fmac_f32_e32 v1, v7, v1
	v_mul_f32_e32 v7, v6, v1
	v_fma_f32 v8, -v0, v7, v6
	v_fmac_f32_e32 v7, v8, v1
	v_fma_f32 v0, -v0, v7, v6
	v_div_fmas_f32 v0, v0, v1, v7
	v_div_fixup_f32 v0, v0, v4, v5
	global_store_dword v[2:3], v0, off
.LBB38_6:
	s_endpgm
	.section	.rodata,"a",@progbits
	.p2align	6, 0x0
	.amdhsa_kernel _ZL33flash_attn_stream_k_fixup_uniformILi512ELi4ELi8EEvPfPK15HIP_vector_typeIfLj2EEiiiiiiS1_IjLj3EES5_S5_
		.amdhsa_group_segment_fixed_size 0
		.amdhsa_private_segment_fixed_size 0
		.amdhsa_kernarg_size 76
		.amdhsa_user_sgpr_count 2
		.amdhsa_user_sgpr_dispatch_ptr 0
		.amdhsa_user_sgpr_queue_ptr 0
		.amdhsa_user_sgpr_kernarg_segment_ptr 1
		.amdhsa_user_sgpr_dispatch_id 0
		.amdhsa_user_sgpr_kernarg_preload_length 0
		.amdhsa_user_sgpr_kernarg_preload_offset 0
		.amdhsa_user_sgpr_private_segment_size 0
		.amdhsa_uses_dynamic_stack 0
		.amdhsa_enable_private_segment 0
		.amdhsa_system_sgpr_workgroup_id_x 1
		.amdhsa_system_sgpr_workgroup_id_y 1
		.amdhsa_system_sgpr_workgroup_id_z 1
		.amdhsa_system_sgpr_workgroup_info 0
		.amdhsa_system_vgpr_workitem_id 0
		.amdhsa_next_free_vgpr 17
		.amdhsa_next_free_sgpr 24
		.amdhsa_accum_offset 20
		.amdhsa_reserve_vcc 1
		.amdhsa_float_round_mode_32 0
		.amdhsa_float_round_mode_16_64 0
		.amdhsa_float_denorm_mode_32 3
		.amdhsa_float_denorm_mode_16_64 3
		.amdhsa_dx10_clamp 1
		.amdhsa_ieee_mode 1
		.amdhsa_fp16_overflow 0
		.amdhsa_tg_split 0
		.amdhsa_exception_fp_ieee_invalid_op 0
		.amdhsa_exception_fp_denorm_src 0
		.amdhsa_exception_fp_ieee_div_zero 0
		.amdhsa_exception_fp_ieee_overflow 0
		.amdhsa_exception_fp_ieee_underflow 0
		.amdhsa_exception_fp_ieee_inexact 0
		.amdhsa_exception_int_div_zero 0
	.end_amdhsa_kernel
	.section	.text._ZL33flash_attn_stream_k_fixup_uniformILi512ELi4ELi8EEvPfPK15HIP_vector_typeIfLj2EEiiiiiiS1_IjLj3EES5_S5_,"axG",@progbits,_ZL33flash_attn_stream_k_fixup_uniformILi512ELi4ELi8EEvPfPK15HIP_vector_typeIfLj2EEiiiiiiS1_IjLj3EES5_S5_,comdat
.Lfunc_end38:
	.size	_ZL33flash_attn_stream_k_fixup_uniformILi512ELi4ELi8EEvPfPK15HIP_vector_typeIfLj2EEiiiiiiS1_IjLj3EES5_S5_, .Lfunc_end38-_ZL33flash_attn_stream_k_fixup_uniformILi512ELi4ELi8EEvPfPK15HIP_vector_typeIfLj2EEiiiiiiS1_IjLj3EES5_S5_
                                        ; -- End function
	.set _ZL33flash_attn_stream_k_fixup_uniformILi512ELi4ELi8EEvPfPK15HIP_vector_typeIfLj2EEiiiiiiS1_IjLj3EES5_S5_.num_vgpr, 17
	.set _ZL33flash_attn_stream_k_fixup_uniformILi512ELi4ELi8EEvPfPK15HIP_vector_typeIfLj2EEiiiiiiS1_IjLj3EES5_S5_.num_agpr, 0
	.set _ZL33flash_attn_stream_k_fixup_uniformILi512ELi4ELi8EEvPfPK15HIP_vector_typeIfLj2EEiiiiiiS1_IjLj3EES5_S5_.numbered_sgpr, 24
	.set _ZL33flash_attn_stream_k_fixup_uniformILi512ELi4ELi8EEvPfPK15HIP_vector_typeIfLj2EEiiiiiiS1_IjLj3EES5_S5_.num_named_barrier, 0
	.set _ZL33flash_attn_stream_k_fixup_uniformILi512ELi4ELi8EEvPfPK15HIP_vector_typeIfLj2EEiiiiiiS1_IjLj3EES5_S5_.private_seg_size, 0
	.set _ZL33flash_attn_stream_k_fixup_uniformILi512ELi4ELi8EEvPfPK15HIP_vector_typeIfLj2EEiiiiiiS1_IjLj3EES5_S5_.uses_vcc, 1
	.set _ZL33flash_attn_stream_k_fixup_uniformILi512ELi4ELi8EEvPfPK15HIP_vector_typeIfLj2EEiiiiiiS1_IjLj3EES5_S5_.uses_flat_scratch, 0
	.set _ZL33flash_attn_stream_k_fixup_uniformILi512ELi4ELi8EEvPfPK15HIP_vector_typeIfLj2EEiiiiiiS1_IjLj3EES5_S5_.has_dyn_sized_stack, 0
	.set _ZL33flash_attn_stream_k_fixup_uniformILi512ELi4ELi8EEvPfPK15HIP_vector_typeIfLj2EEiiiiiiS1_IjLj3EES5_S5_.has_recursion, 0
	.set _ZL33flash_attn_stream_k_fixup_uniformILi512ELi4ELi8EEvPfPK15HIP_vector_typeIfLj2EEiiiiiiS1_IjLj3EES5_S5_.has_indirect_call, 0
	.section	.AMDGPU.csdata,"",@progbits
; Kernel info:
; codeLenInByte = 836
; TotalNumSgprs: 30
; NumVgprs: 17
; NumAgprs: 0
; TotalNumVgprs: 17
; ScratchSize: 0
; MemoryBound: 0
; FloatMode: 240
; IeeeMode: 1
; LDSByteSize: 0 bytes/workgroup (compile time only)
; SGPRBlocks: 3
; VGPRBlocks: 2
; NumSGPRsForWavesPerEU: 30
; NumVGPRsForWavesPerEU: 17
; AccumOffset: 20
; Occupancy: 8
; WaveLimiterHint : 0
; COMPUTE_PGM_RSRC2:SCRATCH_EN: 0
; COMPUTE_PGM_RSRC2:USER_SGPR: 2
; COMPUTE_PGM_RSRC2:TRAP_HANDLER: 0
; COMPUTE_PGM_RSRC2:TGID_X_EN: 1
; COMPUTE_PGM_RSRC2:TGID_Y_EN: 1
; COMPUTE_PGM_RSRC2:TGID_Z_EN: 1
; COMPUTE_PGM_RSRC2:TIDIG_COMP_CNT: 0
; COMPUTE_PGM_RSRC3_GFX90A:ACCUM_OFFSET: 4
; COMPUTE_PGM_RSRC3_GFX90A:TG_SPLIT: 0
	.section	.text._ZL33flash_attn_stream_k_fixup_generalILi512ELi4ELi8EEvPfPK15HIP_vector_typeIfLj2EEiiiiS1_IjLj3EES5_S5_S5_,"axG",@progbits,_ZL33flash_attn_stream_k_fixup_generalILi512ELi4ELi8EEvPfPK15HIP_vector_typeIfLj2EEiiiiS1_IjLj3EES5_S5_S5_,comdat
	.globl	_ZL33flash_attn_stream_k_fixup_generalILi512ELi4ELi8EEvPfPK15HIP_vector_typeIfLj2EEiiiiS1_IjLj3EES5_S5_S5_ ; -- Begin function _ZL33flash_attn_stream_k_fixup_generalILi512ELi4ELi8EEvPfPK15HIP_vector_typeIfLj2EEiiiiS1_IjLj3EES5_S5_S5_
	.p2align	8
	.type	_ZL33flash_attn_stream_k_fixup_generalILi512ELi4ELi8EEvPfPK15HIP_vector_typeIfLj2EEiiiiS1_IjLj3EES5_S5_S5_,@function
_ZL33flash_attn_stream_k_fixup_generalILi512ELi4ELi8EEvPfPK15HIP_vector_typeIfLj2EEiiiiS1_IjLj3EES5_S5_S5_: ; @_ZL33flash_attn_stream_k_fixup_generalILi512ELi4ELi8EEvPfPK15HIP_vector_typeIfLj2EEiiiiS1_IjLj3EES5_S5_S5_
; %bb.0:
	s_load_dwordx4 s[8:11], s[0:1], 0x10
	s_load_dword s22, s[0:1], 0x50
	s_mov_b32 s12, 0
	s_waitcnt lgkmcnt(0)
	s_mul_hi_i32 s13, s11, s2
	s_cmp_lg_u64 s[12:13], 0
	s_mul_i32 s5, s11, s2
	s_cbranch_scc0 .LBB39_20
; %bb.1:
	s_add_u32 s6, s22, 0
	s_addc_u32 s7, 0, 0
	s_xor_b64 s[6:7], s[6:7], 0
	v_cvt_f32_u32_e32 v1, s6
	v_cvt_f32_u32_e32 v2, s7
	s_sub_u32 s12, 0, s6
	s_subb_u32 s18, 0, s7
	v_fmamk_f32 v1, v2, 0x4f800000, v1
	v_rcp_f32_e32 v1, v1
	s_nop 0
	v_mul_f32_e32 v1, 0x5f7ffffc, v1
	v_mul_f32_e32 v2, 0x2f800000, v1
	v_trunc_f32_e32 v2, v2
	v_fmamk_f32 v1, v2, 0xcf800000, v1
	v_cvt_u32_f32_e32 v2, v2
	v_cvt_u32_f32_e32 v1, v1
	v_readfirstlane_b32 s19, v2
	v_readfirstlane_b32 s14, v1
	s_mul_i32 s15, s12, s19
	s_mul_hi_u32 s21, s12, s14
	s_mul_i32 s20, s18, s14
	s_add_i32 s15, s21, s15
	s_add_i32 s15, s15, s20
	s_mul_i32 s23, s12, s14
	s_mul_i32 s21, s14, s15
	s_mul_hi_u32 s24, s14, s23
	s_mul_hi_u32 s20, s14, s15
	s_add_u32 s21, s24, s21
	s_addc_u32 s20, 0, s20
	s_mul_hi_u32 s25, s19, s23
	s_mul_i32 s23, s19, s23
	s_add_u32 s21, s21, s23
	s_mul_hi_u32 s24, s19, s15
	s_addc_u32 s20, s20, s25
	s_addc_u32 s21, s24, 0
	s_mul_i32 s15, s19, s15
	s_add_u32 s15, s20, s15
	s_addc_u32 s20, 0, s21
	s_add_u32 s21, s14, s15
	s_cselect_b64 s[14:15], -1, 0
	s_cmp_lg_u64 s[14:15], 0
	s_addc_u32 s19, s19, s20
	s_mul_i32 s14, s12, s19
	s_mul_hi_u32 s15, s12, s21
	s_add_i32 s14, s15, s14
	s_mul_i32 s18, s18, s21
	s_add_i32 s14, s14, s18
	s_mul_i32 s12, s12, s21
	s_mul_hi_u32 s18, s19, s12
	s_mul_i32 s20, s19, s12
	s_mul_i32 s24, s21, s14
	s_mul_hi_u32 s12, s21, s12
	s_mul_hi_u32 s23, s21, s14
	s_add_u32 s12, s12, s24
	s_addc_u32 s23, 0, s23
	s_add_u32 s12, s12, s20
	s_mul_hi_u32 s15, s19, s14
	s_addc_u32 s12, s23, s18
	s_addc_u32 s15, s15, 0
	s_mul_i32 s14, s19, s14
	s_add_u32 s12, s12, s14
	s_addc_u32 s18, 0, s15
	s_add_u32 s20, s21, s12
	s_cselect_b64 s[14:15], -1, 0
	s_cmp_lg_u64 s[14:15], 0
	s_addc_u32 s18, s19, s18
	s_ashr_i32 s14, s13, 31
	s_add_u32 s12, s5, s14
	s_mov_b32 s15, s14
	s_addc_u32 s13, s13, s14
	s_xor_b64 s[12:13], s[12:13], s[14:15]
	s_mul_i32 s21, s12, s18
	s_mul_hi_u32 s23, s12, s20
	s_mul_hi_u32 s19, s12, s18
	s_add_u32 s21, s23, s21
	s_addc_u32 s19, 0, s19
	s_mul_hi_u32 s24, s13, s20
	s_mul_i32 s20, s13, s20
	s_add_u32 s20, s21, s20
	s_mul_hi_u32 s23, s13, s18
	s_addc_u32 s19, s19, s24
	s_addc_u32 s20, s23, 0
	s_mul_i32 s18, s13, s18
	s_add_u32 s23, s19, s18
	s_addc_u32 s24, 0, s20
	s_mul_i32 s18, s6, s24
	s_mul_hi_u32 s19, s6, s23
	s_add_i32 s18, s19, s18
	s_mul_i32 s19, s7, s23
	s_add_i32 s25, s18, s19
	s_sub_i32 s20, s13, s25
	s_mul_i32 s18, s6, s23
	s_sub_u32 s12, s12, s18
	s_cselect_b64 s[18:19], -1, 0
	s_cmp_lg_u64 s[18:19], 0
	s_subb_u32 s26, s20, s7
	s_sub_u32 s27, s12, s6
	s_cselect_b64 s[20:21], -1, 0
	s_cmp_lg_u64 s[20:21], 0
	s_subb_u32 s20, s26, 0
	s_cmp_ge_u32 s20, s7
	s_cselect_b32 s21, -1, 0
	s_cmp_ge_u32 s27, s6
	s_cselect_b32 s26, -1, 0
	s_cmp_eq_u32 s20, s7
	s_cselect_b32 s20, s26, s21
	s_add_u32 s21, s23, 1
	s_addc_u32 s26, s24, 0
	s_add_u32 s27, s23, 2
	s_addc_u32 s28, s24, 0
	s_cmp_lg_u32 s20, 0
	s_cselect_b32 s20, s27, s21
	s_cselect_b32 s21, s28, s26
	s_cmp_lg_u64 s[18:19], 0
	s_subb_u32 s13, s13, s25
	s_cmp_ge_u32 s13, s7
	s_cselect_b32 s18, -1, 0
	s_cmp_ge_u32 s12, s6
	s_cselect_b32 s6, -1, 0
	s_cmp_eq_u32 s13, s7
	s_cselect_b32 s6, s6, s18
	s_cmp_lg_u32 s6, 0
	s_cselect_b32 s7, s21, s24
	s_cselect_b32 s6, s20, s23
	s_xor_b64 s[12:13], s[14:15], 0
	s_xor_b64 s[6:7], s[6:7], s[12:13]
	s_sub_u32 s6, s6, s12
	s_load_dwordx4 s[12:15], s[0:1], 0x44
	s_cbranch_execnz .LBB39_3
.LBB39_2:
	v_cvt_f32_u32_e32 v1, s22
	s_sub_i32 s6, 0, s22
	v_rcp_iflag_f32_e32 v1, v1
	s_nop 0
	v_mul_f32_e32 v1, 0x4f7ffffe, v1
	v_cvt_u32_f32_e32 v1, v1
	s_nop 0
	v_readfirstlane_b32 s7, v1
	s_mul_i32 s6, s6, s7
	s_mul_hi_u32 s6, s7, s6
	s_add_i32 s7, s7, s6
	s_mul_hi_u32 s6, s5, s7
	s_waitcnt lgkmcnt(0)
	s_mul_i32 s15, s6, s22
	s_sub_i32 s5, s5, s15
	s_add_i32 s7, s6, 1
	s_sub_i32 s15, s5, s22
	s_cmp_ge_u32 s5, s22
	s_cselect_b32 s6, s7, s6
	s_cselect_b32 s5, s15, s5
	s_add_i32 s7, s6, 1
	s_cmp_ge_u32 s5, s22
	s_cselect_b32 s6, s7, s6
.LBB39_3:
	s_add_i32 s5, s2, 1
	s_mul_hi_i32 s21, s11, s5
	s_mov_b32 s20, 0
	s_cmp_lg_u64 s[20:21], 0
	s_mul_i32 s5, s11, s5
	s_cbranch_scc0 .LBB39_21
; %bb.4:
	s_add_u32 s16, s22, 0
	s_addc_u32 s17, 0, 0
	s_xor_b64 s[18:19], s[16:17], 0
	v_cvt_f32_u32_e32 v1, s18
	v_cvt_f32_u32_e32 v2, s19
	s_sub_u32 s7, 0, s18
	s_waitcnt lgkmcnt(0)
	s_subb_u32 s15, 0, s19
	v_fmamk_f32 v1, v2, 0x4f800000, v1
	v_rcp_f32_e32 v1, v1
	s_nop 0
	v_mul_f32_e32 v1, 0x5f7ffffc, v1
	v_mul_f32_e32 v2, 0x2f800000, v1
	v_trunc_f32_e32 v2, v2
	v_fmamk_f32 v1, v2, 0xcf800000, v1
	v_cvt_u32_f32_e32 v2, v2
	v_cvt_u32_f32_e32 v1, v1
	v_readfirstlane_b32 s20, v2
	v_readfirstlane_b32 s23, v1
	s_mul_i32 s24, s7, s20
	s_mul_hi_u32 s26, s7, s23
	s_mul_i32 s25, s15, s23
	s_add_i32 s24, s26, s24
	s_add_i32 s24, s24, s25
	s_mul_i32 s27, s7, s23
	s_mul_i32 s26, s23, s24
	s_mul_hi_u32 s28, s23, s27
	s_mul_hi_u32 s25, s23, s24
	s_add_u32 s26, s28, s26
	s_addc_u32 s25, 0, s25
	s_mul_hi_u32 s29, s20, s27
	s_mul_i32 s27, s20, s27
	s_add_u32 s26, s26, s27
	s_mul_hi_u32 s28, s20, s24
	s_addc_u32 s25, s25, s29
	s_addc_u32 s26, s28, 0
	s_mul_i32 s24, s20, s24
	s_add_u32 s24, s25, s24
	s_addc_u32 s26, 0, s26
	s_add_u32 s23, s23, s24
	s_cselect_b64 s[24:25], -1, 0
	s_cmp_lg_u64 s[24:25], 0
	s_addc_u32 s20, s20, s26
	s_mul_i32 s24, s7, s20
	s_mul_hi_u32 s25, s7, s23
	s_add_i32 s24, s25, s24
	s_mul_i32 s15, s15, s23
	s_add_i32 s24, s24, s15
	s_mul_i32 s7, s7, s23
	s_mul_hi_u32 s25, s20, s7
	s_mul_i32 s26, s20, s7
	s_mul_i32 s28, s23, s24
	s_mul_hi_u32 s7, s23, s7
	s_mul_hi_u32 s27, s23, s24
	s_add_u32 s7, s7, s28
	s_addc_u32 s27, 0, s27
	s_add_u32 s7, s7, s26
	s_mul_hi_u32 s15, s20, s24
	s_addc_u32 s7, s27, s25
	s_addc_u32 s15, s15, 0
	s_mul_i32 s24, s20, s24
	s_add_u32 s7, s7, s24
	s_addc_u32 s15, 0, s15
	s_add_u32 s7, s23, s7
	s_cselect_b64 s[24:25], -1, 0
	s_cmp_lg_u64 s[24:25], 0
	s_addc_u32 s15, s20, s15
	s_ashr_i32 s24, s21, 31
	s_add_u32 s20, s5, s24
	s_mov_b32 s25, s24
	s_addc_u32 s21, s21, s24
	s_xor_b64 s[20:21], s[20:21], s[24:25]
	s_mul_i32 s26, s20, s15
	s_mul_hi_u32 s27, s20, s7
	s_mul_hi_u32 s23, s20, s15
	s_add_u32 s26, s27, s26
	s_addc_u32 s23, 0, s23
	s_mul_hi_u32 s28, s21, s7
	s_mul_i32 s7, s21, s7
	s_add_u32 s7, s26, s7
	s_mul_hi_u32 s27, s21, s15
	s_addc_u32 s7, s23, s28
	s_addc_u32 s23, s27, 0
	s_mul_i32 s15, s21, s15
	s_add_u32 s7, s7, s15
	s_addc_u32 s15, 0, s23
	s_mul_i32 s23, s18, s15
	s_mul_hi_u32 s26, s18, s7
	s_add_i32 s23, s26, s23
	s_mul_i32 s26, s19, s7
	s_add_i32 s23, s23, s26
	s_sub_i32 s28, s21, s23
	s_mul_i32 s26, s18, s7
	s_sub_u32 s20, s20, s26
	s_cselect_b64 s[26:27], -1, 0
	s_cmp_lg_u64 s[26:27], 0
	s_subb_u32 s30, s28, s19
	s_sub_u32 s31, s20, s18
	s_cselect_b64 s[28:29], -1, 0
	s_cmp_lg_u64 s[28:29], 0
	s_subb_u32 s28, s30, 0
	s_cmp_ge_u32 s28, s19
	s_cselect_b32 s29, -1, 0
	s_cmp_ge_u32 s31, s18
	s_cselect_b32 s30, -1, 0
	s_cmp_eq_u32 s28, s19
	s_cselect_b32 s28, s30, s29
	s_add_u32 s29, s7, 1
	s_addc_u32 s30, s15, 0
	s_add_u32 s31, s7, 2
	s_addc_u32 s33, s15, 0
	s_cmp_lg_u32 s28, 0
	s_cselect_b32 s28, s31, s29
	s_cselect_b32 s29, s33, s30
	s_cmp_lg_u64 s[26:27], 0
	s_subb_u32 s21, s21, s23
	s_cmp_ge_u32 s21, s19
	s_cselect_b32 s23, -1, 0
	s_cmp_ge_u32 s20, s18
	s_cselect_b32 s18, -1, 0
	s_cmp_eq_u32 s21, s19
	s_cselect_b32 s18, s18, s23
	s_cmp_lg_u32 s18, 0
	s_cselect_b32 s19, s29, s15
	s_cselect_b32 s18, s28, s7
	s_xor_b64 s[20:21], s[24:25], 0
	s_xor_b64 s[18:19], s[18:19], s[20:21]
	s_sub_u32 s18, s18, s20
	s_cbranch_execnz .LBB39_6
.LBB39_5:
	v_cvt_f32_u32_e32 v1, s22
	s_sub_i32 s7, 0, s22
	v_rcp_iflag_f32_e32 v1, v1
	s_nop 0
	v_mul_f32_e32 v1, 0x4f7ffffe, v1
	v_cvt_u32_f32_e32 v1, v1
	s_waitcnt lgkmcnt(0)
	v_readfirstlane_b32 s15, v1
	s_mul_i32 s7, s7, s15
	s_mul_hi_u32 s7, s15, s7
	s_add_i32 s15, s15, s7
	s_mul_hi_u32 s7, s5, s15
	s_mul_i32 s16, s7, s22
	s_sub_i32 s5, s5, s16
	s_add_i32 s15, s7, 1
	s_sub_i32 s16, s5, s22
	s_cmp_ge_u32 s5, s22
	s_cselect_b32 s7, s15, s7
	s_cselect_b32 s5, s16, s5
	s_add_i32 s15, s7, 1
	s_cmp_ge_u32 s5, s22
	s_cselect_b32 s18, s15, s7
.LBB39_6:
	s_cmp_eq_u32 s6, s18
	s_waitcnt lgkmcnt(0)
	s_mul_hi_u32 s5, s6, s12
	s_cselect_b64 s[16:17], -1, 0
	s_add_i32 s5, s5, s6
	s_lshr_b32 s7, s5, s13
	s_mul_i32 s5, s7, s14
	s_cmp_eq_u32 s5, s6
	s_mul_hi_u32 s5, s18, s12
	s_cselect_b64 s[20:21], -1, 0
	s_add_i32 s5, s5, s18
	s_lshr_b32 s5, s5, s13
	s_cmp_eq_u32 s7, s5
	s_mul_i32 s5, s5, s14
	s_cselect_b64 s[24:25], -1, 0
	s_cmp_lg_u32 s5, s18
	s_cselect_b64 s[18:19], -1, 0
	s_and_b64 s[18:19], s[24:25], s[18:19]
	s_or_b64 s[16:17], s[16:17], s[20:21]
	s_or_b64 s[16:17], s[16:17], s[18:19]
	s_and_b64 vcc, exec, s[16:17]
	s_cbranch_vccnz .LBB39_23
; %bb.7:
	s_load_dwordx8 s[24:31], s[0:1], 0x20
	s_load_dword s15, s[0:1], 0x40
	s_waitcnt lgkmcnt(0)
	s_mul_hi_u32 s5, s6, s24
	s_add_i32 s5, s5, s6
	s_lshr_b32 s5, s5, s25
	s_mul_i32 s16, s5, s26
	s_sub_i32 s16, s6, s16
	s_mul_hi_u32 s17, s16, s27
	s_add_i32 s17, s16, s17
	s_lshr_b32 s20, s17, s28
	s_mul_i32 s17, s20, s29
	s_sub_i32 s16, s16, s17
	;; [unrolled: 5-line block ×3, first 2 shown]
	s_mul_hi_u32 s16, s15, s12
	s_add_i32 s15, s15, s16
	s_lshr_b32 s23, s15, s13
	s_lshl_b32 s15, s23, 2
	s_lshl_b32 s21, s17, 3
	s_add_i32 s15, s15, s3
	s_cmp_lt_i32 s15, s8
	s_cselect_b64 s[16:17], -1, 0
	s_add_i32 s15, s21, s4
	s_cmp_lt_i32 s15, s10
	s_cselect_b64 s[18:19], -1, 0
	s_and_b64 s[16:17], s[16:17], s[18:19]
	s_andn2_b64 vcc, exec, s[16:17]
	s_cbranch_vccnz .LBB39_23
; %bb.8:
	s_load_dwordx4 s[16:19], s[0:1], 0x0
	s_mov_b32 s0, 0
	s_lshl_b32 s15, s3, 3
	s_lshl_b32 s24, s22, 7
	s_mov_b32 s25, s0
	s_add_i32 s15, s15, s4
	s_waitcnt lgkmcnt(0)
	v_mov_b32_e32 v2, s16
	v_mov_b32_e32 v3, s17
	s_lshl_b64 s[16:17], s[24:25], 2
	s_add_u32 s16, s18, s16
	s_mul_i32 s1, s5, s8
	s_addc_u32 s17, s19, s17
	s_add_i32 s1, s1, s3
	s_mul_i32 s1, s1, s9
	s_mul_i32 s20, s20, s10
	s_add_i32 s1, s1, s4
	s_add_i32 s1, s1, s20
	s_mul_i32 s5, s9, s23
	s_add_i32 s1, s1, s21
	s_lshl_b32 s5, s5, 11
	s_lshl_b32 s1, s1, 9
	s_add_i32 s5, s5, s1
	v_or_b32_e32 v4, s5, v0
	v_ashrrev_i32_e32 v5, 31, v4
	v_lshl_add_u64 v[2:3], v[4:5], 2, v[2:3]
	global_load_dword v1, v[2:3], off
	v_cvt_f32_u32_e32 v4, s22
	s_lshl_b32 s1, s2, 5
	s_add_i32 s4, s15, s1
	s_ashr_i32 s5, s4, 31
	s_lshl_b64 s[4:5], s[4:5], 3
	v_rcp_iflag_f32_e32 v4, v4
	s_add_u32 s4, s18, s4
	s_addc_u32 s5, s19, s5
	s_load_dwordx2 s[4:5], s[4:5], 0x0
	v_mul_f32_e32 v4, 0x4f7ffffe, v4
	v_cvt_u32_f32_e32 v7, v4
	s_add_i32 s24, s2, -1
	v_lshl_or_b32 v6, s15, 9, v0
	s_waitcnt lgkmcnt(0)
	v_mov_b32_e32 v0, s5
	v_mov_b32_e32 v9, s4
	s_mov_b32 s10, 0x3fb8aa3b
	s_mov_b32 s20, 0xc2ce8ed0
	;; [unrolled: 1-line block ×4, first 2 shown]
	v_mov_b32_e32 v8, 0x7f800000
	s_mul_hi_i32 s1, s24, s11
	s_cmp_lg_u64 s[0:1], 0
	s_mul_i32 s8, s24, s11
	s_cbranch_scc0 .LBB39_19
.LBB39_9:
	s_add_u32 s2, s22, 0
	s_addc_u32 s3, 0, 0
	s_xor_b64 s[2:3], s[2:3], 0
	v_cvt_f32_u32_e32 v4, s2
	v_cvt_f32_u32_e32 v5, s3
	s_sub_u32 s9, 0, s2
	s_subb_u32 s25, 0, s3
	v_fmac_f32_e32 v4, 0x4f800000, v5
	v_rcp_f32_e32 v4, v4
	s_nop 0
	v_mul_f32_e32 v4, 0x5f7ffffc, v4
	v_mul_f32_e32 v5, 0x2f800000, v4
	v_trunc_f32_e32 v5, v5
	v_fmac_f32_e32 v4, 0xcf800000, v5
	v_cvt_u32_f32_e32 v5, v5
	v_cvt_u32_f32_e32 v4, v4
	v_readfirstlane_b32 s26, v5
	v_readfirstlane_b32 s4, v4
	s_mul_i32 s5, s9, s26
	s_mul_hi_u32 s28, s9, s4
	s_mul_i32 s27, s25, s4
	s_add_i32 s5, s28, s5
	s_mul_i32 s29, s9, s4
	s_add_i32 s5, s5, s27
	s_mul_i32 s28, s4, s5
	s_mul_hi_u32 s30, s4, s29
	s_mul_hi_u32 s27, s4, s5
	s_add_u32 s28, s30, s28
	s_addc_u32 s27, 0, s27
	s_mul_hi_u32 s31, s26, s29
	s_mul_i32 s29, s26, s29
	s_add_u32 s28, s28, s29
	s_mul_hi_u32 s30, s26, s5
	s_addc_u32 s27, s27, s31
	s_addc_u32 s28, s30, 0
	s_mul_i32 s5, s26, s5
	s_add_u32 s5, s27, s5
	s_addc_u32 s27, 0, s28
	s_add_u32 s28, s4, s5
	s_cselect_b64 s[4:5], -1, 0
	s_cmp_lg_u64 s[4:5], 0
	s_addc_u32 s26, s26, s27
	s_mul_i32 s4, s9, s26
	s_mul_hi_u32 s5, s9, s28
	s_add_i32 s4, s5, s4
	s_mul_i32 s25, s25, s28
	s_add_i32 s4, s4, s25
	s_mul_i32 s9, s9, s28
	s_mul_hi_u32 s25, s26, s9
	s_mul_i32 s27, s26, s9
	s_mul_i32 s30, s28, s4
	s_mul_hi_u32 s9, s28, s9
	s_mul_hi_u32 s29, s28, s4
	s_add_u32 s9, s9, s30
	s_addc_u32 s29, 0, s29
	s_add_u32 s9, s9, s27
	s_mul_hi_u32 s5, s26, s4
	s_addc_u32 s9, s29, s25
	s_addc_u32 s5, s5, 0
	s_mul_i32 s4, s26, s4
	s_add_u32 s4, s9, s4
	s_addc_u32 s9, 0, s5
	s_add_u32 s25, s28, s4
	s_cselect_b64 s[4:5], -1, 0
	s_cmp_lg_u64 s[4:5], 0
	s_addc_u32 s9, s26, s9
	s_ashr_i32 s4, s1, 31
	s_add_u32 s26, s8, s4
	s_mov_b32 s5, s4
	s_addc_u32 s27, s1, s4
	s_xor_b64 s[26:27], s[26:27], s[4:5]
	s_mul_i32 s28, s26, s9
	s_mul_hi_u32 s29, s26, s25
	s_mul_hi_u32 s1, s26, s9
	s_add_u32 s28, s29, s28
	s_addc_u32 s1, 0, s1
	s_mul_hi_u32 s30, s27, s25
	s_mul_i32 s25, s27, s25
	s_add_u32 s25, s28, s25
	s_mul_hi_u32 s29, s27, s9
	s_addc_u32 s1, s1, s30
	s_addc_u32 s25, s29, 0
	s_mul_i32 s9, s27, s9
	s_add_u32 s1, s1, s9
	s_addc_u32 s9, 0, s25
	s_mul_i32 s25, s2, s9
	s_mul_hi_u32 s28, s2, s1
	s_add_i32 s25, s28, s25
	s_mul_i32 s28, s3, s1
	s_add_i32 s25, s25, s28
	s_sub_i32 s30, s27, s25
	s_mul_i32 s28, s2, s1
	s_sub_u32 s26, s26, s28
	s_cselect_b64 s[28:29], -1, 0
	s_cmp_lg_u64 s[28:29], 0
	s_subb_u32 s33, s30, s3
	s_sub_u32 s34, s26, s2
	s_cselect_b64 s[30:31], -1, 0
	s_cmp_lg_u64 s[30:31], 0
	s_subb_u32 s30, s33, 0
	s_cmp_ge_u32 s30, s3
	s_cselect_b32 s31, -1, 0
	s_cmp_ge_u32 s34, s2
	s_cselect_b32 s33, -1, 0
	s_cmp_eq_u32 s30, s3
	s_cselect_b32 s30, s33, s31
	s_add_u32 s31, s1, 1
	s_addc_u32 s33, s9, 0
	s_add_u32 s34, s1, 2
	s_addc_u32 s35, s9, 0
	s_cmp_lg_u32 s30, 0
	s_cselect_b32 s30, s34, s31
	s_cselect_b32 s31, s35, s33
	s_cmp_lg_u64 s[28:29], 0
	s_subb_u32 s25, s27, s25
	s_cmp_ge_u32 s25, s3
	s_cselect_b32 s27, -1, 0
	s_cmp_ge_u32 s26, s2
	s_cselect_b32 s2, -1, 0
	s_cmp_eq_u32 s25, s3
	s_cselect_b32 s2, s2, s27
	s_cmp_lg_u32 s2, 0
	s_cselect_b32 s3, s31, s9
	s_cselect_b32 s2, s30, s1
	s_xor_b64 s[4:5], s[4:5], 0
	s_xor_b64 s[2:3], s[2:3], s[4:5]
	s_sub_u32 s4, s2, s4
	s_cbranch_execnz .LBB39_11
.LBB39_10:
	s_sub_i32 s1, 0, s22
	v_readfirstlane_b32 s2, v7
	s_mul_i32 s1, s1, s2
	s_mul_hi_u32 s1, s2, s1
	s_add_i32 s2, s2, s1
	s_mul_hi_u32 s1, s8, s2
	s_mul_i32 s3, s1, s22
	s_sub_i32 s3, s8, s3
	s_add_i32 s2, s1, 1
	s_sub_i32 s4, s3, s22
	s_cmp_ge_u32 s3, s22
	s_cselect_b32 s1, s2, s1
	s_cselect_b32 s3, s4, s3
	s_add_i32 s2, s1, 1
	s_cmp_ge_u32 s3, s22
	s_cselect_b32 s4, s2, s1
.LBB39_11:
	s_cmp_lg_u32 s6, s4
	s_cbranch_scc0 .LBB39_15
; %bb.12:
	s_add_i32 s1, s24, s22
	s_lshl_b32 s1, s1, 5
	s_add_i32 s2, s1, s15
	s_mov_b32 s3, s0
	s_lshl_b64 s[2:3], s[2:3], 3
	s_add_u32 s8, s18, s2
	s_mul_hi_u32 s1, s4, s12
	s_addc_u32 s9, s19, s3
	s_add_i32 s1, s1, s4
	s_lshr_b32 s1, s1, s13
	s_mul_i32 s2, s1, s14
	s_cmp_eq_u32 s2, s4
	s_cselect_b64 s[2:3], -1, 0
	s_cmp_lt_u32 s1, s7
	s_cselect_b64 s[26:27], -1, 0
	s_or_b64 s[26:27], s[26:27], s[2:3]
	s_mov_b64 s[2:3], -1
	s_and_b64 vcc, exec, s[26:27]
	s_mov_b32 s1, s24
	s_mov_b32 s25, s6
	s_cbranch_vccnz .LBB39_14
; %bb.13:
	s_add_i32 s1, s24, -1
	s_mov_b64 s[2:3], 0
	s_mov_b32 s25, s4
.LBB39_14:
	v_lshl_add_u32 v4, s24, 14, v6
	v_ashrrev_i32_e32 v5, 31, v4
	v_lshl_add_u64 v[4:5], v[4:5], 2, s[16:17]
	global_load_dword v5, v[4:5], off
	s_load_dwordx2 s[4:5], s[8:9], 0x0
	v_max_f32_e32 v4, v9, v9
	s_waitcnt lgkmcnt(0)
	v_max_f32_e64 v10, s4, s4
	v_max_f32_e32 v10, v4, v10
	v_sub_f32_e32 v11, v9, v10
	v_sub_f32_e32 v13, s4, v10
	v_mul_f32_e32 v4, 0x3fb8aa3b, v11
	v_mul_f32_e32 v12, 0x3fb8aa3b, v13
	v_fma_f32 v14, v11, s10, -v4
	v_rndne_f32_e32 v15, v4
	v_fma_f32 v16, v13, s10, -v12
	v_rndne_f32_e32 v17, v12
	v_fmac_f32_e32 v14, 0x32a5705f, v11
	v_sub_f32_e32 v4, v4, v15
	v_fmac_f32_e32 v16, 0x32a5705f, v13
	v_sub_f32_e32 v12, v12, v17
	v_add_f32_e32 v4, v4, v14
	v_cvt_i32_f32_e32 v15, v15
	v_add_f32_e32 v12, v12, v16
	v_exp_f32_e32 v14, v4
	v_cvt_i32_f32_e32 v17, v17
	v_exp_f32_e32 v12, v12
	v_cmp_ngt_f32_e32 vcc, s20, v11
	v_ldexp_f32 v14, v14, v15
	v_mov_b32_e32 v4, s5
	v_ldexp_f32 v12, v12, v17
	v_cndmask_b32_e32 v14, 0, v14, vcc
	v_cmp_ngt_f32_e32 vcc, s20, v13
	s_nop 1
	v_cndmask_b32_e32 v12, 0, v12, vcc
	v_cmp_nlt_f32_e32 vcc, s21, v11
	s_nop 1
	v_cndmask_b32_e32 v14, v8, v14, vcc
	v_cmp_nlt_f32_e32 vcc, s21, v13
	s_nop 1
	v_cndmask_b32_e32 v15, v8, v12, vcc
	v_cmp_le_f32_e32 vcc, s23, v11
	s_nop 1
	v_cndmask_b32_e32 v12, 0, v14, vcc
	v_cmp_le_f32_e32 vcc, s23, v13
	s_nop 1
	v_cndmask_b32_e32 v14, 0, v15, vcc
	s_waitcnt vmcnt(0)
	v_pk_mul_f32 v[4:5], v[4:5], v[14:15] op_sel_hi:[1,0]
	s_nop 0
	v_pk_fma_f32 v[4:5], v[0:1], v[12:13], v[4:5] op_sel_hi:[1,0,1]
	s_cbranch_execz .LBB39_16
	s_branch .LBB39_17
.LBB39_15:
                                        ; implicit-def: $vgpr4_vgpr5
                                        ; implicit-def: $sgpr2_sgpr3
                                        ; implicit-def: $vgpr10
                                        ; implicit-def: $sgpr1
                                        ; implicit-def: $sgpr25
.LBB39_16:
	s_add_i32 s1, s24, -1
	s_mov_b64 s[2:3], 0
	s_mov_b32 s25, s6
	v_mov_b32_e32 v10, v9
	s_waitcnt vmcnt(0)
	v_mov_b64_e32 v[4:5], v[0:1]
.LBB39_17:
	s_andn2_b64 vcc, exec, s[2:3]
	s_cbranch_vccz .LBB39_22
; %bb.18:
	s_mov_b32 s6, s25
	s_mov_b32 s24, s1
	v_mov_b32_e32 v9, v10
	s_waitcnt vmcnt(0)
	v_mov_b64_e32 v[0:1], v[4:5]
	s_mul_hi_i32 s1, s24, s11
	s_cmp_lg_u64 s[0:1], 0
	s_mul_i32 s8, s24, s11
	s_cbranch_scc1 .LBB39_9
.LBB39_19:
                                        ; implicit-def: $sgpr4_sgpr5
	s_branch .LBB39_10
.LBB39_20:
                                        ; implicit-def: $sgpr6_sgpr7
	s_load_dwordx4 s[12:15], s[0:1], 0x44
	s_branch .LBB39_2
.LBB39_21:
                                        ; implicit-def: $sgpr18_sgpr19
	s_branch .LBB39_5
.LBB39_22:
	v_div_scale_f32 v0, s[0:1], v4, v4, v5
	s_waitcnt vmcnt(0)
	v_rcp_f32_e32 v1, v0
	v_div_scale_f32 v6, vcc, v5, v4, v5
	v_fma_f32 v7, -v0, v1, 1.0
	v_fmac_f32_e32 v1, v7, v1
	v_mul_f32_e32 v7, v6, v1
	v_fma_f32 v8, -v0, v7, v6
	v_fmac_f32_e32 v7, v8, v1
	v_fma_f32 v0, -v0, v7, v6
	v_div_fmas_f32 v0, v0, v1, v7
	v_div_fixup_f32 v0, v0, v4, v5
	global_store_dword v[2:3], v0, off
.LBB39_23:
	s_endpgm
	.section	.rodata,"a",@progbits
	.p2align	6, 0x0
	.amdhsa_kernel _ZL33flash_attn_stream_k_fixup_generalILi512ELi4ELi8EEvPfPK15HIP_vector_typeIfLj2EEiiiiS1_IjLj3EES5_S5_S5_
		.amdhsa_group_segment_fixed_size 0
		.amdhsa_private_segment_fixed_size 0
		.amdhsa_kernarg_size 336
		.amdhsa_user_sgpr_count 2
		.amdhsa_user_sgpr_dispatch_ptr 0
		.amdhsa_user_sgpr_queue_ptr 0
		.amdhsa_user_sgpr_kernarg_segment_ptr 1
		.amdhsa_user_sgpr_dispatch_id 0
		.amdhsa_user_sgpr_kernarg_preload_length 0
		.amdhsa_user_sgpr_kernarg_preload_offset 0
		.amdhsa_user_sgpr_private_segment_size 0
		.amdhsa_uses_dynamic_stack 0
		.amdhsa_enable_private_segment 0
		.amdhsa_system_sgpr_workgroup_id_x 1
		.amdhsa_system_sgpr_workgroup_id_y 1
		.amdhsa_system_sgpr_workgroup_id_z 1
		.amdhsa_system_sgpr_workgroup_info 0
		.amdhsa_system_vgpr_workitem_id 0
		.amdhsa_next_free_vgpr 18
		.amdhsa_next_free_sgpr 36
		.amdhsa_accum_offset 20
		.amdhsa_reserve_vcc 1
		.amdhsa_float_round_mode_32 0
		.amdhsa_float_round_mode_16_64 0
		.amdhsa_float_denorm_mode_32 3
		.amdhsa_float_denorm_mode_16_64 3
		.amdhsa_dx10_clamp 1
		.amdhsa_ieee_mode 1
		.amdhsa_fp16_overflow 0
		.amdhsa_tg_split 0
		.amdhsa_exception_fp_ieee_invalid_op 0
		.amdhsa_exception_fp_denorm_src 0
		.amdhsa_exception_fp_ieee_div_zero 0
		.amdhsa_exception_fp_ieee_overflow 0
		.amdhsa_exception_fp_ieee_underflow 0
		.amdhsa_exception_fp_ieee_inexact 0
		.amdhsa_exception_int_div_zero 0
	.end_amdhsa_kernel
	.section	.text._ZL33flash_attn_stream_k_fixup_generalILi512ELi4ELi8EEvPfPK15HIP_vector_typeIfLj2EEiiiiS1_IjLj3EES5_S5_S5_,"axG",@progbits,_ZL33flash_attn_stream_k_fixup_generalILi512ELi4ELi8EEvPfPK15HIP_vector_typeIfLj2EEiiiiS1_IjLj3EES5_S5_S5_,comdat
.Lfunc_end39:
	.size	_ZL33flash_attn_stream_k_fixup_generalILi512ELi4ELi8EEvPfPK15HIP_vector_typeIfLj2EEiiiiS1_IjLj3EES5_S5_S5_, .Lfunc_end39-_ZL33flash_attn_stream_k_fixup_generalILi512ELi4ELi8EEvPfPK15HIP_vector_typeIfLj2EEiiiiS1_IjLj3EES5_S5_S5_
                                        ; -- End function
	.set _ZL33flash_attn_stream_k_fixup_generalILi512ELi4ELi8EEvPfPK15HIP_vector_typeIfLj2EEiiiiS1_IjLj3EES5_S5_S5_.num_vgpr, 18
	.set _ZL33flash_attn_stream_k_fixup_generalILi512ELi4ELi8EEvPfPK15HIP_vector_typeIfLj2EEiiiiS1_IjLj3EES5_S5_S5_.num_agpr, 0
	.set _ZL33flash_attn_stream_k_fixup_generalILi512ELi4ELi8EEvPfPK15HIP_vector_typeIfLj2EEiiiiS1_IjLj3EES5_S5_S5_.numbered_sgpr, 36
	.set _ZL33flash_attn_stream_k_fixup_generalILi512ELi4ELi8EEvPfPK15HIP_vector_typeIfLj2EEiiiiS1_IjLj3EES5_S5_S5_.num_named_barrier, 0
	.set _ZL33flash_attn_stream_k_fixup_generalILi512ELi4ELi8EEvPfPK15HIP_vector_typeIfLj2EEiiiiS1_IjLj3EES5_S5_S5_.private_seg_size, 0
	.set _ZL33flash_attn_stream_k_fixup_generalILi512ELi4ELi8EEvPfPK15HIP_vector_typeIfLj2EEiiiiS1_IjLj3EES5_S5_S5_.uses_vcc, 1
	.set _ZL33flash_attn_stream_k_fixup_generalILi512ELi4ELi8EEvPfPK15HIP_vector_typeIfLj2EEiiiiS1_IjLj3EES5_S5_S5_.uses_flat_scratch, 0
	.set _ZL33flash_attn_stream_k_fixup_generalILi512ELi4ELi8EEvPfPK15HIP_vector_typeIfLj2EEiiiiS1_IjLj3EES5_S5_S5_.has_dyn_sized_stack, 0
	.set _ZL33flash_attn_stream_k_fixup_generalILi512ELi4ELi8EEvPfPK15HIP_vector_typeIfLj2EEiiiiS1_IjLj3EES5_S5_S5_.has_recursion, 0
	.set _ZL33flash_attn_stream_k_fixup_generalILi512ELi4ELi8EEvPfPK15HIP_vector_typeIfLj2EEiiiiS1_IjLj3EES5_S5_S5_.has_indirect_call, 0
	.section	.AMDGPU.csdata,"",@progbits
; Kernel info:
; codeLenInByte = 2940
; TotalNumSgprs: 42
; NumVgprs: 18
; NumAgprs: 0
; TotalNumVgprs: 18
; ScratchSize: 0
; MemoryBound: 0
; FloatMode: 240
; IeeeMode: 1
; LDSByteSize: 0 bytes/workgroup (compile time only)
; SGPRBlocks: 5
; VGPRBlocks: 2
; NumSGPRsForWavesPerEU: 42
; NumVGPRsForWavesPerEU: 18
; AccumOffset: 20
; Occupancy: 8
; WaveLimiterHint : 0
; COMPUTE_PGM_RSRC2:SCRATCH_EN: 0
; COMPUTE_PGM_RSRC2:USER_SGPR: 2
; COMPUTE_PGM_RSRC2:TRAP_HANDLER: 0
; COMPUTE_PGM_RSRC2:TGID_X_EN: 1
; COMPUTE_PGM_RSRC2:TGID_Y_EN: 1
; COMPUTE_PGM_RSRC2:TGID_Z_EN: 1
; COMPUTE_PGM_RSRC2:TIDIG_COMP_CNT: 0
; COMPUTE_PGM_RSRC3_GFX90A:ACCUM_OFFSET: 4
; COMPUTE_PGM_RSRC3_GFX90A:TG_SPLIT: 0
	.section	.text._ZL26flash_attn_combine_resultsILi512EEvPKfPK15HIP_vector_typeIfLj2EEPfi,"axG",@progbits,_ZL26flash_attn_combine_resultsILi512EEvPKfPK15HIP_vector_typeIfLj2EEPfi,comdat
	.globl	_ZL26flash_attn_combine_resultsILi512EEvPKfPK15HIP_vector_typeIfLj2EEPfi ; -- Begin function _ZL26flash_attn_combine_resultsILi512EEvPKfPK15HIP_vector_typeIfLj2EEPfi
	.p2align	8
	.type	_ZL26flash_attn_combine_resultsILi512EEvPKfPK15HIP_vector_typeIfLj2EEPfi,@function
_ZL26flash_attn_combine_resultsILi512EEvPKfPK15HIP_vector_typeIfLj2EEPfi: ; @_ZL26flash_attn_combine_resultsILi512EEvPKfPK15HIP_vector_typeIfLj2EEPfi
; %bb.0:
	s_load_dwordx2 s[6:7], s[0:1], 0x20
	s_load_dword s19, s[0:1], 0x18
	s_load_dwordx4 s[8:11], s[0:1], 0x0
	s_load_dwordx2 s[14:15], s[0:1], 0x10
	s_waitcnt lgkmcnt(0)
	s_mul_i32 s0, s6, s4
	s_add_i32 s0, s0, s2
	s_mul_i32 s18, s0, s7
	s_add_i32 s18, s18, s3
	s_lshl_b32 s20, s19, 1
	s_mul_i32 s2, s18, s19
	v_cmp_gt_i32_e32 vcc, s20, v0
	s_and_saveexec_b64 s[0:1], vcc
	s_cbranch_execz .LBB40_13
; %bb.1:
	v_xad_u32 v1, v0, -1, s20
	s_movk_i32 s4, 0x1ff
	s_ashr_i32 s3, s2, 31
	v_cmp_lt_u32_e32 vcc, s4, v1
	s_mov_b64 s[6:7], -1
	v_mov_b32_e32 v2, v0
	s_and_saveexec_b64 s[4:5], vcc
	s_cbranch_execz .LBB40_10
; %bb.2:
	v_lshrrev_b32_e32 v6, 9, v1
	s_lshl_b64 s[6:7], s[2:3], 3
	v_add_u32_e32 v2, -1, v6
	s_add_u32 s6, s10, s6
	v_or_b32_e32 v1, 0x200, v0
	v_lshrrev_b32_e32 v3, 1, v2
	s_addc_u32 s7, s11, s7
	s_mov_b32 s21, 0
	v_add_u32_e32 v7, 1, v3
	v_cmp_lt_u32_e32 vcc, 13, v2
	v_mov_b32_e32 v4, 0
	v_mov_b64_e32 v[2:3], v[0:1]
	s_and_saveexec_b64 s[12:13], vcc
	s_cbranch_execz .LBB40_6
; %bb.3:
	v_and_b32_e32 v8, -8, v7
	v_lshl_add_u32 v9, v0, 2, 0
	s_mov_b64 s[16:17], 0
	v_mov_b32_e32 v5, 0
	v_mov_b64_e32 v[2:3], v[0:1]
.LBB40_4:                               ; =>This Inner Loop Header: Depth=1
	v_mov_b32_e32 v4, v2
	v_lshl_add_u64 v[24:25], v[4:5], 2, s[6:7]
	v_mov_b32_e32 v4, v3
	v_add_u32_e32 v10, 0x400, v3
	v_mov_b32_e32 v11, v5
	v_lshl_add_u64 v[26:27], v[4:5], 2, s[6:7]
	v_add_u32_e32 v4, 0x400, v2
	v_lshl_add_u64 v[10:11], v[10:11], 2, s[6:7]
	global_load_dword v1, v[24:25], off
	v_lshl_add_u64 v[24:25], v[4:5], 2, s[6:7]
	v_add_u32_e32 v4, 0x800, v2
	global_load_dword v28, v[26:27], off
	global_load_dword v29, v[24:25], off
	global_load_dword v30, v[10:11], off
	v_lshl_add_u64 v[10:11], v[4:5], 2, s[6:7]
	v_add_u32_e32 v4, 0xc00, v2
	v_add_u32_e32 v12, 0x800, v3
	v_mov_b32_e32 v13, v5
	v_add_u32_e32 v14, 0xc00, v3
	v_mov_b32_e32 v15, v5
	v_lshl_add_u64 v[24:25], v[4:5], 2, s[6:7]
	v_add_u32_e32 v4, 0x1000, v2
	v_lshl_add_u64 v[12:13], v[12:13], 2, s[6:7]
	v_lshl_add_u64 v[14:15], v[14:15], 2, s[6:7]
	global_load_dword v26, v[10:11], off
	global_load_dword v27, v[12:13], off
	;; [unrolled: 1-line block ×4, first 2 shown]
	v_lshl_add_u64 v[10:11], v[4:5], 2, s[6:7]
	v_add_u32_e32 v4, 0x1400, v2
	v_add_u32_e32 v16, 0x1000, v3
	v_mov_b32_e32 v17, v5
	v_add_u32_e32 v18, 0x1400, v3
	v_mov_b32_e32 v19, v5
	v_lshl_add_u64 v[12:13], v[4:5], 2, s[6:7]
	v_add_u32_e32 v4, 0x1800, v2
	v_add_u32_e32 v20, 0x1800, v3
	v_mov_b32_e32 v21, v5
	v_add_u32_e32 v22, 0x1c00, v3
	v_mov_b32_e32 v23, v5
	v_lshl_add_u64 v[16:17], v[16:17], 2, s[6:7]
	v_lshl_add_u64 v[18:19], v[18:19], 2, s[6:7]
	global_load_dword v14, v[10:11], off
	global_load_dword v15, v[16:17], off
	;; [unrolled: 1-line block ×4, first 2 shown]
	v_lshl_add_u64 v[10:11], v[4:5], 2, s[6:7]
	v_add_u32_e32 v4, 0x1c00, v2
	v_lshl_add_u64 v[20:21], v[20:21], 2, s[6:7]
	v_lshl_add_u64 v[22:23], v[22:23], 2, s[6:7]
	;; [unrolled: 1-line block ×3, first 2 shown]
	global_load_dword v16, v[10:11], off
	global_load_dword v17, v[20:21], off
	;; [unrolled: 1-line block ×4, first 2 shown]
	v_add_u32_e32 v8, -8, v8
	s_add_i32 s21, s21, 16
	v_cmp_eq_u32_e32 vcc, 0, v8
	v_add_u32_e32 v3, 0x2000, v3
	v_mov_b32_e32 v4, s21
	s_or_b64 s[16:17], vcc, s[16:17]
	v_add_u32_e32 v2, 0x2000, v2
	s_waitcnt vmcnt(14)
	ds_write2st64_b32 v9, v1, v28 offset1:8
	s_waitcnt vmcnt(12)
	ds_write2st64_b32 v9, v29, v30 offset0:16 offset1:24
	s_waitcnt vmcnt(10)
	ds_write2st64_b32 v9, v26, v27 offset0:32 offset1:40
	;; [unrolled: 2-line block ×7, first 2 shown]
	v_add_u32_e32 v9, 0x8000, v9
	s_andn2_b64 exec, exec, s[16:17]
	s_cbranch_execnz .LBB40_4
; %bb.5:
	s_or_b64 exec, exec, s[16:17]
.LBB40_6:
	s_or_b64 exec, exec, s[12:13]
	v_and_b32_e32 v1, 7, v7
	v_cmp_ne_u32_e32 vcc, 0, v1
	s_and_saveexec_b64 s[12:13], vcc
	s_cbranch_execz .LBB40_9
; %bb.7:
	v_lshlrev_b32_e32 v5, 2, v0
	v_lshl_or_b32 v4, v4, 11, v5
	v_add_u32_e32 v7, 0, v4
	s_mov_b64 s[16:17], 0
	v_mov_b32_e32 v5, 0
.LBB40_8:                               ; =>This Inner Loop Header: Depth=1
	v_mov_b32_e32 v4, v2
	v_lshl_add_u64 v[8:9], v[4:5], 2, s[6:7]
	v_mov_b32_e32 v4, v3
	v_lshl_add_u64 v[10:11], v[4:5], 2, s[6:7]
	global_load_dword v4, v[8:9], off
	global_load_dword v12, v[10:11], off
	v_add_u32_e32 v1, -1, v1
	v_cmp_eq_u32_e32 vcc, 0, v1
	v_add_u32_e32 v2, 0x400, v2
	v_add_u32_e32 v3, 0x400, v3
	s_or_b64 s[16:17], vcc, s[16:17]
	s_waitcnt vmcnt(0)
	ds_write2st64_b32 v7, v4, v12 offset1:8
	v_add_u32_e32 v7, 0x1000, v7
	s_andn2_b64 exec, exec, s[16:17]
	s_cbranch_execnz .LBB40_8
.LBB40_9:
	s_or_b64 exec, exec, s[12:13]
	v_add_u32_e32 v1, 1, v6
	v_and_b32_e32 v3, 0xfffffe, v1
	v_cmp_ne_u32_e32 vcc, v1, v3
	v_lshl_or_b32 v2, v3, 9, v0
	s_orn2_b64 s[6:7], vcc, exec
.LBB40_10:
	s_or_b64 exec, exec, s[4:5]
	s_and_b64 exec, exec, s[6:7]
	s_cbranch_execz .LBB40_13
; %bb.11:
	s_lshl_b64 s[4:5], s[2:3], 3
	s_add_u32 s4, s10, s4
	v_mov_b32_e32 v3, 0
	s_addc_u32 s5, s11, s5
	v_lshl_add_u64 v[4:5], v[2:3], 2, s[4:5]
	v_lshl_add_u32 v1, v2, 2, 0
	s_mov_b64 s[4:5], 0
	s_mov_b64 s[6:7], 0x800
.LBB40_12:                              ; =>This Inner Loop Header: Depth=1
	global_load_dword v3, v[4:5], off
	v_add_u32_e32 v2, 0x200, v2
	v_cmp_le_i32_e32 vcc, s20, v2
	v_lshl_add_u64 v[4:5], v[4:5], 0, s[6:7]
	s_or_b64 s[4:5], vcc, s[4:5]
	s_waitcnt vmcnt(0)
	ds_write_b32 v1, v3
	v_add_u32_e32 v1, 0x800, v1
	s_andn2_b64 exec, exec, s[4:5]
	s_cbranch_execnz .LBB40_12
.LBB40_13:
	s_or_b64 exec, exec, s[0:1]
	v_mov_b32_e32 v1, 0
	s_waitcnt lgkmcnt(0)
	s_barrier
	ds_read_b32 v1, v1
	s_cmp_lt_i32 s19, 2
	s_cbranch_scc1 .LBB40_21
; %bb.14:
	s_cmp_eq_u32 s19, 2
	s_cbranch_scc1 .LBB40_18
; %bb.15:
	s_add_i32 s3, s19, -1
	s_and_b32 s4, s3, -2
	s_add_i32 s6, 0, 8
	s_mov_b32 s5, 2
	s_waitcnt lgkmcnt(0)
	v_mov_b32_e32 v4, v1
.LBB40_16:                              ; =>This Inner Loop Header: Depth=1
	v_mov_b32_e32 v2, v1
	v_mov_b32_e32 v1, s6
	;; [unrolled: 1-line block ×3, first 2 shown]
	ds_read2_b32 v[4:5], v1 offset1:2
	s_cmp_lg_u32 s4, s5
	s_cselect_b64 s[10:11], -1, 0
	v_max_f32_e32 v1, v3, v3
	v_max_f32_e32 v6, v2, v2
	s_waitcnt lgkmcnt(0)
	v_cmp_u_f32_e32 vcc, v5, v5
	v_max_f32_e32 v7, v5, v5
	v_max_f32_e32 v8, v4, v4
	v_cndmask_b32_e64 v5, 0, 1, vcc
	v_cmp_u_f32_e32 vcc, v4, v4
	v_readfirstlane_b32 s0, v5
	s_lshl_b32 s0, s0, 1
	v_cndmask_b32_e64 v9, 0, 1, vcc
	v_max_f32_e32 v4, v1, v7
	v_readfirstlane_b32 s1, v9
	s_or_b32 s0, s1, s0
	s_and_b32 s7, s0, 3
	s_cmp_lg_u32 s7, 0
	s_cselect_b64 s[0:1], -1, 0
	s_cmp_eq_u32 s7, 0
	s_cselect_b64 s[12:13], -1, 0
	s_and_b64 s[10:11], s[12:13], s[10:11]
	v_max_f32_e32 v1, v6, v8
	s_add_i32 s5, s5, 2
	s_add_i32 s6, s6, 16
	s_and_b64 vcc, exec, s[10:11]
	s_cbranch_vccnz .LBB40_16
; %bb.17:
	s_add_i32 s5, s5, -4
	s_and_b64 s[6:7], s[0:1], exec
	s_cselect_b32 s5, s5, s3
	s_or_b32 s5, s5, 1
	v_cndmask_b32_e64 v1, v1, v2, s[0:1]
	v_cndmask_b32_e64 v2, v4, v3, s[0:1]
	s_cmp_lg_u32 s3, s4
	v_max_f32_e32 v2, v2, v2
	v_max_f32_e32 v1, v1, v1
	s_cselect_b64 s[6:7], -1, 0
	v_max_f32_e32 v1, v1, v2
	s_or_b64 s[0:1], s[6:7], s[0:1]
	s_and_b64 vcc, exec, s[0:1]
	s_cbranch_vccnz .LBB40_19
	s_branch .LBB40_21
.LBB40_18:
	s_mov_b32 s5, 1
	s_cbranch_execz .LBB40_21
.LBB40_19:
	s_lshl_b32 s1, s5, 3
	s_sub_i32 s0, s19, s5
	s_add_i32 s1, s1, 0
.LBB40_20:                              ; =>This Inner Loop Header: Depth=1
	v_mov_b32_e32 v2, s1
	ds_read_b32 v2, v2
	s_waitcnt lgkmcnt(1)
	v_max_f32_e32 v1, v1, v1
	s_add_i32 s0, s0, -1
	s_add_i32 s1, s1, 8
	s_cmp_eq_u32 s0, 0
	s_waitcnt lgkmcnt(0)
	v_max_f32_e32 v2, v2, v2
	v_max_f32_e32 v1, v1, v2
	s_cbranch_scc0 .LBB40_20
.LBB40_21:
	s_cmp_lt_i32 s19, 1
	s_cbranch_scc1 .LBB40_26
; %bb.22:
	s_lshl_b32 s0, s2, 9
	s_ashr_i32 s1, s0, 31
	s_lshl_b64 s[0:1], s[0:1], 2
	s_add_u32 s16, s8, s0
	s_addc_u32 s17, s9, s1
	s_cmp_lt_u32 s19, 8
	s_cbranch_scc1 .LBB40_27
; %bb.23:
	v_mov_b32_e32 v7, 0
	s_and_b32 s20, s19, 0x7ffffff8
	v_or_b32_e32 v4, 0xe00, v0
	s_mov_b32 s21, 0
	s_mov_b32 s22, 0x3fb8aa3b
	;; [unrolled: 1-line block ×4, first 2 shown]
	v_mov_b32_e32 v8, 0x7f800000
	s_mov_b32 s25, 0
	v_mov_b32_e32 v2, v7
	v_mov_b32_e32 v3, v7
.LBB40_24:                              ; =>This Inner Loop Header: Depth=1
	v_add_u32_e32 v6, 0xfffff200, v4
	v_lshl_add_u64 v[26:27], v[6:7], 2, s[16:17]
	v_add_u32_e32 v6, 0xfffff400, v4
	v_mov_b32_e32 v9, s21
	v_lshl_add_u64 v[30:31], v[6:7], 2, s[16:17]
	v_add_u32_e32 v6, 0xfffff600, v4
	ds_read2_b64 v[10:13], v9 offset1:1
	ds_read2_b64 v[14:17], v9 offset0:2 offset1:3
	ds_read2_b64 v[18:21], v9 offset0:4 offset1:5
	;; [unrolled: 1-line block ×3, first 2 shown]
	global_load_dword v33, v[26:27], off
	global_load_dword v35, v[30:31], off
	v_lshl_add_u64 v[26:27], v[6:7], 2, s[16:17]
	v_add_u32_e32 v6, 0xfffff800, v4
	v_lshl_add_u64 v[30:31], v[6:7], 2, s[16:17]
	v_add_u32_e32 v6, 0xfffffa00, v4
	global_load_dword v37, v[26:27], off
	global_load_dword v39, v[30:31], off
	v_lshl_add_u64 v[26:27], v[6:7], 2, s[16:17]
	v_add_u32_e32 v6, 0xfffffc00, v4
	s_waitcnt lgkmcnt(3)
	v_mov_b32_e32 v32, v11
	v_sub_f32_e32 v9, v12, v1
	v_mov_b32_e32 v34, v13
	global_load_dword v11, v[26:27], off
	v_lshl_add_u64 v[12:13], v[6:7], 2, s[16:17]
	s_waitcnt lgkmcnt(2)
	v_mov_b32_e32 v36, v15
	v_add_u32_e32 v6, 0xfffffe00, v4
	global_load_dword v15, v[12:13], off
	v_mov_b32_e32 v5, v7
	v_lshl_add_u64 v[12:13], v[6:7], 2, s[16:17]
	v_lshl_add_u64 v[28:29], v[4:5], 2, s[16:17]
	v_sub_f32_e32 v5, v10, v1
	v_mov_b32_e32 v38, v17
	s_waitcnt lgkmcnt(1)
	v_mov_b32_e32 v10, v19
	global_load_dword v17, v[12:13], off
	global_load_dword v19, v[28:29], off
	v_sub_f32_e32 v30, v14, v1
	v_sub_f32_e32 v31, v16, v1
	;; [unrolled: 1-line block ×3, first 2 shown]
	v_mov_b32_e32 v14, v21
	s_waitcnt lgkmcnt(0)
	v_sub_f32_e32 v21, v22, v1
	v_mov_b32_e32 v16, v23
	v_sub_f32_e32 v22, v24, v1
	v_mul_f32_e32 v23, 0x3fb8aa3b, v5
	v_mov_b32_e32 v18, v25
	v_mul_f32_e32 v24, 0x3fb8aa3b, v9
	v_mul_f32_e32 v25, 0x3fb8aa3b, v30
	;; [unrolled: 1-line block ×5, first 2 shown]
	v_fma_f32 v43, v5, s22, -v23
	v_rndne_f32_e32 v44, v23
	v_sub_f32_e32 v20, v20, v1
	v_fma_f32 v45, v9, s22, -v24
	v_rndne_f32_e32 v46, v24
	v_fma_f32 v47, v30, s22, -v25
	v_rndne_f32_e32 v48, v25
	;; [unrolled: 2-line block ×5, first 2 shown]
	v_fmac_f32_e32 v43, 0x32a5705f, v5
	v_sub_f32_e32 v12, v23, v44
	v_mul_f32_e32 v26, 0x3fb8aa3b, v31
	v_mul_f32_e32 v41, 0x3fb8aa3b, v20
	v_fmac_f32_e32 v45, 0x32a5705f, v9
	v_sub_f32_e32 v23, v24, v46
	v_fmac_f32_e32 v47, 0x32a5705f, v30
	v_sub_f32_e32 v25, v25, v48
	;; [unrolled: 2-line block ×5, first 2 shown]
	v_add_f32_e32 v12, v12, v43
	v_fma_f32 v49, v31, s22, -v26
	v_rndne_f32_e32 v50, v26
	v_fma_f32 v53, v20, s22, -v41
	v_rndne_f32_e32 v54, v41
	v_cvt_i32_f32_e32 v13, v44
	v_add_f32_e32 v23, v23, v45
	v_add_f32_e32 v25, v25, v47
	;; [unrolled: 1-line block ×5, first 2 shown]
	v_exp_f32_e32 v12, v12
	v_cvt_i32_f32_e32 v24, v46
	v_cvt_i32_f32_e32 v28, v48
	v_fmac_f32_e32 v49, 0x32a5705f, v31
	v_sub_f32_e32 v26, v26, v50
	v_cvt_i32_f32_e32 v29, v50
	v_cvt_i32_f32_e32 v44, v52
	v_fmac_f32_e32 v53, 0x32a5705f, v20
	v_sub_f32_e32 v41, v41, v54
	v_cvt_i32_f32_e32 v48, v56
	v_cvt_i32_f32_e32 v50, v58
	v_exp_f32_e32 v23, v23
	v_exp_f32_e32 v25, v25
	;; [unrolled: 1-line block ×5, first 2 shown]
	v_add_f32_e32 v26, v26, v49
	v_add_f32_e32 v41, v41, v53
	v_cvt_i32_f32_e32 v46, v54
	v_exp_f32_e32 v26, v26
	v_exp_f32_e32 v41, v41
	v_ldexp_f32 v12, v12, v13
	v_cmp_ngt_f32_e64 s[12:13], s23, v5
	v_ldexp_f32 v13, v23, v24
	v_cmp_ngt_f32_e32 vcc, s23, v9
	v_ldexp_f32 v23, v25, v28
	v_ldexp_f32 v25, v27, v44
	v_ldexp_f32 v27, v42, v48
	v_cmp_ngt_f32_e64 s[8:9], s23, v21
	v_ldexp_f32 v6, v6, v50
	v_cmp_ngt_f32_e64 s[10:11], s23, v22
	v_cndmask_b32_e64 v12, 0, v12, s[12:13]
	v_cmp_nlt_f32_e64 s[12:13], s24, v5
	v_cmp_ngt_f32_e64 s[0:1], s23, v30
	v_cndmask_b32_e32 v13, 0, v13, vcc
	v_cmp_nlt_f32_e32 vcc, s24, v9
	v_cndmask_b32_e64 v27, 0, v27, s[8:9]
	v_cmp_nlt_f32_e64 s[8:9], s24, v21
	v_cndmask_b32_e64 v21, 0, v6, s[10:11]
	v_cndmask_b32_e64 v6, v8, v12, s[12:13]
	v_ldexp_f32 v24, v26, v29
	v_cmp_ngt_f32_e64 s[2:3], s23, v31
	v_cmp_ngt_f32_e64 s[4:5], s23, v40
	v_ldexp_f32 v26, v41, v46
	v_cmp_ngt_f32_e64 s[6:7], s23, v20
	v_cndmask_b32_e64 v9, 0, v23, s[0:1]
	v_cmp_nlt_f32_e64 s[0:1], s24, v30
	v_cndmask_b32_e32 v12, v8, v13, vcc
	s_waitcnt vmcnt(7)
	v_pk_fma_f32 v[2:3], v[6:7], v[32:33], v[2:3] op_sel_hi:[0,1,1]
	v_cndmask_b32_e64 v23, 0, v24, s[2:3]
	v_cmp_nlt_f32_e64 s[2:3], s24, v31
	v_cndmask_b32_e64 v24, 0, v25, s[4:5]
	v_cndmask_b32_e64 v25, 0, v26, s[6:7]
	v_cmp_nlt_f32_e64 s[6:7], s24, v20
	v_cndmask_b32_e64 v20, v8, v9, s[0:1]
	s_waitcnt vmcnt(6)
	v_pk_fma_f32 v[2:3], v[12:13], v[34:35], v[2:3] op_sel_hi:[0,1,1]
	v_cmp_nlt_f32_e64 s[4:5], s24, v40
	v_cmp_nlt_f32_e64 s[10:11], s24, v22
	v_cndmask_b32_e64 v22, v8, v23, s[2:3]
	s_waitcnt vmcnt(5)
	v_pk_fma_f32 v[2:3], v[20:21], v[36:37], v[2:3] op_sel_hi:[0,1,1]
	v_cndmask_b32_e64 v24, v8, v24, s[4:5]
	s_waitcnt vmcnt(4)
	v_pk_fma_f32 v[2:3], v[22:23], v[38:39], v[2:3] op_sel_hi:[0,1,1]
	;; [unrolled: 3-line block ×4, first 2 shown]
	s_add_i32 s25, s25, 8
	s_add_i32 s21, s21, 64
	v_cndmask_b32_e64 v30, v8, v21, s[10:11]
	s_waitcnt vmcnt(1)
	v_pk_fma_f32 v[2:3], v[28:29], v[16:17], v[2:3] op_sel_hi:[0,1,1]
	s_cmp_eq_u32 s20, s25
	v_add_u32_e32 v4, 0x1000, v4
	s_waitcnt vmcnt(0)
	v_pk_fma_f32 v[2:3], v[30:31], v[18:19], v[2:3] op_sel_hi:[0,1,1]
	s_cbranch_scc0 .LBB40_24
; %bb.25:
	s_and_b32 s0, s19, 7
	s_cmp_eq_u32 s0, 0
	s_cbranch_scc0 .LBB40_28
	s_branch .LBB40_30
.LBB40_26:
	s_waitcnt lgkmcnt(0)
	v_mov_b32_e32 v1, 0x7fc00000
	s_branch .LBB40_31
.LBB40_27:
	v_mov_b32_e32 v2, 0
	s_mov_b32 s20, 0
	v_mov_b32_e32 v3, v2
	s_and_b32 s0, s19, 7
	s_cmp_eq_u32 s0, 0
	s_cbranch_scc1 .LBB40_30
.LBB40_28:
	s_lshl_b32 s1, s20, 3
	v_lshl_or_b32 v4, s20, 9, v0
	s_add_i32 s1, s1, 0
	s_mov_b32 s2, 0x3fb8aa3b
	s_mov_b32 s3, 0xc2ce8ed0
	;; [unrolled: 1-line block ×3, first 2 shown]
	v_mov_b32_e32 v6, 0x7f800000
	v_mov_b32_e32 v5, 0
.LBB40_29:                              ; =>This Inner Loop Header: Depth=1
	v_lshl_add_u64 v[8:9], v[4:5], 2, s[16:17]
	global_load_dword v9, v[8:9], off
	v_mov_b32_e32 v7, s1
	ds_read_b64 v[10:11], v7
	s_add_i32 s1, s1, 8
	s_add_i32 s0, s0, -1
	v_add_u32_e32 v4, 0x200, v4
	s_cmp_lg_u32 s0, 0
	s_waitcnt lgkmcnt(0)
	v_sub_f32_e32 v7, v10, v1
	v_mul_f32_e32 v8, 0x3fb8aa3b, v7
	v_fma_f32 v10, v7, s2, -v8
	v_rndne_f32_e32 v12, v8
	v_fmac_f32_e32 v10, 0x32a5705f, v7
	v_sub_f32_e32 v8, v8, v12
	v_add_f32_e32 v8, v8, v10
	v_cvt_i32_f32_e32 v12, v12
	v_exp_f32_e32 v10, v8
	v_cmp_ngt_f32_e32 vcc, s3, v7
	v_mov_b32_e32 v8, v11
	v_ldexp_f32 v10, v10, v12
	v_cndmask_b32_e32 v10, 0, v10, vcc
	v_cmp_nlt_f32_e32 vcc, s4, v7
	s_nop 1
	v_cndmask_b32_e32 v10, v6, v10, vcc
	s_waitcnt vmcnt(0)
	v_pk_fma_f32 v[2:3], v[10:11], v[8:9], v[2:3] op_sel_hi:[0,1,1]
	s_cbranch_scc1 .LBB40_29
.LBB40_30:
	s_waitcnt lgkmcnt(0)
	v_div_scale_f32 v1, s[0:1], v2, v2, v3
	v_rcp_f32_e32 v4, v1
	v_div_scale_f32 v5, vcc, v3, v2, v3
	v_fma_f32 v6, -v1, v4, 1.0
	v_fmac_f32_e32 v4, v6, v4
	v_mul_f32_e32 v6, v5, v4
	v_fma_f32 v7, -v1, v6, v5
	v_fmac_f32_e32 v6, v7, v4
	v_fma_f32 v1, -v1, v6, v5
	v_div_fmas_f32 v1, v1, v4, v6
	v_div_fixup_f32 v1, v1, v2, v3
.LBB40_31:
	s_lshl_b32 s0, s18, 9
	s_ashr_i32 s1, s0, 31
	s_lshl_b64 s[0:1], s[0:1], 2
	s_add_u32 s0, s14, s0
	s_addc_u32 s1, s15, s1
	v_lshlrev_b32_e32 v0, 2, v0
	global_store_dword v0, v1, s[0:1]
	s_endpgm
	.section	.rodata,"a",@progbits
	.p2align	6, 0x0
	.amdhsa_kernel _ZL26flash_attn_combine_resultsILi512EEvPKfPK15HIP_vector_typeIfLj2EEPfi
		.amdhsa_group_segment_fixed_size 0
		.amdhsa_private_segment_fixed_size 0
		.amdhsa_kernarg_size 288
		.amdhsa_user_sgpr_count 2
		.amdhsa_user_sgpr_dispatch_ptr 0
		.amdhsa_user_sgpr_queue_ptr 0
		.amdhsa_user_sgpr_kernarg_segment_ptr 1
		.amdhsa_user_sgpr_dispatch_id 0
		.amdhsa_user_sgpr_kernarg_preload_length 0
		.amdhsa_user_sgpr_kernarg_preload_offset 0
		.amdhsa_user_sgpr_private_segment_size 0
		.amdhsa_uses_dynamic_stack 0
		.amdhsa_enable_private_segment 0
		.amdhsa_system_sgpr_workgroup_id_x 1
		.amdhsa_system_sgpr_workgroup_id_y 1
		.amdhsa_system_sgpr_workgroup_id_z 1
		.amdhsa_system_sgpr_workgroup_info 0
		.amdhsa_system_vgpr_workitem_id 0
		.amdhsa_next_free_vgpr 59
		.amdhsa_next_free_sgpr 26
		.amdhsa_accum_offset 60
		.amdhsa_reserve_vcc 1
		.amdhsa_float_round_mode_32 0
		.amdhsa_float_round_mode_16_64 0
		.amdhsa_float_denorm_mode_32 3
		.amdhsa_float_denorm_mode_16_64 3
		.amdhsa_dx10_clamp 1
		.amdhsa_ieee_mode 1
		.amdhsa_fp16_overflow 0
		.amdhsa_tg_split 0
		.amdhsa_exception_fp_ieee_invalid_op 0
		.amdhsa_exception_fp_denorm_src 0
		.amdhsa_exception_fp_ieee_div_zero 0
		.amdhsa_exception_fp_ieee_overflow 0
		.amdhsa_exception_fp_ieee_underflow 0
		.amdhsa_exception_fp_ieee_inexact 0
		.amdhsa_exception_int_div_zero 0
	.end_amdhsa_kernel
	.section	.text._ZL26flash_attn_combine_resultsILi512EEvPKfPK15HIP_vector_typeIfLj2EEPfi,"axG",@progbits,_ZL26flash_attn_combine_resultsILi512EEvPKfPK15HIP_vector_typeIfLj2EEPfi,comdat
.Lfunc_end40:
	.size	_ZL26flash_attn_combine_resultsILi512EEvPKfPK15HIP_vector_typeIfLj2EEPfi, .Lfunc_end40-_ZL26flash_attn_combine_resultsILi512EEvPKfPK15HIP_vector_typeIfLj2EEPfi
                                        ; -- End function
	.set _ZL26flash_attn_combine_resultsILi512EEvPKfPK15HIP_vector_typeIfLj2EEPfi.num_vgpr, 59
	.set _ZL26flash_attn_combine_resultsILi512EEvPKfPK15HIP_vector_typeIfLj2EEPfi.num_agpr, 0
	.set _ZL26flash_attn_combine_resultsILi512EEvPKfPK15HIP_vector_typeIfLj2EEPfi.numbered_sgpr, 26
	.set _ZL26flash_attn_combine_resultsILi512EEvPKfPK15HIP_vector_typeIfLj2EEPfi.num_named_barrier, 0
	.set _ZL26flash_attn_combine_resultsILi512EEvPKfPK15HIP_vector_typeIfLj2EEPfi.private_seg_size, 0
	.set _ZL26flash_attn_combine_resultsILi512EEvPKfPK15HIP_vector_typeIfLj2EEPfi.uses_vcc, 1
	.set _ZL26flash_attn_combine_resultsILi512EEvPKfPK15HIP_vector_typeIfLj2EEPfi.uses_flat_scratch, 0
	.set _ZL26flash_attn_combine_resultsILi512EEvPKfPK15HIP_vector_typeIfLj2EEPfi.has_dyn_sized_stack, 0
	.set _ZL26flash_attn_combine_resultsILi512EEvPKfPK15HIP_vector_typeIfLj2EEPfi.has_recursion, 0
	.set _ZL26flash_attn_combine_resultsILi512EEvPKfPK15HIP_vector_typeIfLj2EEPfi.has_indirect_call, 0
	.section	.AMDGPU.csdata,"",@progbits
; Kernel info:
; codeLenInByte = 2924
; TotalNumSgprs: 32
; NumVgprs: 59
; NumAgprs: 0
; TotalNumVgprs: 59
; ScratchSize: 0
; MemoryBound: 0
; FloatMode: 240
; IeeeMode: 1
; LDSByteSize: 0 bytes/workgroup (compile time only)
; SGPRBlocks: 3
; VGPRBlocks: 7
; NumSGPRsForWavesPerEU: 32
; NumVGPRsForWavesPerEU: 59
; AccumOffset: 60
; Occupancy: 8
; WaveLimiterHint : 0
; COMPUTE_PGM_RSRC2:SCRATCH_EN: 0
; COMPUTE_PGM_RSRC2:USER_SGPR: 2
; COMPUTE_PGM_RSRC2:TRAP_HANDLER: 0
; COMPUTE_PGM_RSRC2:TGID_X_EN: 1
; COMPUTE_PGM_RSRC2:TGID_Y_EN: 1
; COMPUTE_PGM_RSRC2:TGID_Z_EN: 1
; COMPUTE_PGM_RSRC2:TIDIG_COMP_CNT: 0
; COMPUTE_PGM_RSRC3_GFX90A:ACCUM_OFFSET: 14
; COMPUTE_PGM_RSRC3_GFX90A:TG_SPLIT: 0
	.text
	.p2alignl 6, 3212836864
	.fill 256, 4, 3212836864
	.section	.AMDGPU.gpr_maximums,"",@progbits
	.set amdgpu.max_num_vgpr, 52
	.set amdgpu.max_num_agpr, 0
	.set amdgpu.max_num_sgpr, 34
	.text
	.type	.str.3,@object                  ; @.str.3
	.section	.rodata.str1.1,"aMS",@progbits,1
.str.3:
	.asciz	"/root/src/amdgpu-assembly/repos/ggml-org__llama.cpp/ggml/src/ggml-cuda/template-instances/../fattn-mma-f16.cuh"
	.size	.str.3, 111

	.type	__FUNCTION__._ZL18flash_attn_ext_f16ILi64ELi64ELi4ELi8ELb1ELb0EEvPKcS1_S1_S1_S1_PKiPfP15HIP_vector_typeIfLj2EEffffjfiS5_IjLj3EEiiiiiiiiiiiliiliiiiil,@object ; @__FUNCTION__._ZL18flash_attn_ext_f16ILi64ELi64ELi4ELi8ELb1ELb0EEvPKcS1_S1_S1_S1_PKiPfP15HIP_vector_typeIfLj2EEffffjfiS5_IjLj3EEiiiiiiiiiiiliiliiiiil
__FUNCTION__._ZL18flash_attn_ext_f16ILi64ELi64ELi4ELi8ELb1ELb0EEvPKcS1_S1_S1_S1_PKiPfP15HIP_vector_typeIfLj2EEffffjfiS5_IjLj3EEiiiiiiiiiiiliiliiiiil:
	.asciz	"flash_attn_ext_f16"
	.size	__FUNCTION__._ZL18flash_attn_ext_f16ILi64ELi64ELi4ELi8ELb1ELb0EEvPKcS1_S1_S1_S1_PKiPfP15HIP_vector_typeIfLj2EEffffjfiS5_IjLj3EEiiiiiiiiiiiliiliiiiil, 19

	.type	.str.5,@object                  ; @.str.5
.str.5:
	.asciz	"%s:%d: ERROR: HIP kernel %s has no device code compatible with HIP arch %d.\n"
	.size	.str.5, 77

	.type	__hip_cuid_f234f66c0a98bc30,@object ; @__hip_cuid_f234f66c0a98bc30
	.section	.bss,"aw",@nobits
	.globl	__hip_cuid_f234f66c0a98bc30
__hip_cuid_f234f66c0a98bc30:
	.byte	0                               ; 0x0
	.size	__hip_cuid_f234f66c0a98bc30, 1

	.ident	"AMD clang version 22.0.0git (https://github.com/RadeonOpenCompute/llvm-project roc-7.2.4 26084 f58b06dce1f9c15707c5f808fd002e18c2accf7e)"
	.section	".note.GNU-stack","",@progbits
	.addrsig
	.addrsig_sym __hip_cuid_f234f66c0a98bc30
	.amdgpu_metadata
---
amdhsa.kernels:
  - .agpr_count:     0
    .args:
      - .address_space:  global
        .offset:         0
        .size:           8
        .value_kind:     global_buffer
      - .address_space:  global
        .offset:         8
        .size:           8
        .value_kind:     global_buffer
      - .address_space:  global
        .offset:         16
        .size:           8
        .value_kind:     global_buffer
      - .address_space:  global
        .offset:         24
        .size:           8
        .value_kind:     global_buffer
      - .address_space:  global
        .offset:         32
        .size:           8
        .value_kind:     global_buffer
      - .address_space:  global
        .offset:         40
        .size:           8
        .value_kind:     global_buffer
      - .address_space:  global
        .offset:         48
        .size:           8
        .value_kind:     global_buffer
      - .address_space:  global
        .offset:         56
        .size:           8
        .value_kind:     global_buffer
      - .offset:         64
        .size:           4
        .value_kind:     by_value
      - .offset:         68
        .size:           4
        .value_kind:     by_value
      - .offset:         72
        .size:           4
        .value_kind:     by_value
      - .offset:         76
        .size:           4
        .value_kind:     by_value
      - .offset:         80
        .size:           4
        .value_kind:     by_value
      - .offset:         84
        .size:           4
        .value_kind:     by_value
      - .offset:         88
        .size:           4
        .value_kind:     by_value
      - .offset:         92
        .size:           12
        .value_kind:     by_value
      - .offset:         104
        .size:           4
        .value_kind:     by_value
      - .offset:         108
        .size:           4
        .value_kind:     by_value
      - .offset:         112
        .size:           4
        .value_kind:     by_value
      - .offset:         116
        .size:           4
        .value_kind:     by_value
      - .offset:         120
        .size:           4
        .value_kind:     by_value
      - .offset:         124
        .size:           4
        .value_kind:     by_value
      - .offset:         128
        .size:           4
        .value_kind:     by_value
      - .offset:         132
        .size:           4
        .value_kind:     by_value
      - .offset:         136
        .size:           4
        .value_kind:     by_value
      - .offset:         140
        .size:           4
        .value_kind:     by_value
      - .offset:         144
        .size:           4
        .value_kind:     by_value
      - .offset:         152
        .size:           8
        .value_kind:     by_value
      - .offset:         160
        .size:           4
        .value_kind:     by_value
      - .offset:         164
        .size:           4
        .value_kind:     by_value
      - .offset:         168
        .size:           8
        .value_kind:     by_value
      - .offset:         176
        .size:           4
        .value_kind:     by_value
      - .offset:         180
        .size:           4
        .value_kind:     by_value
      - .offset:         184
        .size:           4
        .value_kind:     by_value
      - .offset:         188
        .size:           4
        .value_kind:     by_value
      - .offset:         192
        .size:           4
        .value_kind:     by_value
      - .offset:         200
        .size:           8
        .value_kind:     by_value
      - .offset:         208
        .size:           4
        .value_kind:     hidden_block_count_x
      - .offset:         212
        .size:           4
        .value_kind:     hidden_block_count_y
      - .offset:         216
        .size:           4
        .value_kind:     hidden_block_count_z
      - .offset:         220
        .size:           2
        .value_kind:     hidden_group_size_x
      - .offset:         222
        .size:           2
        .value_kind:     hidden_group_size_y
      - .offset:         224
        .size:           2
        .value_kind:     hidden_group_size_z
      - .offset:         226
        .size:           2
        .value_kind:     hidden_remainder_x
      - .offset:         228
        .size:           2
        .value_kind:     hidden_remainder_y
      - .offset:         230
        .size:           2
        .value_kind:     hidden_remainder_z
      - .offset:         248
        .size:           8
        .value_kind:     hidden_global_offset_x
      - .offset:         256
        .size:           8
        .value_kind:     hidden_global_offset_y
      - .offset:         264
        .size:           8
        .value_kind:     hidden_global_offset_z
      - .offset:         272
        .size:           2
        .value_kind:     hidden_grid_dims
      - .offset:         328
        .size:           4
        .value_kind:     hidden_dynamic_lds_size
    .group_segment_fixed_size: 0
    .kernarg_segment_align: 8
    .kernarg_segment_size: 464
    .language:       OpenCL C
    .language_version:
      - 2
      - 0
    .max_flat_workgroup_size: 256
    .name:           _ZL18flash_attn_ext_f16ILi64ELi64ELi4ELi8ELb0ELb0EEvPKcS1_S1_S1_S1_PKiPfP15HIP_vector_typeIfLj2EEffffjfiS5_IjLj3EEiiiiiiiiiiiliiliiiiil
    .private_segment_fixed_size: 0
    .sgpr_count:     106
    .sgpr_spill_count: 26
    .symbol:         _ZL18flash_attn_ext_f16ILi64ELi64ELi4ELi8ELb0ELb0EEvPKcS1_S1_S1_S1_PKiPfP15HIP_vector_typeIfLj2EEffffjfiS5_IjLj3EEiiiiiiiiiiiliiliiiiil.kd
    .uniform_work_group_size: 1
    .uses_dynamic_stack: false
    .vgpr_count:     162
    .vgpr_spill_count: 0
    .wavefront_size: 64
  - .agpr_count:     0
    .args:
      - .address_space:  global
        .offset:         0
        .size:           8
        .value_kind:     global_buffer
      - .address_space:  global
        .offset:         8
        .size:           8
        .value_kind:     global_buffer
      - .address_space:  global
        .offset:         16
        .size:           8
        .value_kind:     global_buffer
      - .address_space:  global
        .offset:         24
        .size:           8
        .value_kind:     global_buffer
      - .address_space:  global
        .offset:         32
        .size:           8
        .value_kind:     global_buffer
      - .address_space:  global
        .offset:         40
        .size:           8
        .value_kind:     global_buffer
      - .address_space:  global
        .offset:         48
        .size:           8
        .value_kind:     global_buffer
      - .address_space:  global
        .offset:         56
        .size:           8
        .value_kind:     global_buffer
      - .offset:         64
        .size:           4
        .value_kind:     by_value
      - .offset:         68
        .size:           4
        .value_kind:     by_value
      - .offset:         72
        .size:           4
        .value_kind:     by_value
      - .offset:         76
        .size:           4
        .value_kind:     by_value
      - .offset:         80
        .size:           4
        .value_kind:     by_value
      - .offset:         84
        .size:           4
        .value_kind:     by_value
      - .offset:         88
        .size:           4
        .value_kind:     by_value
      - .offset:         92
        .size:           12
        .value_kind:     by_value
      - .offset:         104
        .size:           4
        .value_kind:     by_value
      - .offset:         108
        .size:           4
        .value_kind:     by_value
      - .offset:         112
        .size:           4
        .value_kind:     by_value
      - .offset:         116
        .size:           4
        .value_kind:     by_value
      - .offset:         120
        .size:           4
        .value_kind:     by_value
      - .offset:         124
        .size:           4
        .value_kind:     by_value
      - .offset:         128
        .size:           4
        .value_kind:     by_value
      - .offset:         132
        .size:           4
        .value_kind:     by_value
      - .offset:         136
        .size:           4
        .value_kind:     by_value
      - .offset:         140
        .size:           4
        .value_kind:     by_value
      - .offset:         144
        .size:           4
        .value_kind:     by_value
      - .offset:         152
        .size:           8
        .value_kind:     by_value
      - .offset:         160
        .size:           4
        .value_kind:     by_value
      - .offset:         164
        .size:           4
        .value_kind:     by_value
      - .offset:         168
        .size:           8
        .value_kind:     by_value
      - .offset:         176
        .size:           4
        .value_kind:     by_value
      - .offset:         180
        .size:           4
        .value_kind:     by_value
      - .offset:         184
        .size:           4
        .value_kind:     by_value
      - .offset:         188
        .size:           4
        .value_kind:     by_value
      - .offset:         192
        .size:           4
        .value_kind:     by_value
      - .offset:         200
        .size:           8
        .value_kind:     by_value
      - .offset:         208
        .size:           4
        .value_kind:     hidden_block_count_x
      - .offset:         212
        .size:           4
        .value_kind:     hidden_block_count_y
      - .offset:         216
        .size:           4
        .value_kind:     hidden_block_count_z
      - .offset:         220
        .size:           2
        .value_kind:     hidden_group_size_x
      - .offset:         222
        .size:           2
        .value_kind:     hidden_group_size_y
      - .offset:         224
        .size:           2
        .value_kind:     hidden_group_size_z
      - .offset:         226
        .size:           2
        .value_kind:     hidden_remainder_x
      - .offset:         228
        .size:           2
        .value_kind:     hidden_remainder_y
      - .offset:         230
        .size:           2
        .value_kind:     hidden_remainder_z
      - .offset:         248
        .size:           8
        .value_kind:     hidden_global_offset_x
      - .offset:         256
        .size:           8
        .value_kind:     hidden_global_offset_y
      - .offset:         264
        .size:           8
        .value_kind:     hidden_global_offset_z
      - .offset:         272
        .size:           2
        .value_kind:     hidden_grid_dims
      - .offset:         288
        .size:           8
        .value_kind:     hidden_hostcall_buffer
    .group_segment_fixed_size: 0
    .kernarg_segment_align: 8
    .kernarg_segment_size: 464
    .language:       OpenCL C
    .language_version:
      - 2
      - 0
    .max_flat_workgroup_size: 256
    .name:           _ZL18flash_attn_ext_f16ILi64ELi64ELi4ELi8ELb1ELb0EEvPKcS1_S1_S1_S1_PKiPfP15HIP_vector_typeIfLj2EEffffjfiS5_IjLj3EEiiiiiiiiiiiliiliiiiil
    .private_segment_fixed_size: 16
    .sgpr_count:     40
    .sgpr_spill_count: 0
    .symbol:         _ZL18flash_attn_ext_f16ILi64ELi64ELi4ELi8ELb1ELb0EEvPKcS1_S1_S1_S1_PKiPfP15HIP_vector_typeIfLj2EEffffjfiS5_IjLj3EEiiiiiiiiiiiliiliiiiil.kd
    .uniform_work_group_size: 1
    .uses_dynamic_stack: false
    .vgpr_count:     52
    .vgpr_spill_count: 0
    .wavefront_size: 64
  - .agpr_count:     0
    .args:
      - .actual_access:  read_only
        .address_space:  global
        .offset:         0
        .size:           8
        .value_kind:     global_buffer
      - .actual_access:  write_only
        .address_space:  global
        .offset:         8
        .size:           8
        .value_kind:     global_buffer
      - .offset:         16
        .size:           4
        .value_kind:     by_value
      - .offset:         20
        .size:           4
        .value_kind:     by_value
      - .offset:         24
        .size:           4
        .value_kind:     by_value
      - .offset:         32
        .size:           4
        .value_kind:     hidden_block_count_x
      - .offset:         36
        .size:           4
        .value_kind:     hidden_block_count_y
      - .offset:         40
        .size:           4
        .value_kind:     hidden_block_count_z
      - .offset:         44
        .size:           2
        .value_kind:     hidden_group_size_x
      - .offset:         46
        .size:           2
        .value_kind:     hidden_group_size_y
      - .offset:         48
        .size:           2
        .value_kind:     hidden_group_size_z
      - .offset:         50
        .size:           2
        .value_kind:     hidden_remainder_x
      - .offset:         52
        .size:           2
        .value_kind:     hidden_remainder_y
      - .offset:         54
        .size:           2
        .value_kind:     hidden_remainder_z
      - .offset:         72
        .size:           8
        .value_kind:     hidden_global_offset_x
      - .offset:         80
        .size:           8
        .value_kind:     hidden_global_offset_y
      - .offset:         88
        .size:           8
        .value_kind:     hidden_global_offset_z
      - .offset:         96
        .size:           2
        .value_kind:     hidden_grid_dims
    .group_segment_fixed_size: 128
    .kernarg_segment_align: 8
    .kernarg_segment_size: 288
    .language:       OpenCL C
    .language_version:
      - 2
      - 0
    .max_flat_workgroup_size: 128
    .name:           _ZL25flash_attn_mask_to_KV_maxILi4EEvPK7__half2Piiii
    .private_segment_fixed_size: 0
    .sgpr_count:     36
    .sgpr_spill_count: 0
    .symbol:         _ZL25flash_attn_mask_to_KV_maxILi4EEvPK7__half2Piiii.kd
    .uniform_work_group_size: 1
    .uses_dynamic_stack: false
    .vgpr_count:     17
    .vgpr_spill_count: 0
    .wavefront_size: 64
  - .agpr_count:     0
    .args:
      - .address_space:  global
        .offset:         0
        .size:           8
        .value_kind:     global_buffer
      - .address_space:  global
        .offset:         8
        .size:           8
        .value_kind:     global_buffer
      - .offset:         16
        .size:           4
        .value_kind:     by_value
      - .offset:         20
        .size:           4
        .value_kind:     by_value
      - .offset:         24
        .size:           4
        .value_kind:     by_value
      - .offset:         28
        .size:           4
        .value_kind:     by_value
      - .offset:         32
        .size:           4
        .value_kind:     by_value
      - .offset:         36
        .size:           4
        .value_kind:     by_value
      - .offset:         40
        .size:           12
        .value_kind:     by_value
      - .offset:         52
        .size:           12
        .value_kind:     by_value
      - .offset:         64
        .size:           12
        .value_kind:     by_value
    .group_segment_fixed_size: 0
    .kernarg_segment_align: 8
    .kernarg_segment_size: 76
    .language:       OpenCL C
    .language_version:
      - 2
      - 0
    .max_flat_workgroup_size: 64
    .name:           _ZL33flash_attn_stream_k_fixup_uniformILi64ELi4ELi8EEvPfPK15HIP_vector_typeIfLj2EEiiiiiiS1_IjLj3EES5_S5_
    .private_segment_fixed_size: 0
    .sgpr_count:     30
    .sgpr_spill_count: 0
    .symbol:         _ZL33flash_attn_stream_k_fixup_uniformILi64ELi4ELi8EEvPfPK15HIP_vector_typeIfLj2EEiiiiiiS1_IjLj3EES5_S5_.kd
    .uniform_work_group_size: 1
    .uses_dynamic_stack: false
    .vgpr_count:     17
    .vgpr_spill_count: 0
    .wavefront_size: 64
  - .agpr_count:     0
    .args:
      - .address_space:  global
        .offset:         0
        .size:           8
        .value_kind:     global_buffer
      - .address_space:  global
        .offset:         8
        .size:           8
        .value_kind:     global_buffer
      - .offset:         16
        .size:           4
        .value_kind:     by_value
      - .offset:         20
        .size:           4
        .value_kind:     by_value
      - .offset:         24
        .size:           4
        .value_kind:     by_value
      - .offset:         28
        .size:           4
        .value_kind:     by_value
      - .offset:         32
        .size:           12
        .value_kind:     by_value
      - .offset:         44
        .size:           12
        .value_kind:     by_value
      - .offset:         56
        .size:           12
        .value_kind:     by_value
      - .offset:         68
        .size:           12
        .value_kind:     by_value
      - .offset:         80
        .size:           4
        .value_kind:     hidden_block_count_x
      - .offset:         84
        .size:           4
        .value_kind:     hidden_block_count_y
      - .offset:         88
        .size:           4
        .value_kind:     hidden_block_count_z
      - .offset:         92
        .size:           2
        .value_kind:     hidden_group_size_x
      - .offset:         94
        .size:           2
        .value_kind:     hidden_group_size_y
      - .offset:         96
        .size:           2
        .value_kind:     hidden_group_size_z
      - .offset:         98
        .size:           2
        .value_kind:     hidden_remainder_x
      - .offset:         100
        .size:           2
        .value_kind:     hidden_remainder_y
      - .offset:         102
        .size:           2
        .value_kind:     hidden_remainder_z
      - .offset:         120
        .size:           8
        .value_kind:     hidden_global_offset_x
      - .offset:         128
        .size:           8
        .value_kind:     hidden_global_offset_y
      - .offset:         136
        .size:           8
        .value_kind:     hidden_global_offset_z
      - .offset:         144
        .size:           2
        .value_kind:     hidden_grid_dims
    .group_segment_fixed_size: 0
    .kernarg_segment_align: 8
    .kernarg_segment_size: 336
    .language:       OpenCL C
    .language_version:
      - 2
      - 0
    .max_flat_workgroup_size: 64
    .name:           _ZL33flash_attn_stream_k_fixup_generalILi64ELi4ELi8EEvPfPK15HIP_vector_typeIfLj2EEiiiiS1_IjLj3EES5_S5_S5_
    .private_segment_fixed_size: 0
    .sgpr_count:     42
    .sgpr_spill_count: 0
    .symbol:         _ZL33flash_attn_stream_k_fixup_generalILi64ELi4ELi8EEvPfPK15HIP_vector_typeIfLj2EEiiiiS1_IjLj3EES5_S5_S5_.kd
    .uniform_work_group_size: 1
    .uses_dynamic_stack: false
    .vgpr_count:     18
    .vgpr_spill_count: 0
    .wavefront_size: 64
  - .agpr_count:     0
    .args:
      - .address_space:  global
        .offset:         0
        .size:           8
        .value_kind:     global_buffer
      - .address_space:  global
        .offset:         8
        .size:           8
        .value_kind:     global_buffer
      - .address_space:  global
        .offset:         16
        .size:           8
        .value_kind:     global_buffer
      - .offset:         24
        .size:           4
        .value_kind:     by_value
      - .offset:         32
        .size:           4
        .value_kind:     hidden_block_count_x
      - .offset:         36
        .size:           4
        .value_kind:     hidden_block_count_y
      - .offset:         40
        .size:           4
        .value_kind:     hidden_block_count_z
      - .offset:         44
        .size:           2
        .value_kind:     hidden_group_size_x
      - .offset:         46
        .size:           2
        .value_kind:     hidden_group_size_y
      - .offset:         48
        .size:           2
        .value_kind:     hidden_group_size_z
      - .offset:         50
        .size:           2
        .value_kind:     hidden_remainder_x
      - .offset:         52
        .size:           2
        .value_kind:     hidden_remainder_y
      - .offset:         54
        .size:           2
        .value_kind:     hidden_remainder_z
      - .offset:         72
        .size:           8
        .value_kind:     hidden_global_offset_x
      - .offset:         80
        .size:           8
        .value_kind:     hidden_global_offset_y
      - .offset:         88
        .size:           8
        .value_kind:     hidden_global_offset_z
      - .offset:         96
        .size:           2
        .value_kind:     hidden_grid_dims
      - .offset:         152
        .size:           4
        .value_kind:     hidden_dynamic_lds_size
    .group_segment_fixed_size: 0
    .kernarg_segment_align: 8
    .kernarg_segment_size: 288
    .language:       OpenCL C
    .language_version:
      - 2
      - 0
    .max_flat_workgroup_size: 64
    .name:           _ZL26flash_attn_combine_resultsILi64EEvPKfPK15HIP_vector_typeIfLj2EEPfi
    .private_segment_fixed_size: 0
    .sgpr_count:     32
    .sgpr_spill_count: 0
    .symbol:         _ZL26flash_attn_combine_resultsILi64EEvPKfPK15HIP_vector_typeIfLj2EEPfi.kd
    .uniform_work_group_size: 1
    .uses_dynamic_stack: false
    .vgpr_count:     59
    .vgpr_spill_count: 0
    .wavefront_size: 64
  - .agpr_count:     0
    .args:
      - .address_space:  global
        .offset:         0
        .size:           8
        .value_kind:     global_buffer
      - .address_space:  global
        .offset:         8
        .size:           8
        .value_kind:     global_buffer
      - .address_space:  global
        .offset:         16
        .size:           8
        .value_kind:     global_buffer
      - .address_space:  global
        .offset:         24
        .size:           8
        .value_kind:     global_buffer
      - .address_space:  global
        .offset:         32
        .size:           8
        .value_kind:     global_buffer
      - .address_space:  global
        .offset:         40
        .size:           8
        .value_kind:     global_buffer
      - .address_space:  global
        .offset:         48
        .size:           8
        .value_kind:     global_buffer
      - .address_space:  global
        .offset:         56
        .size:           8
        .value_kind:     global_buffer
      - .offset:         64
        .size:           4
        .value_kind:     by_value
      - .offset:         68
        .size:           4
        .value_kind:     by_value
      - .offset:         72
        .size:           4
        .value_kind:     by_value
      - .offset:         76
        .size:           4
        .value_kind:     by_value
      - .offset:         80
        .size:           4
        .value_kind:     by_value
      - .offset:         84
        .size:           4
        .value_kind:     by_value
      - .offset:         88
        .size:           4
        .value_kind:     by_value
      - .offset:         92
        .size:           12
        .value_kind:     by_value
      - .offset:         104
        .size:           4
        .value_kind:     by_value
      - .offset:         108
        .size:           4
        .value_kind:     by_value
      - .offset:         112
        .size:           4
        .value_kind:     by_value
      - .offset:         116
        .size:           4
        .value_kind:     by_value
      - .offset:         120
        .size:           4
        .value_kind:     by_value
      - .offset:         124
        .size:           4
        .value_kind:     by_value
      - .offset:         128
        .size:           4
        .value_kind:     by_value
      - .offset:         132
        .size:           4
        .value_kind:     by_value
      - .offset:         136
        .size:           4
        .value_kind:     by_value
      - .offset:         140
        .size:           4
        .value_kind:     by_value
      - .offset:         144
        .size:           4
        .value_kind:     by_value
      - .offset:         152
        .size:           8
        .value_kind:     by_value
      - .offset:         160
        .size:           4
        .value_kind:     by_value
      - .offset:         164
        .size:           4
        .value_kind:     by_value
      - .offset:         168
        .size:           8
        .value_kind:     by_value
      - .offset:         176
        .size:           4
        .value_kind:     by_value
      - .offset:         180
        .size:           4
        .value_kind:     by_value
      - .offset:         184
        .size:           4
        .value_kind:     by_value
      - .offset:         188
        .size:           4
        .value_kind:     by_value
      - .offset:         192
        .size:           4
        .value_kind:     by_value
      - .offset:         200
        .size:           8
        .value_kind:     by_value
      - .offset:         208
        .size:           4
        .value_kind:     hidden_block_count_x
      - .offset:         212
        .size:           4
        .value_kind:     hidden_block_count_y
      - .offset:         216
        .size:           4
        .value_kind:     hidden_block_count_z
      - .offset:         220
        .size:           2
        .value_kind:     hidden_group_size_x
      - .offset:         222
        .size:           2
        .value_kind:     hidden_group_size_y
      - .offset:         224
        .size:           2
        .value_kind:     hidden_group_size_z
      - .offset:         226
        .size:           2
        .value_kind:     hidden_remainder_x
      - .offset:         228
        .size:           2
        .value_kind:     hidden_remainder_y
      - .offset:         230
        .size:           2
        .value_kind:     hidden_remainder_z
      - .offset:         248
        .size:           8
        .value_kind:     hidden_global_offset_x
      - .offset:         256
        .size:           8
        .value_kind:     hidden_global_offset_y
      - .offset:         264
        .size:           8
        .value_kind:     hidden_global_offset_z
      - .offset:         272
        .size:           2
        .value_kind:     hidden_grid_dims
      - .offset:         328
        .size:           4
        .value_kind:     hidden_dynamic_lds_size
    .group_segment_fixed_size: 0
    .kernarg_segment_align: 8
    .kernarg_segment_size: 464
    .language:       OpenCL C
    .language_version:
      - 2
      - 0
    .max_flat_workgroup_size: 256
    .name:           _ZL18flash_attn_ext_f16ILi80ELi80ELi4ELi8ELb0ELb0EEvPKcS1_S1_S1_S1_PKiPfP15HIP_vector_typeIfLj2EEffffjfiS5_IjLj3EEiiiiiiiiiiiliiliiiiil
    .private_segment_fixed_size: 0
    .sgpr_count:     106
    .sgpr_spill_count: 35
    .symbol:         _ZL18flash_attn_ext_f16ILi80ELi80ELi4ELi8ELb0ELb0EEvPKcS1_S1_S1_S1_PKiPfP15HIP_vector_typeIfLj2EEffffjfiS5_IjLj3EEiiiiiiiiiiiliiliiiiil.kd
    .uniform_work_group_size: 1
    .uses_dynamic_stack: false
    .vgpr_count:     167
    .vgpr_spill_count: 0
    .wavefront_size: 64
  - .agpr_count:     0
    .args:
      - .address_space:  global
        .offset:         0
        .size:           8
        .value_kind:     global_buffer
      - .address_space:  global
        .offset:         8
        .size:           8
        .value_kind:     global_buffer
      - .address_space:  global
        .offset:         16
        .size:           8
        .value_kind:     global_buffer
      - .address_space:  global
        .offset:         24
        .size:           8
        .value_kind:     global_buffer
      - .address_space:  global
        .offset:         32
        .size:           8
        .value_kind:     global_buffer
      - .address_space:  global
        .offset:         40
        .size:           8
        .value_kind:     global_buffer
      - .address_space:  global
        .offset:         48
        .size:           8
        .value_kind:     global_buffer
      - .address_space:  global
        .offset:         56
        .size:           8
        .value_kind:     global_buffer
      - .offset:         64
        .size:           4
        .value_kind:     by_value
      - .offset:         68
        .size:           4
        .value_kind:     by_value
      - .offset:         72
        .size:           4
        .value_kind:     by_value
      - .offset:         76
        .size:           4
        .value_kind:     by_value
      - .offset:         80
        .size:           4
        .value_kind:     by_value
      - .offset:         84
        .size:           4
        .value_kind:     by_value
      - .offset:         88
        .size:           4
        .value_kind:     by_value
      - .offset:         92
        .size:           12
        .value_kind:     by_value
      - .offset:         104
        .size:           4
        .value_kind:     by_value
      - .offset:         108
        .size:           4
        .value_kind:     by_value
      - .offset:         112
        .size:           4
        .value_kind:     by_value
      - .offset:         116
        .size:           4
        .value_kind:     by_value
      - .offset:         120
        .size:           4
        .value_kind:     by_value
      - .offset:         124
        .size:           4
        .value_kind:     by_value
      - .offset:         128
        .size:           4
        .value_kind:     by_value
      - .offset:         132
        .size:           4
        .value_kind:     by_value
      - .offset:         136
        .size:           4
        .value_kind:     by_value
      - .offset:         140
        .size:           4
        .value_kind:     by_value
      - .offset:         144
        .size:           4
        .value_kind:     by_value
      - .offset:         152
        .size:           8
        .value_kind:     by_value
      - .offset:         160
        .size:           4
        .value_kind:     by_value
      - .offset:         164
        .size:           4
        .value_kind:     by_value
      - .offset:         168
        .size:           8
        .value_kind:     by_value
      - .offset:         176
        .size:           4
        .value_kind:     by_value
      - .offset:         180
        .size:           4
        .value_kind:     by_value
      - .offset:         184
        .size:           4
        .value_kind:     by_value
      - .offset:         188
        .size:           4
        .value_kind:     by_value
      - .offset:         192
        .size:           4
        .value_kind:     by_value
      - .offset:         200
        .size:           8
        .value_kind:     by_value
      - .offset:         208
        .size:           4
        .value_kind:     hidden_block_count_x
      - .offset:         212
        .size:           4
        .value_kind:     hidden_block_count_y
      - .offset:         216
        .size:           4
        .value_kind:     hidden_block_count_z
      - .offset:         220
        .size:           2
        .value_kind:     hidden_group_size_x
      - .offset:         222
        .size:           2
        .value_kind:     hidden_group_size_y
      - .offset:         224
        .size:           2
        .value_kind:     hidden_group_size_z
      - .offset:         226
        .size:           2
        .value_kind:     hidden_remainder_x
      - .offset:         228
        .size:           2
        .value_kind:     hidden_remainder_y
      - .offset:         230
        .size:           2
        .value_kind:     hidden_remainder_z
      - .offset:         248
        .size:           8
        .value_kind:     hidden_global_offset_x
      - .offset:         256
        .size:           8
        .value_kind:     hidden_global_offset_y
      - .offset:         264
        .size:           8
        .value_kind:     hidden_global_offset_z
      - .offset:         272
        .size:           2
        .value_kind:     hidden_grid_dims
      - .offset:         288
        .size:           8
        .value_kind:     hidden_hostcall_buffer
    .group_segment_fixed_size: 0
    .kernarg_segment_align: 8
    .kernarg_segment_size: 464
    .language:       OpenCL C
    .language_version:
      - 2
      - 0
    .max_flat_workgroup_size: 256
    .name:           _ZL18flash_attn_ext_f16ILi80ELi80ELi4ELi8ELb1ELb0EEvPKcS1_S1_S1_S1_PKiPfP15HIP_vector_typeIfLj2EEffffjfiS5_IjLj3EEiiiiiiiiiiiliiliiiiil
    .private_segment_fixed_size: 16
    .sgpr_count:     40
    .sgpr_spill_count: 0
    .symbol:         _ZL18flash_attn_ext_f16ILi80ELi80ELi4ELi8ELb1ELb0EEvPKcS1_S1_S1_S1_PKiPfP15HIP_vector_typeIfLj2EEffffjfiS5_IjLj3EEiiiiiiiiiiiliiliiiiil.kd
    .uniform_work_group_size: 1
    .uses_dynamic_stack: false
    .vgpr_count:     52
    .vgpr_spill_count: 0
    .wavefront_size: 64
  - .agpr_count:     0
    .args:
      - .address_space:  global
        .offset:         0
        .size:           8
        .value_kind:     global_buffer
      - .address_space:  global
        .offset:         8
        .size:           8
        .value_kind:     global_buffer
      - .offset:         16
        .size:           4
        .value_kind:     by_value
      - .offset:         20
        .size:           4
        .value_kind:     by_value
      - .offset:         24
        .size:           4
        .value_kind:     by_value
      - .offset:         28
        .size:           4
        .value_kind:     by_value
      - .offset:         32
        .size:           4
        .value_kind:     by_value
      - .offset:         36
        .size:           4
        .value_kind:     by_value
      - .offset:         40
        .size:           12
        .value_kind:     by_value
      - .offset:         52
        .size:           12
        .value_kind:     by_value
      - .offset:         64
        .size:           12
        .value_kind:     by_value
    .group_segment_fixed_size: 0
    .kernarg_segment_align: 8
    .kernarg_segment_size: 76
    .language:       OpenCL C
    .language_version:
      - 2
      - 0
    .max_flat_workgroup_size: 80
    .name:           _ZL33flash_attn_stream_k_fixup_uniformILi80ELi4ELi8EEvPfPK15HIP_vector_typeIfLj2EEiiiiiiS1_IjLj3EES5_S5_
    .private_segment_fixed_size: 0
    .sgpr_count:     26
    .sgpr_spill_count: 0
    .symbol:         _ZL33flash_attn_stream_k_fixup_uniformILi80ELi4ELi8EEvPfPK15HIP_vector_typeIfLj2EEiiiiiiS1_IjLj3EES5_S5_.kd
    .uniform_work_group_size: 1
    .uses_dynamic_stack: false
    .vgpr_count:     17
    .vgpr_spill_count: 0
    .wavefront_size: 64
  - .agpr_count:     0
    .args:
      - .address_space:  global
        .offset:         0
        .size:           8
        .value_kind:     global_buffer
      - .address_space:  global
        .offset:         8
        .size:           8
        .value_kind:     global_buffer
      - .offset:         16
        .size:           4
        .value_kind:     by_value
      - .offset:         20
        .size:           4
        .value_kind:     by_value
      - .offset:         24
        .size:           4
        .value_kind:     by_value
      - .offset:         28
        .size:           4
        .value_kind:     by_value
      - .offset:         32
        .size:           12
        .value_kind:     by_value
      - .offset:         44
        .size:           12
        .value_kind:     by_value
      - .offset:         56
        .size:           12
        .value_kind:     by_value
      - .offset:         68
        .size:           12
        .value_kind:     by_value
      - .offset:         80
        .size:           4
        .value_kind:     hidden_block_count_x
      - .offset:         84
        .size:           4
        .value_kind:     hidden_block_count_y
      - .offset:         88
        .size:           4
        .value_kind:     hidden_block_count_z
      - .offset:         92
        .size:           2
        .value_kind:     hidden_group_size_x
      - .offset:         94
        .size:           2
        .value_kind:     hidden_group_size_y
      - .offset:         96
        .size:           2
        .value_kind:     hidden_group_size_z
      - .offset:         98
        .size:           2
        .value_kind:     hidden_remainder_x
      - .offset:         100
        .size:           2
        .value_kind:     hidden_remainder_y
      - .offset:         102
        .size:           2
        .value_kind:     hidden_remainder_z
      - .offset:         120
        .size:           8
        .value_kind:     hidden_global_offset_x
      - .offset:         128
        .size:           8
        .value_kind:     hidden_global_offset_y
      - .offset:         136
        .size:           8
        .value_kind:     hidden_global_offset_z
      - .offset:         144
        .size:           2
        .value_kind:     hidden_grid_dims
    .group_segment_fixed_size: 0
    .kernarg_segment_align: 8
    .kernarg_segment_size: 336
    .language:       OpenCL C
    .language_version:
      - 2
      - 0
    .max_flat_workgroup_size: 80
    .name:           _ZL33flash_attn_stream_k_fixup_generalILi80ELi4ELi8EEvPfPK15HIP_vector_typeIfLj2EEiiiiS1_IjLj3EES5_S5_S5_
    .private_segment_fixed_size: 0
    .sgpr_count:     42
    .sgpr_spill_count: 0
    .symbol:         _ZL33flash_attn_stream_k_fixup_generalILi80ELi4ELi8EEvPfPK15HIP_vector_typeIfLj2EEiiiiS1_IjLj3EES5_S5_S5_.kd
    .uniform_work_group_size: 1
    .uses_dynamic_stack: false
    .vgpr_count:     18
    .vgpr_spill_count: 0
    .wavefront_size: 64
  - .agpr_count:     0
    .args:
      - .address_space:  global
        .offset:         0
        .size:           8
        .value_kind:     global_buffer
      - .address_space:  global
        .offset:         8
        .size:           8
        .value_kind:     global_buffer
      - .address_space:  global
        .offset:         16
        .size:           8
        .value_kind:     global_buffer
      - .offset:         24
        .size:           4
        .value_kind:     by_value
      - .offset:         32
        .size:           4
        .value_kind:     hidden_block_count_x
      - .offset:         36
        .size:           4
        .value_kind:     hidden_block_count_y
      - .offset:         40
        .size:           4
        .value_kind:     hidden_block_count_z
      - .offset:         44
        .size:           2
        .value_kind:     hidden_group_size_x
      - .offset:         46
        .size:           2
        .value_kind:     hidden_group_size_y
      - .offset:         48
        .size:           2
        .value_kind:     hidden_group_size_z
      - .offset:         50
        .size:           2
        .value_kind:     hidden_remainder_x
      - .offset:         52
        .size:           2
        .value_kind:     hidden_remainder_y
      - .offset:         54
        .size:           2
        .value_kind:     hidden_remainder_z
      - .offset:         72
        .size:           8
        .value_kind:     hidden_global_offset_x
      - .offset:         80
        .size:           8
        .value_kind:     hidden_global_offset_y
      - .offset:         88
        .size:           8
        .value_kind:     hidden_global_offset_z
      - .offset:         96
        .size:           2
        .value_kind:     hidden_grid_dims
      - .offset:         152
        .size:           4
        .value_kind:     hidden_dynamic_lds_size
    .group_segment_fixed_size: 0
    .kernarg_segment_align: 8
    .kernarg_segment_size: 288
    .language:       OpenCL C
    .language_version:
      - 2
      - 0
    .max_flat_workgroup_size: 80
    .name:           _ZL26flash_attn_combine_resultsILi80EEvPKfPK15HIP_vector_typeIfLj2EEPfi
    .private_segment_fixed_size: 0
    .sgpr_count:     36
    .sgpr_spill_count: 0
    .symbol:         _ZL26flash_attn_combine_resultsILi80EEvPKfPK15HIP_vector_typeIfLj2EEPfi.kd
    .uniform_work_group_size: 1
    .uses_dynamic_stack: false
    .vgpr_count:     57
    .vgpr_spill_count: 0
    .wavefront_size: 64
  - .agpr_count:     0
    .args:
      - .address_space:  global
        .offset:         0
        .size:           8
        .value_kind:     global_buffer
      - .address_space:  global
        .offset:         8
        .size:           8
        .value_kind:     global_buffer
      - .address_space:  global
        .offset:         16
        .size:           8
        .value_kind:     global_buffer
      - .address_space:  global
        .offset:         24
        .size:           8
        .value_kind:     global_buffer
      - .address_space:  global
        .offset:         32
        .size:           8
        .value_kind:     global_buffer
      - .address_space:  global
        .offset:         40
        .size:           8
        .value_kind:     global_buffer
      - .address_space:  global
        .offset:         48
        .size:           8
        .value_kind:     global_buffer
      - .address_space:  global
        .offset:         56
        .size:           8
        .value_kind:     global_buffer
      - .offset:         64
        .size:           4
        .value_kind:     by_value
      - .offset:         68
        .size:           4
        .value_kind:     by_value
      - .offset:         72
        .size:           4
        .value_kind:     by_value
      - .offset:         76
        .size:           4
        .value_kind:     by_value
      - .offset:         80
        .size:           4
        .value_kind:     by_value
      - .offset:         84
        .size:           4
        .value_kind:     by_value
      - .offset:         88
        .size:           4
        .value_kind:     by_value
      - .offset:         92
        .size:           12
        .value_kind:     by_value
      - .offset:         104
        .size:           4
        .value_kind:     by_value
      - .offset:         108
        .size:           4
        .value_kind:     by_value
      - .offset:         112
        .size:           4
        .value_kind:     by_value
      - .offset:         116
        .size:           4
        .value_kind:     by_value
      - .offset:         120
        .size:           4
        .value_kind:     by_value
      - .offset:         124
        .size:           4
        .value_kind:     by_value
      - .offset:         128
        .size:           4
        .value_kind:     by_value
      - .offset:         132
        .size:           4
        .value_kind:     by_value
      - .offset:         136
        .size:           4
        .value_kind:     by_value
      - .offset:         140
        .size:           4
        .value_kind:     by_value
      - .offset:         144
        .size:           4
        .value_kind:     by_value
      - .offset:         152
        .size:           8
        .value_kind:     by_value
      - .offset:         160
        .size:           4
        .value_kind:     by_value
      - .offset:         164
        .size:           4
        .value_kind:     by_value
      - .offset:         168
        .size:           8
        .value_kind:     by_value
      - .offset:         176
        .size:           4
        .value_kind:     by_value
      - .offset:         180
        .size:           4
        .value_kind:     by_value
      - .offset:         184
        .size:           4
        .value_kind:     by_value
      - .offset:         188
        .size:           4
        .value_kind:     by_value
      - .offset:         192
        .size:           4
        .value_kind:     by_value
      - .offset:         200
        .size:           8
        .value_kind:     by_value
      - .offset:         208
        .size:           4
        .value_kind:     hidden_block_count_x
      - .offset:         212
        .size:           4
        .value_kind:     hidden_block_count_y
      - .offset:         216
        .size:           4
        .value_kind:     hidden_block_count_z
      - .offset:         220
        .size:           2
        .value_kind:     hidden_group_size_x
      - .offset:         222
        .size:           2
        .value_kind:     hidden_group_size_y
      - .offset:         224
        .size:           2
        .value_kind:     hidden_group_size_z
      - .offset:         226
        .size:           2
        .value_kind:     hidden_remainder_x
      - .offset:         228
        .size:           2
        .value_kind:     hidden_remainder_y
      - .offset:         230
        .size:           2
        .value_kind:     hidden_remainder_z
      - .offset:         248
        .size:           8
        .value_kind:     hidden_global_offset_x
      - .offset:         256
        .size:           8
        .value_kind:     hidden_global_offset_y
      - .offset:         264
        .size:           8
        .value_kind:     hidden_global_offset_z
      - .offset:         272
        .size:           2
        .value_kind:     hidden_grid_dims
      - .offset:         328
        .size:           4
        .value_kind:     hidden_dynamic_lds_size
    .group_segment_fixed_size: 0
    .kernarg_segment_align: 8
    .kernarg_segment_size: 464
    .language:       OpenCL C
    .language_version:
      - 2
      - 0
    .max_flat_workgroup_size: 256
    .name:           _ZL18flash_attn_ext_f16ILi96ELi96ELi4ELi8ELb0ELb0EEvPKcS1_S1_S1_S1_PKiPfP15HIP_vector_typeIfLj2EEffffjfiS5_IjLj3EEiiiiiiiiiiiliiliiiiil
    .private_segment_fixed_size: 0
    .sgpr_count:     106
    .sgpr_spill_count: 30
    .symbol:         _ZL18flash_attn_ext_f16ILi96ELi96ELi4ELi8ELb0ELb0EEvPKcS1_S1_S1_S1_PKiPfP15HIP_vector_typeIfLj2EEffffjfiS5_IjLj3EEiiiiiiiiiiiliiliiiiil.kd
    .uniform_work_group_size: 1
    .uses_dynamic_stack: false
    .vgpr_count:     176
    .vgpr_spill_count: 0
    .wavefront_size: 64
  - .agpr_count:     0
    .args:
      - .address_space:  global
        .offset:         0
        .size:           8
        .value_kind:     global_buffer
      - .address_space:  global
        .offset:         8
        .size:           8
        .value_kind:     global_buffer
      - .address_space:  global
        .offset:         16
        .size:           8
        .value_kind:     global_buffer
      - .address_space:  global
        .offset:         24
        .size:           8
        .value_kind:     global_buffer
      - .address_space:  global
        .offset:         32
        .size:           8
        .value_kind:     global_buffer
      - .address_space:  global
        .offset:         40
        .size:           8
        .value_kind:     global_buffer
      - .address_space:  global
        .offset:         48
        .size:           8
        .value_kind:     global_buffer
      - .address_space:  global
        .offset:         56
        .size:           8
        .value_kind:     global_buffer
      - .offset:         64
        .size:           4
        .value_kind:     by_value
      - .offset:         68
        .size:           4
        .value_kind:     by_value
      - .offset:         72
        .size:           4
        .value_kind:     by_value
      - .offset:         76
        .size:           4
        .value_kind:     by_value
      - .offset:         80
        .size:           4
        .value_kind:     by_value
      - .offset:         84
        .size:           4
        .value_kind:     by_value
      - .offset:         88
        .size:           4
        .value_kind:     by_value
      - .offset:         92
        .size:           12
        .value_kind:     by_value
      - .offset:         104
        .size:           4
        .value_kind:     by_value
      - .offset:         108
        .size:           4
        .value_kind:     by_value
      - .offset:         112
        .size:           4
        .value_kind:     by_value
      - .offset:         116
        .size:           4
        .value_kind:     by_value
      - .offset:         120
        .size:           4
        .value_kind:     by_value
      - .offset:         124
        .size:           4
        .value_kind:     by_value
      - .offset:         128
        .size:           4
        .value_kind:     by_value
      - .offset:         132
        .size:           4
        .value_kind:     by_value
      - .offset:         136
        .size:           4
        .value_kind:     by_value
      - .offset:         140
        .size:           4
        .value_kind:     by_value
      - .offset:         144
        .size:           4
        .value_kind:     by_value
      - .offset:         152
        .size:           8
        .value_kind:     by_value
      - .offset:         160
        .size:           4
        .value_kind:     by_value
      - .offset:         164
        .size:           4
        .value_kind:     by_value
      - .offset:         168
        .size:           8
        .value_kind:     by_value
      - .offset:         176
        .size:           4
        .value_kind:     by_value
      - .offset:         180
        .size:           4
        .value_kind:     by_value
      - .offset:         184
        .size:           4
        .value_kind:     by_value
      - .offset:         188
        .size:           4
        .value_kind:     by_value
      - .offset:         192
        .size:           4
        .value_kind:     by_value
      - .offset:         200
        .size:           8
        .value_kind:     by_value
      - .offset:         208
        .size:           4
        .value_kind:     hidden_block_count_x
      - .offset:         212
        .size:           4
        .value_kind:     hidden_block_count_y
      - .offset:         216
        .size:           4
        .value_kind:     hidden_block_count_z
      - .offset:         220
        .size:           2
        .value_kind:     hidden_group_size_x
      - .offset:         222
        .size:           2
        .value_kind:     hidden_group_size_y
      - .offset:         224
        .size:           2
        .value_kind:     hidden_group_size_z
      - .offset:         226
        .size:           2
        .value_kind:     hidden_remainder_x
      - .offset:         228
        .size:           2
        .value_kind:     hidden_remainder_y
      - .offset:         230
        .size:           2
        .value_kind:     hidden_remainder_z
      - .offset:         248
        .size:           8
        .value_kind:     hidden_global_offset_x
      - .offset:         256
        .size:           8
        .value_kind:     hidden_global_offset_y
      - .offset:         264
        .size:           8
        .value_kind:     hidden_global_offset_z
      - .offset:         272
        .size:           2
        .value_kind:     hidden_grid_dims
      - .offset:         288
        .size:           8
        .value_kind:     hidden_hostcall_buffer
    .group_segment_fixed_size: 0
    .kernarg_segment_align: 8
    .kernarg_segment_size: 464
    .language:       OpenCL C
    .language_version:
      - 2
      - 0
    .max_flat_workgroup_size: 256
    .name:           _ZL18flash_attn_ext_f16ILi96ELi96ELi4ELi8ELb1ELb0EEvPKcS1_S1_S1_S1_PKiPfP15HIP_vector_typeIfLj2EEffffjfiS5_IjLj3EEiiiiiiiiiiiliiliiiiil
    .private_segment_fixed_size: 16
    .sgpr_count:     40
    .sgpr_spill_count: 0
    .symbol:         _ZL18flash_attn_ext_f16ILi96ELi96ELi4ELi8ELb1ELb0EEvPKcS1_S1_S1_S1_PKiPfP15HIP_vector_typeIfLj2EEffffjfiS5_IjLj3EEiiiiiiiiiiiliiliiiiil.kd
    .uniform_work_group_size: 1
    .uses_dynamic_stack: false
    .vgpr_count:     52
    .vgpr_spill_count: 0
    .wavefront_size: 64
  - .agpr_count:     0
    .args:
      - .address_space:  global
        .offset:         0
        .size:           8
        .value_kind:     global_buffer
      - .address_space:  global
        .offset:         8
        .size:           8
        .value_kind:     global_buffer
      - .offset:         16
        .size:           4
        .value_kind:     by_value
      - .offset:         20
        .size:           4
        .value_kind:     by_value
      - .offset:         24
        .size:           4
        .value_kind:     by_value
      - .offset:         28
        .size:           4
        .value_kind:     by_value
      - .offset:         32
        .size:           4
        .value_kind:     by_value
      - .offset:         36
        .size:           4
        .value_kind:     by_value
      - .offset:         40
        .size:           12
        .value_kind:     by_value
      - .offset:         52
        .size:           12
        .value_kind:     by_value
      - .offset:         64
        .size:           12
        .value_kind:     by_value
    .group_segment_fixed_size: 0
    .kernarg_segment_align: 8
    .kernarg_segment_size: 76
    .language:       OpenCL C
    .language_version:
      - 2
      - 0
    .max_flat_workgroup_size: 96
    .name:           _ZL33flash_attn_stream_k_fixup_uniformILi96ELi4ELi8EEvPfPK15HIP_vector_typeIfLj2EEiiiiiiS1_IjLj3EES5_S5_
    .private_segment_fixed_size: 0
    .sgpr_count:     26
    .sgpr_spill_count: 0
    .symbol:         _ZL33flash_attn_stream_k_fixup_uniformILi96ELi4ELi8EEvPfPK15HIP_vector_typeIfLj2EEiiiiiiS1_IjLj3EES5_S5_.kd
    .uniform_work_group_size: 1
    .uses_dynamic_stack: false
    .vgpr_count:     17
    .vgpr_spill_count: 0
    .wavefront_size: 64
  - .agpr_count:     0
    .args:
      - .address_space:  global
        .offset:         0
        .size:           8
        .value_kind:     global_buffer
      - .address_space:  global
        .offset:         8
        .size:           8
        .value_kind:     global_buffer
      - .offset:         16
        .size:           4
        .value_kind:     by_value
      - .offset:         20
        .size:           4
        .value_kind:     by_value
      - .offset:         24
        .size:           4
        .value_kind:     by_value
      - .offset:         28
        .size:           4
        .value_kind:     by_value
      - .offset:         32
        .size:           12
        .value_kind:     by_value
      - .offset:         44
        .size:           12
        .value_kind:     by_value
      - .offset:         56
        .size:           12
        .value_kind:     by_value
      - .offset:         68
        .size:           12
        .value_kind:     by_value
      - .offset:         80
        .size:           4
        .value_kind:     hidden_block_count_x
      - .offset:         84
        .size:           4
        .value_kind:     hidden_block_count_y
      - .offset:         88
        .size:           4
        .value_kind:     hidden_block_count_z
      - .offset:         92
        .size:           2
        .value_kind:     hidden_group_size_x
      - .offset:         94
        .size:           2
        .value_kind:     hidden_group_size_y
      - .offset:         96
        .size:           2
        .value_kind:     hidden_group_size_z
      - .offset:         98
        .size:           2
        .value_kind:     hidden_remainder_x
      - .offset:         100
        .size:           2
        .value_kind:     hidden_remainder_y
      - .offset:         102
        .size:           2
        .value_kind:     hidden_remainder_z
      - .offset:         120
        .size:           8
        .value_kind:     hidden_global_offset_x
      - .offset:         128
        .size:           8
        .value_kind:     hidden_global_offset_y
      - .offset:         136
        .size:           8
        .value_kind:     hidden_global_offset_z
      - .offset:         144
        .size:           2
        .value_kind:     hidden_grid_dims
    .group_segment_fixed_size: 0
    .kernarg_segment_align: 8
    .kernarg_segment_size: 336
    .language:       OpenCL C
    .language_version:
      - 2
      - 0
    .max_flat_workgroup_size: 96
    .name:           _ZL33flash_attn_stream_k_fixup_generalILi96ELi4ELi8EEvPfPK15HIP_vector_typeIfLj2EEiiiiS1_IjLj3EES5_S5_S5_
    .private_segment_fixed_size: 0
    .sgpr_count:     42
    .sgpr_spill_count: 0
    .symbol:         _ZL33flash_attn_stream_k_fixup_generalILi96ELi4ELi8EEvPfPK15HIP_vector_typeIfLj2EEiiiiS1_IjLj3EES5_S5_S5_.kd
    .uniform_work_group_size: 1
    .uses_dynamic_stack: false
    .vgpr_count:     18
    .vgpr_spill_count: 0
    .wavefront_size: 64
  - .agpr_count:     0
    .args:
      - .address_space:  global
        .offset:         0
        .size:           8
        .value_kind:     global_buffer
      - .address_space:  global
        .offset:         8
        .size:           8
        .value_kind:     global_buffer
      - .address_space:  global
        .offset:         16
        .size:           8
        .value_kind:     global_buffer
      - .offset:         24
        .size:           4
        .value_kind:     by_value
      - .offset:         32
        .size:           4
        .value_kind:     hidden_block_count_x
      - .offset:         36
        .size:           4
        .value_kind:     hidden_block_count_y
      - .offset:         40
        .size:           4
        .value_kind:     hidden_block_count_z
      - .offset:         44
        .size:           2
        .value_kind:     hidden_group_size_x
      - .offset:         46
        .size:           2
        .value_kind:     hidden_group_size_y
      - .offset:         48
        .size:           2
        .value_kind:     hidden_group_size_z
      - .offset:         50
        .size:           2
        .value_kind:     hidden_remainder_x
      - .offset:         52
        .size:           2
        .value_kind:     hidden_remainder_y
      - .offset:         54
        .size:           2
        .value_kind:     hidden_remainder_z
      - .offset:         72
        .size:           8
        .value_kind:     hidden_global_offset_x
      - .offset:         80
        .size:           8
        .value_kind:     hidden_global_offset_y
      - .offset:         88
        .size:           8
        .value_kind:     hidden_global_offset_z
      - .offset:         96
        .size:           2
        .value_kind:     hidden_grid_dims
      - .offset:         152
        .size:           4
        .value_kind:     hidden_dynamic_lds_size
    .group_segment_fixed_size: 0
    .kernarg_segment_align: 8
    .kernarg_segment_size: 288
    .language:       OpenCL C
    .language_version:
      - 2
      - 0
    .max_flat_workgroup_size: 96
    .name:           _ZL26flash_attn_combine_resultsILi96EEvPKfPK15HIP_vector_typeIfLj2EEPfi
    .private_segment_fixed_size: 0
    .sgpr_count:     38
    .sgpr_spill_count: 0
    .symbol:         _ZL26flash_attn_combine_resultsILi96EEvPKfPK15HIP_vector_typeIfLj2EEPfi.kd
    .uniform_work_group_size: 1
    .uses_dynamic_stack: false
    .vgpr_count:     57
    .vgpr_spill_count: 0
    .wavefront_size: 64
  - .agpr_count:     0
    .args:
      - .address_space:  global
        .offset:         0
        .size:           8
        .value_kind:     global_buffer
      - .address_space:  global
        .offset:         8
        .size:           8
        .value_kind:     global_buffer
      - .address_space:  global
        .offset:         16
        .size:           8
        .value_kind:     global_buffer
      - .address_space:  global
        .offset:         24
        .size:           8
        .value_kind:     global_buffer
      - .address_space:  global
        .offset:         32
        .size:           8
        .value_kind:     global_buffer
      - .address_space:  global
        .offset:         40
        .size:           8
        .value_kind:     global_buffer
      - .address_space:  global
        .offset:         48
        .size:           8
        .value_kind:     global_buffer
      - .address_space:  global
        .offset:         56
        .size:           8
        .value_kind:     global_buffer
      - .offset:         64
        .size:           4
        .value_kind:     by_value
      - .offset:         68
        .size:           4
        .value_kind:     by_value
      - .offset:         72
        .size:           4
        .value_kind:     by_value
      - .offset:         76
        .size:           4
        .value_kind:     by_value
      - .offset:         80
        .size:           4
        .value_kind:     by_value
      - .offset:         84
        .size:           4
        .value_kind:     by_value
      - .offset:         88
        .size:           4
        .value_kind:     by_value
      - .offset:         92
        .size:           12
        .value_kind:     by_value
      - .offset:         104
        .size:           4
        .value_kind:     by_value
      - .offset:         108
        .size:           4
        .value_kind:     by_value
      - .offset:         112
        .size:           4
        .value_kind:     by_value
      - .offset:         116
        .size:           4
        .value_kind:     by_value
      - .offset:         120
        .size:           4
        .value_kind:     by_value
      - .offset:         124
        .size:           4
        .value_kind:     by_value
      - .offset:         128
        .size:           4
        .value_kind:     by_value
      - .offset:         132
        .size:           4
        .value_kind:     by_value
      - .offset:         136
        .size:           4
        .value_kind:     by_value
      - .offset:         140
        .size:           4
        .value_kind:     by_value
      - .offset:         144
        .size:           4
        .value_kind:     by_value
      - .offset:         152
        .size:           8
        .value_kind:     by_value
      - .offset:         160
        .size:           4
        .value_kind:     by_value
      - .offset:         164
        .size:           4
        .value_kind:     by_value
      - .offset:         168
        .size:           8
        .value_kind:     by_value
      - .offset:         176
        .size:           4
        .value_kind:     by_value
      - .offset:         180
        .size:           4
        .value_kind:     by_value
      - .offset:         184
        .size:           4
        .value_kind:     by_value
      - .offset:         188
        .size:           4
        .value_kind:     by_value
      - .offset:         192
        .size:           4
        .value_kind:     by_value
      - .offset:         200
        .size:           8
        .value_kind:     by_value
      - .offset:         208
        .size:           4
        .value_kind:     hidden_block_count_x
      - .offset:         212
        .size:           4
        .value_kind:     hidden_block_count_y
      - .offset:         216
        .size:           4
        .value_kind:     hidden_block_count_z
      - .offset:         220
        .size:           2
        .value_kind:     hidden_group_size_x
      - .offset:         222
        .size:           2
        .value_kind:     hidden_group_size_y
      - .offset:         224
        .size:           2
        .value_kind:     hidden_group_size_z
      - .offset:         226
        .size:           2
        .value_kind:     hidden_remainder_x
      - .offset:         228
        .size:           2
        .value_kind:     hidden_remainder_y
      - .offset:         230
        .size:           2
        .value_kind:     hidden_remainder_z
      - .offset:         248
        .size:           8
        .value_kind:     hidden_global_offset_x
      - .offset:         256
        .size:           8
        .value_kind:     hidden_global_offset_y
      - .offset:         264
        .size:           8
        .value_kind:     hidden_global_offset_z
      - .offset:         272
        .size:           2
        .value_kind:     hidden_grid_dims
      - .offset:         328
        .size:           4
        .value_kind:     hidden_dynamic_lds_size
    .group_segment_fixed_size: 0
    .kernarg_segment_align: 8
    .kernarg_segment_size: 464
    .language:       OpenCL C
    .language_version:
      - 2
      - 0
    .max_flat_workgroup_size: 256
    .name:           _ZL18flash_attn_ext_f16ILi112ELi112ELi4ELi8ELb0ELb0EEvPKcS1_S1_S1_S1_PKiPfP15HIP_vector_typeIfLj2EEffffjfiS5_IjLj3EEiiiiiiiiiiiliiliiiiil
    .private_segment_fixed_size: 0
    .sgpr_count:     106
    .sgpr_spill_count: 35
    .symbol:         _ZL18flash_attn_ext_f16ILi112ELi112ELi4ELi8ELb0ELb0EEvPKcS1_S1_S1_S1_PKiPfP15HIP_vector_typeIfLj2EEffffjfiS5_IjLj3EEiiiiiiiiiiiliiliiiiil.kd
    .uniform_work_group_size: 1
    .uses_dynamic_stack: false
    .vgpr_count:     205
    .vgpr_spill_count: 0
    .wavefront_size: 64
  - .agpr_count:     0
    .args:
      - .address_space:  global
        .offset:         0
        .size:           8
        .value_kind:     global_buffer
      - .address_space:  global
        .offset:         8
        .size:           8
        .value_kind:     global_buffer
      - .address_space:  global
        .offset:         16
        .size:           8
        .value_kind:     global_buffer
      - .address_space:  global
        .offset:         24
        .size:           8
        .value_kind:     global_buffer
      - .address_space:  global
        .offset:         32
        .size:           8
        .value_kind:     global_buffer
      - .address_space:  global
        .offset:         40
        .size:           8
        .value_kind:     global_buffer
      - .address_space:  global
        .offset:         48
        .size:           8
        .value_kind:     global_buffer
      - .address_space:  global
        .offset:         56
        .size:           8
        .value_kind:     global_buffer
      - .offset:         64
        .size:           4
        .value_kind:     by_value
      - .offset:         68
        .size:           4
        .value_kind:     by_value
      - .offset:         72
        .size:           4
        .value_kind:     by_value
      - .offset:         76
        .size:           4
        .value_kind:     by_value
      - .offset:         80
        .size:           4
        .value_kind:     by_value
      - .offset:         84
        .size:           4
        .value_kind:     by_value
      - .offset:         88
        .size:           4
        .value_kind:     by_value
      - .offset:         92
        .size:           12
        .value_kind:     by_value
      - .offset:         104
        .size:           4
        .value_kind:     by_value
      - .offset:         108
        .size:           4
        .value_kind:     by_value
      - .offset:         112
        .size:           4
        .value_kind:     by_value
      - .offset:         116
        .size:           4
        .value_kind:     by_value
      - .offset:         120
        .size:           4
        .value_kind:     by_value
      - .offset:         124
        .size:           4
        .value_kind:     by_value
      - .offset:         128
        .size:           4
        .value_kind:     by_value
      - .offset:         132
        .size:           4
        .value_kind:     by_value
      - .offset:         136
        .size:           4
        .value_kind:     by_value
      - .offset:         140
        .size:           4
        .value_kind:     by_value
      - .offset:         144
        .size:           4
        .value_kind:     by_value
      - .offset:         152
        .size:           8
        .value_kind:     by_value
      - .offset:         160
        .size:           4
        .value_kind:     by_value
      - .offset:         164
        .size:           4
        .value_kind:     by_value
      - .offset:         168
        .size:           8
        .value_kind:     by_value
      - .offset:         176
        .size:           4
        .value_kind:     by_value
      - .offset:         180
        .size:           4
        .value_kind:     by_value
      - .offset:         184
        .size:           4
        .value_kind:     by_value
      - .offset:         188
        .size:           4
        .value_kind:     by_value
      - .offset:         192
        .size:           4
        .value_kind:     by_value
      - .offset:         200
        .size:           8
        .value_kind:     by_value
      - .offset:         208
        .size:           4
        .value_kind:     hidden_block_count_x
      - .offset:         212
        .size:           4
        .value_kind:     hidden_block_count_y
      - .offset:         216
        .size:           4
        .value_kind:     hidden_block_count_z
      - .offset:         220
        .size:           2
        .value_kind:     hidden_group_size_x
      - .offset:         222
        .size:           2
        .value_kind:     hidden_group_size_y
      - .offset:         224
        .size:           2
        .value_kind:     hidden_group_size_z
      - .offset:         226
        .size:           2
        .value_kind:     hidden_remainder_x
      - .offset:         228
        .size:           2
        .value_kind:     hidden_remainder_y
      - .offset:         230
        .size:           2
        .value_kind:     hidden_remainder_z
      - .offset:         248
        .size:           8
        .value_kind:     hidden_global_offset_x
      - .offset:         256
        .size:           8
        .value_kind:     hidden_global_offset_y
      - .offset:         264
        .size:           8
        .value_kind:     hidden_global_offset_z
      - .offset:         272
        .size:           2
        .value_kind:     hidden_grid_dims
      - .offset:         288
        .size:           8
        .value_kind:     hidden_hostcall_buffer
    .group_segment_fixed_size: 0
    .kernarg_segment_align: 8
    .kernarg_segment_size: 464
    .language:       OpenCL C
    .language_version:
      - 2
      - 0
    .max_flat_workgroup_size: 256
    .name:           _ZL18flash_attn_ext_f16ILi112ELi112ELi4ELi8ELb1ELb0EEvPKcS1_S1_S1_S1_PKiPfP15HIP_vector_typeIfLj2EEffffjfiS5_IjLj3EEiiiiiiiiiiiliiliiiiil
    .private_segment_fixed_size: 16
    .sgpr_count:     40
    .sgpr_spill_count: 0
    .symbol:         _ZL18flash_attn_ext_f16ILi112ELi112ELi4ELi8ELb1ELb0EEvPKcS1_S1_S1_S1_PKiPfP15HIP_vector_typeIfLj2EEffffjfiS5_IjLj3EEiiiiiiiiiiiliiliiiiil.kd
    .uniform_work_group_size: 1
    .uses_dynamic_stack: false
    .vgpr_count:     52
    .vgpr_spill_count: 0
    .wavefront_size: 64
  - .agpr_count:     0
    .args:
      - .address_space:  global
        .offset:         0
        .size:           8
        .value_kind:     global_buffer
      - .address_space:  global
        .offset:         8
        .size:           8
        .value_kind:     global_buffer
      - .offset:         16
        .size:           4
        .value_kind:     by_value
      - .offset:         20
        .size:           4
        .value_kind:     by_value
      - .offset:         24
        .size:           4
        .value_kind:     by_value
      - .offset:         28
        .size:           4
        .value_kind:     by_value
      - .offset:         32
        .size:           4
        .value_kind:     by_value
      - .offset:         36
        .size:           4
        .value_kind:     by_value
      - .offset:         40
        .size:           12
        .value_kind:     by_value
      - .offset:         52
        .size:           12
        .value_kind:     by_value
      - .offset:         64
        .size:           12
        .value_kind:     by_value
    .group_segment_fixed_size: 0
    .kernarg_segment_align: 8
    .kernarg_segment_size: 76
    .language:       OpenCL C
    .language_version:
      - 2
      - 0
    .max_flat_workgroup_size: 112
    .name:           _ZL33flash_attn_stream_k_fixup_uniformILi112ELi4ELi8EEvPfPK15HIP_vector_typeIfLj2EEiiiiiiS1_IjLj3EES5_S5_
    .private_segment_fixed_size: 0
    .sgpr_count:     26
    .sgpr_spill_count: 0
    .symbol:         _ZL33flash_attn_stream_k_fixup_uniformILi112ELi4ELi8EEvPfPK15HIP_vector_typeIfLj2EEiiiiiiS1_IjLj3EES5_S5_.kd
    .uniform_work_group_size: 1
    .uses_dynamic_stack: false
    .vgpr_count:     17
    .vgpr_spill_count: 0
    .wavefront_size: 64
  - .agpr_count:     0
    .args:
      - .address_space:  global
        .offset:         0
        .size:           8
        .value_kind:     global_buffer
      - .address_space:  global
        .offset:         8
        .size:           8
        .value_kind:     global_buffer
      - .offset:         16
        .size:           4
        .value_kind:     by_value
      - .offset:         20
        .size:           4
        .value_kind:     by_value
      - .offset:         24
        .size:           4
        .value_kind:     by_value
      - .offset:         28
        .size:           4
        .value_kind:     by_value
      - .offset:         32
        .size:           12
        .value_kind:     by_value
      - .offset:         44
        .size:           12
        .value_kind:     by_value
      - .offset:         56
        .size:           12
        .value_kind:     by_value
      - .offset:         68
        .size:           12
        .value_kind:     by_value
      - .offset:         80
        .size:           4
        .value_kind:     hidden_block_count_x
      - .offset:         84
        .size:           4
        .value_kind:     hidden_block_count_y
      - .offset:         88
        .size:           4
        .value_kind:     hidden_block_count_z
      - .offset:         92
        .size:           2
        .value_kind:     hidden_group_size_x
      - .offset:         94
        .size:           2
        .value_kind:     hidden_group_size_y
      - .offset:         96
        .size:           2
        .value_kind:     hidden_group_size_z
      - .offset:         98
        .size:           2
        .value_kind:     hidden_remainder_x
      - .offset:         100
        .size:           2
        .value_kind:     hidden_remainder_y
      - .offset:         102
        .size:           2
        .value_kind:     hidden_remainder_z
      - .offset:         120
        .size:           8
        .value_kind:     hidden_global_offset_x
      - .offset:         128
        .size:           8
        .value_kind:     hidden_global_offset_y
      - .offset:         136
        .size:           8
        .value_kind:     hidden_global_offset_z
      - .offset:         144
        .size:           2
        .value_kind:     hidden_grid_dims
    .group_segment_fixed_size: 0
    .kernarg_segment_align: 8
    .kernarg_segment_size: 336
    .language:       OpenCL C
    .language_version:
      - 2
      - 0
    .max_flat_workgroup_size: 112
    .name:           _ZL33flash_attn_stream_k_fixup_generalILi112ELi4ELi8EEvPfPK15HIP_vector_typeIfLj2EEiiiiS1_IjLj3EES5_S5_S5_
    .private_segment_fixed_size: 0
    .sgpr_count:     42
    .sgpr_spill_count: 0
    .symbol:         _ZL33flash_attn_stream_k_fixup_generalILi112ELi4ELi8EEvPfPK15HIP_vector_typeIfLj2EEiiiiS1_IjLj3EES5_S5_S5_.kd
    .uniform_work_group_size: 1
    .uses_dynamic_stack: false
    .vgpr_count:     18
    .vgpr_spill_count: 0
    .wavefront_size: 64
  - .agpr_count:     0
    .args:
      - .address_space:  global
        .offset:         0
        .size:           8
        .value_kind:     global_buffer
      - .address_space:  global
        .offset:         8
        .size:           8
        .value_kind:     global_buffer
      - .address_space:  global
        .offset:         16
        .size:           8
        .value_kind:     global_buffer
      - .offset:         24
        .size:           4
        .value_kind:     by_value
      - .offset:         32
        .size:           4
        .value_kind:     hidden_block_count_x
      - .offset:         36
        .size:           4
        .value_kind:     hidden_block_count_y
      - .offset:         40
        .size:           4
        .value_kind:     hidden_block_count_z
      - .offset:         44
        .size:           2
        .value_kind:     hidden_group_size_x
      - .offset:         46
        .size:           2
        .value_kind:     hidden_group_size_y
      - .offset:         48
        .size:           2
        .value_kind:     hidden_group_size_z
      - .offset:         50
        .size:           2
        .value_kind:     hidden_remainder_x
      - .offset:         52
        .size:           2
        .value_kind:     hidden_remainder_y
      - .offset:         54
        .size:           2
        .value_kind:     hidden_remainder_z
      - .offset:         72
        .size:           8
        .value_kind:     hidden_global_offset_x
      - .offset:         80
        .size:           8
        .value_kind:     hidden_global_offset_y
      - .offset:         88
        .size:           8
        .value_kind:     hidden_global_offset_z
      - .offset:         96
        .size:           2
        .value_kind:     hidden_grid_dims
      - .offset:         152
        .size:           4
        .value_kind:     hidden_dynamic_lds_size
    .group_segment_fixed_size: 0
    .kernarg_segment_align: 8
    .kernarg_segment_size: 288
    .language:       OpenCL C
    .language_version:
      - 2
      - 0
    .max_flat_workgroup_size: 112
    .name:           _ZL26flash_attn_combine_resultsILi112EEvPKfPK15HIP_vector_typeIfLj2EEPfi
    .private_segment_fixed_size: 0
    .sgpr_count:     36
    .sgpr_spill_count: 0
    .symbol:         _ZL26flash_attn_combine_resultsILi112EEvPKfPK15HIP_vector_typeIfLj2EEPfi.kd
    .uniform_work_group_size: 1
    .uses_dynamic_stack: false
    .vgpr_count:     57
    .vgpr_spill_count: 0
    .wavefront_size: 64
  - .agpr_count:     0
    .args:
      - .address_space:  global
        .offset:         0
        .size:           8
        .value_kind:     global_buffer
      - .address_space:  global
        .offset:         8
        .size:           8
        .value_kind:     global_buffer
      - .address_space:  global
        .offset:         16
        .size:           8
        .value_kind:     global_buffer
      - .address_space:  global
        .offset:         24
        .size:           8
        .value_kind:     global_buffer
      - .address_space:  global
        .offset:         32
        .size:           8
        .value_kind:     global_buffer
      - .address_space:  global
        .offset:         40
        .size:           8
        .value_kind:     global_buffer
      - .address_space:  global
        .offset:         48
        .size:           8
        .value_kind:     global_buffer
      - .address_space:  global
        .offset:         56
        .size:           8
        .value_kind:     global_buffer
      - .offset:         64
        .size:           4
        .value_kind:     by_value
      - .offset:         68
        .size:           4
        .value_kind:     by_value
      - .offset:         72
        .size:           4
        .value_kind:     by_value
      - .offset:         76
        .size:           4
        .value_kind:     by_value
      - .offset:         80
        .size:           4
        .value_kind:     by_value
      - .offset:         84
        .size:           4
        .value_kind:     by_value
      - .offset:         88
        .size:           4
        .value_kind:     by_value
      - .offset:         92
        .size:           12
        .value_kind:     by_value
      - .offset:         104
        .size:           4
        .value_kind:     by_value
      - .offset:         108
        .size:           4
        .value_kind:     by_value
      - .offset:         112
        .size:           4
        .value_kind:     by_value
      - .offset:         116
        .size:           4
        .value_kind:     by_value
      - .offset:         120
        .size:           4
        .value_kind:     by_value
      - .offset:         124
        .size:           4
        .value_kind:     by_value
      - .offset:         128
        .size:           4
        .value_kind:     by_value
      - .offset:         132
        .size:           4
        .value_kind:     by_value
      - .offset:         136
        .size:           4
        .value_kind:     by_value
      - .offset:         140
        .size:           4
        .value_kind:     by_value
      - .offset:         144
        .size:           4
        .value_kind:     by_value
      - .offset:         152
        .size:           8
        .value_kind:     by_value
      - .offset:         160
        .size:           4
        .value_kind:     by_value
      - .offset:         164
        .size:           4
        .value_kind:     by_value
      - .offset:         168
        .size:           8
        .value_kind:     by_value
      - .offset:         176
        .size:           4
        .value_kind:     by_value
      - .offset:         180
        .size:           4
        .value_kind:     by_value
      - .offset:         184
        .size:           4
        .value_kind:     by_value
      - .offset:         188
        .size:           4
        .value_kind:     by_value
      - .offset:         192
        .size:           4
        .value_kind:     by_value
      - .offset:         200
        .size:           8
        .value_kind:     by_value
      - .offset:         208
        .size:           4
        .value_kind:     hidden_block_count_x
      - .offset:         212
        .size:           4
        .value_kind:     hidden_block_count_y
      - .offset:         216
        .size:           4
        .value_kind:     hidden_block_count_z
      - .offset:         220
        .size:           2
        .value_kind:     hidden_group_size_x
      - .offset:         222
        .size:           2
        .value_kind:     hidden_group_size_y
      - .offset:         224
        .size:           2
        .value_kind:     hidden_group_size_z
      - .offset:         226
        .size:           2
        .value_kind:     hidden_remainder_x
      - .offset:         228
        .size:           2
        .value_kind:     hidden_remainder_y
      - .offset:         230
        .size:           2
        .value_kind:     hidden_remainder_z
      - .offset:         248
        .size:           8
        .value_kind:     hidden_global_offset_x
      - .offset:         256
        .size:           8
        .value_kind:     hidden_global_offset_y
      - .offset:         264
        .size:           8
        .value_kind:     hidden_global_offset_z
      - .offset:         272
        .size:           2
        .value_kind:     hidden_grid_dims
      - .offset:         328
        .size:           4
        .value_kind:     hidden_dynamic_lds_size
    .group_segment_fixed_size: 0
    .kernarg_segment_align: 8
    .kernarg_segment_size: 464
    .language:       OpenCL C
    .language_version:
      - 2
      - 0
    .max_flat_workgroup_size: 256
    .name:           _ZL18flash_attn_ext_f16ILi128ELi128ELi4ELi8ELb0ELb0EEvPKcS1_S1_S1_S1_PKiPfP15HIP_vector_typeIfLj2EEffffjfiS5_IjLj3EEiiiiiiiiiiiliiliiiiil
    .private_segment_fixed_size: 0
    .sgpr_count:     106
    .sgpr_spill_count: 26
    .symbol:         _ZL18flash_attn_ext_f16ILi128ELi128ELi4ELi8ELb0ELb0EEvPKcS1_S1_S1_S1_PKiPfP15HIP_vector_typeIfLj2EEffffjfiS5_IjLj3EEiiiiiiiiiiiliiliiiiil.kd
    .uniform_work_group_size: 1
    .uses_dynamic_stack: false
    .vgpr_count:     229
    .vgpr_spill_count: 0
    .wavefront_size: 64
  - .agpr_count:     0
    .args:
      - .address_space:  global
        .offset:         0
        .size:           8
        .value_kind:     global_buffer
      - .address_space:  global
        .offset:         8
        .size:           8
        .value_kind:     global_buffer
      - .address_space:  global
        .offset:         16
        .size:           8
        .value_kind:     global_buffer
      - .address_space:  global
        .offset:         24
        .size:           8
        .value_kind:     global_buffer
      - .address_space:  global
        .offset:         32
        .size:           8
        .value_kind:     global_buffer
      - .address_space:  global
        .offset:         40
        .size:           8
        .value_kind:     global_buffer
      - .address_space:  global
        .offset:         48
        .size:           8
        .value_kind:     global_buffer
      - .address_space:  global
        .offset:         56
        .size:           8
        .value_kind:     global_buffer
      - .offset:         64
        .size:           4
        .value_kind:     by_value
      - .offset:         68
        .size:           4
        .value_kind:     by_value
      - .offset:         72
        .size:           4
        .value_kind:     by_value
      - .offset:         76
        .size:           4
        .value_kind:     by_value
      - .offset:         80
        .size:           4
        .value_kind:     by_value
      - .offset:         84
        .size:           4
        .value_kind:     by_value
      - .offset:         88
        .size:           4
        .value_kind:     by_value
      - .offset:         92
        .size:           12
        .value_kind:     by_value
      - .offset:         104
        .size:           4
        .value_kind:     by_value
      - .offset:         108
        .size:           4
        .value_kind:     by_value
      - .offset:         112
        .size:           4
        .value_kind:     by_value
      - .offset:         116
        .size:           4
        .value_kind:     by_value
      - .offset:         120
        .size:           4
        .value_kind:     by_value
      - .offset:         124
        .size:           4
        .value_kind:     by_value
      - .offset:         128
        .size:           4
        .value_kind:     by_value
      - .offset:         132
        .size:           4
        .value_kind:     by_value
      - .offset:         136
        .size:           4
        .value_kind:     by_value
      - .offset:         140
        .size:           4
        .value_kind:     by_value
      - .offset:         144
        .size:           4
        .value_kind:     by_value
      - .offset:         152
        .size:           8
        .value_kind:     by_value
      - .offset:         160
        .size:           4
        .value_kind:     by_value
      - .offset:         164
        .size:           4
        .value_kind:     by_value
      - .offset:         168
        .size:           8
        .value_kind:     by_value
      - .offset:         176
        .size:           4
        .value_kind:     by_value
      - .offset:         180
        .size:           4
        .value_kind:     by_value
      - .offset:         184
        .size:           4
        .value_kind:     by_value
      - .offset:         188
        .size:           4
        .value_kind:     by_value
      - .offset:         192
        .size:           4
        .value_kind:     by_value
      - .offset:         200
        .size:           8
        .value_kind:     by_value
      - .offset:         208
        .size:           4
        .value_kind:     hidden_block_count_x
      - .offset:         212
        .size:           4
        .value_kind:     hidden_block_count_y
      - .offset:         216
        .size:           4
        .value_kind:     hidden_block_count_z
      - .offset:         220
        .size:           2
        .value_kind:     hidden_group_size_x
      - .offset:         222
        .size:           2
        .value_kind:     hidden_group_size_y
      - .offset:         224
        .size:           2
        .value_kind:     hidden_group_size_z
      - .offset:         226
        .size:           2
        .value_kind:     hidden_remainder_x
      - .offset:         228
        .size:           2
        .value_kind:     hidden_remainder_y
      - .offset:         230
        .size:           2
        .value_kind:     hidden_remainder_z
      - .offset:         248
        .size:           8
        .value_kind:     hidden_global_offset_x
      - .offset:         256
        .size:           8
        .value_kind:     hidden_global_offset_y
      - .offset:         264
        .size:           8
        .value_kind:     hidden_global_offset_z
      - .offset:         272
        .size:           2
        .value_kind:     hidden_grid_dims
      - .offset:         328
        .size:           4
        .value_kind:     hidden_dynamic_lds_size
    .group_segment_fixed_size: 0
    .kernarg_segment_align: 8
    .kernarg_segment_size: 464
    .language:       OpenCL C
    .language_version:
      - 2
      - 0
    .max_flat_workgroup_size: 256
    .name:           _ZL18flash_attn_ext_f16ILi128ELi128ELi4ELi8ELb1ELb0EEvPKcS1_S1_S1_S1_PKiPfP15HIP_vector_typeIfLj2EEffffjfiS5_IjLj3EEiiiiiiiiiiiliiliiiiil
    .private_segment_fixed_size: 0
    .sgpr_count:     106
    .sgpr_spill_count: 29
    .symbol:         _ZL18flash_attn_ext_f16ILi128ELi128ELi4ELi8ELb1ELb0EEvPKcS1_S1_S1_S1_PKiPfP15HIP_vector_typeIfLj2EEffffjfiS5_IjLj3EEiiiiiiiiiiiliiliiiiil.kd
    .uniform_work_group_size: 1
    .uses_dynamic_stack: false
    .vgpr_count:     225
    .vgpr_spill_count: 0
    .wavefront_size: 64
  - .agpr_count:     0
    .args:
      - .address_space:  global
        .offset:         0
        .size:           8
        .value_kind:     global_buffer
      - .address_space:  global
        .offset:         8
        .size:           8
        .value_kind:     global_buffer
      - .offset:         16
        .size:           4
        .value_kind:     by_value
      - .offset:         20
        .size:           4
        .value_kind:     by_value
      - .offset:         24
        .size:           4
        .value_kind:     by_value
      - .offset:         28
        .size:           4
        .value_kind:     by_value
      - .offset:         32
        .size:           4
        .value_kind:     by_value
      - .offset:         36
        .size:           4
        .value_kind:     by_value
      - .offset:         40
        .size:           12
        .value_kind:     by_value
      - .offset:         52
        .size:           12
        .value_kind:     by_value
      - .offset:         64
        .size:           12
        .value_kind:     by_value
    .group_segment_fixed_size: 0
    .kernarg_segment_align: 8
    .kernarg_segment_size: 76
    .language:       OpenCL C
    .language_version:
      - 2
      - 0
    .max_flat_workgroup_size: 128
    .name:           _ZL33flash_attn_stream_k_fixup_uniformILi128ELi4ELi8EEvPfPK15HIP_vector_typeIfLj2EEiiiiiiS1_IjLj3EES5_S5_
    .private_segment_fixed_size: 0
    .sgpr_count:     30
    .sgpr_spill_count: 0
    .symbol:         _ZL33flash_attn_stream_k_fixup_uniformILi128ELi4ELi8EEvPfPK15HIP_vector_typeIfLj2EEiiiiiiS1_IjLj3EES5_S5_.kd
    .uniform_work_group_size: 1
    .uses_dynamic_stack: false
    .vgpr_count:     17
    .vgpr_spill_count: 0
    .wavefront_size: 64
  - .agpr_count:     0
    .args:
      - .address_space:  global
        .offset:         0
        .size:           8
        .value_kind:     global_buffer
      - .address_space:  global
        .offset:         8
        .size:           8
        .value_kind:     global_buffer
      - .offset:         16
        .size:           4
        .value_kind:     by_value
      - .offset:         20
        .size:           4
        .value_kind:     by_value
      - .offset:         24
        .size:           4
        .value_kind:     by_value
      - .offset:         28
        .size:           4
        .value_kind:     by_value
      - .offset:         32
        .size:           12
        .value_kind:     by_value
      - .offset:         44
        .size:           12
        .value_kind:     by_value
      - .offset:         56
        .size:           12
        .value_kind:     by_value
      - .offset:         68
        .size:           12
        .value_kind:     by_value
      - .offset:         80
        .size:           4
        .value_kind:     hidden_block_count_x
      - .offset:         84
        .size:           4
        .value_kind:     hidden_block_count_y
      - .offset:         88
        .size:           4
        .value_kind:     hidden_block_count_z
      - .offset:         92
        .size:           2
        .value_kind:     hidden_group_size_x
      - .offset:         94
        .size:           2
        .value_kind:     hidden_group_size_y
      - .offset:         96
        .size:           2
        .value_kind:     hidden_group_size_z
      - .offset:         98
        .size:           2
        .value_kind:     hidden_remainder_x
      - .offset:         100
        .size:           2
        .value_kind:     hidden_remainder_y
      - .offset:         102
        .size:           2
        .value_kind:     hidden_remainder_z
      - .offset:         120
        .size:           8
        .value_kind:     hidden_global_offset_x
      - .offset:         128
        .size:           8
        .value_kind:     hidden_global_offset_y
      - .offset:         136
        .size:           8
        .value_kind:     hidden_global_offset_z
      - .offset:         144
        .size:           2
        .value_kind:     hidden_grid_dims
    .group_segment_fixed_size: 0
    .kernarg_segment_align: 8
    .kernarg_segment_size: 336
    .language:       OpenCL C
    .language_version:
      - 2
      - 0
    .max_flat_workgroup_size: 128
    .name:           _ZL33flash_attn_stream_k_fixup_generalILi128ELi4ELi8EEvPfPK15HIP_vector_typeIfLj2EEiiiiS1_IjLj3EES5_S5_S5_
    .private_segment_fixed_size: 0
    .sgpr_count:     42
    .sgpr_spill_count: 0
    .symbol:         _ZL33flash_attn_stream_k_fixup_generalILi128ELi4ELi8EEvPfPK15HIP_vector_typeIfLj2EEiiiiS1_IjLj3EES5_S5_S5_.kd
    .uniform_work_group_size: 1
    .uses_dynamic_stack: false
    .vgpr_count:     18
    .vgpr_spill_count: 0
    .wavefront_size: 64
  - .agpr_count:     0
    .args:
      - .address_space:  global
        .offset:         0
        .size:           8
        .value_kind:     global_buffer
      - .address_space:  global
        .offset:         8
        .size:           8
        .value_kind:     global_buffer
      - .address_space:  global
        .offset:         16
        .size:           8
        .value_kind:     global_buffer
      - .offset:         24
        .size:           4
        .value_kind:     by_value
      - .offset:         32
        .size:           4
        .value_kind:     hidden_block_count_x
      - .offset:         36
        .size:           4
        .value_kind:     hidden_block_count_y
      - .offset:         40
        .size:           4
        .value_kind:     hidden_block_count_z
      - .offset:         44
        .size:           2
        .value_kind:     hidden_group_size_x
      - .offset:         46
        .size:           2
        .value_kind:     hidden_group_size_y
      - .offset:         48
        .size:           2
        .value_kind:     hidden_group_size_z
      - .offset:         50
        .size:           2
        .value_kind:     hidden_remainder_x
      - .offset:         52
        .size:           2
        .value_kind:     hidden_remainder_y
      - .offset:         54
        .size:           2
        .value_kind:     hidden_remainder_z
      - .offset:         72
        .size:           8
        .value_kind:     hidden_global_offset_x
      - .offset:         80
        .size:           8
        .value_kind:     hidden_global_offset_y
      - .offset:         88
        .size:           8
        .value_kind:     hidden_global_offset_z
      - .offset:         96
        .size:           2
        .value_kind:     hidden_grid_dims
      - .offset:         152
        .size:           4
        .value_kind:     hidden_dynamic_lds_size
    .group_segment_fixed_size: 0
    .kernarg_segment_align: 8
    .kernarg_segment_size: 288
    .language:       OpenCL C
    .language_version:
      - 2
      - 0
    .max_flat_workgroup_size: 128
    .name:           _ZL26flash_attn_combine_resultsILi128EEvPKfPK15HIP_vector_typeIfLj2EEPfi
    .private_segment_fixed_size: 0
    .sgpr_count:     32
    .sgpr_spill_count: 0
    .symbol:         _ZL26flash_attn_combine_resultsILi128EEvPKfPK15HIP_vector_typeIfLj2EEPfi.kd
    .uniform_work_group_size: 1
    .uses_dynamic_stack: false
    .vgpr_count:     59
    .vgpr_spill_count: 0
    .wavefront_size: 64
  - .agpr_count:     32
    .args:
      - .address_space:  global
        .offset:         0
        .size:           8
        .value_kind:     global_buffer
      - .address_space:  global
        .offset:         8
        .size:           8
        .value_kind:     global_buffer
      - .address_space:  global
        .offset:         16
        .size:           8
        .value_kind:     global_buffer
      - .address_space:  global
        .offset:         24
        .size:           8
        .value_kind:     global_buffer
      - .address_space:  global
        .offset:         32
        .size:           8
        .value_kind:     global_buffer
      - .address_space:  global
        .offset:         40
        .size:           8
        .value_kind:     global_buffer
      - .address_space:  global
        .offset:         48
        .size:           8
        .value_kind:     global_buffer
      - .address_space:  global
        .offset:         56
        .size:           8
        .value_kind:     global_buffer
      - .offset:         64
        .size:           4
        .value_kind:     by_value
      - .offset:         68
        .size:           4
        .value_kind:     by_value
      - .offset:         72
        .size:           4
        .value_kind:     by_value
      - .offset:         76
        .size:           4
        .value_kind:     by_value
      - .offset:         80
        .size:           4
        .value_kind:     by_value
      - .offset:         84
        .size:           4
        .value_kind:     by_value
      - .offset:         88
        .size:           4
        .value_kind:     by_value
      - .offset:         92
        .size:           12
        .value_kind:     by_value
      - .offset:         104
        .size:           4
        .value_kind:     by_value
      - .offset:         108
        .size:           4
        .value_kind:     by_value
      - .offset:         112
        .size:           4
        .value_kind:     by_value
      - .offset:         116
        .size:           4
        .value_kind:     by_value
      - .offset:         120
        .size:           4
        .value_kind:     by_value
      - .offset:         124
        .size:           4
        .value_kind:     by_value
      - .offset:         128
        .size:           4
        .value_kind:     by_value
      - .offset:         132
        .size:           4
        .value_kind:     by_value
      - .offset:         136
        .size:           4
        .value_kind:     by_value
      - .offset:         140
        .size:           4
        .value_kind:     by_value
      - .offset:         144
        .size:           4
        .value_kind:     by_value
      - .offset:         152
        .size:           8
        .value_kind:     by_value
      - .offset:         160
        .size:           4
        .value_kind:     by_value
      - .offset:         164
        .size:           4
        .value_kind:     by_value
      - .offset:         168
        .size:           8
        .value_kind:     by_value
      - .offset:         176
        .size:           4
        .value_kind:     by_value
      - .offset:         180
        .size:           4
        .value_kind:     by_value
      - .offset:         184
        .size:           4
        .value_kind:     by_value
      - .offset:         188
        .size:           4
        .value_kind:     by_value
      - .offset:         192
        .size:           4
        .value_kind:     by_value
      - .offset:         200
        .size:           8
        .value_kind:     by_value
      - .offset:         208
        .size:           4
        .value_kind:     hidden_block_count_x
      - .offset:         212
        .size:           4
        .value_kind:     hidden_block_count_y
      - .offset:         216
        .size:           4
        .value_kind:     hidden_block_count_z
      - .offset:         220
        .size:           2
        .value_kind:     hidden_group_size_x
      - .offset:         222
        .size:           2
        .value_kind:     hidden_group_size_y
      - .offset:         224
        .size:           2
        .value_kind:     hidden_group_size_z
      - .offset:         226
        .size:           2
        .value_kind:     hidden_remainder_x
      - .offset:         228
        .size:           2
        .value_kind:     hidden_remainder_y
      - .offset:         230
        .size:           2
        .value_kind:     hidden_remainder_z
      - .offset:         248
        .size:           8
        .value_kind:     hidden_global_offset_x
      - .offset:         256
        .size:           8
        .value_kind:     hidden_global_offset_y
      - .offset:         264
        .size:           8
        .value_kind:     hidden_global_offset_z
      - .offset:         272
        .size:           2
        .value_kind:     hidden_grid_dims
      - .offset:         328
        .size:           4
        .value_kind:     hidden_dynamic_lds_size
    .group_segment_fixed_size: 0
    .kernarg_segment_align: 8
    .kernarg_segment_size: 464
    .language:       OpenCL C
    .language_version:
      - 2
      - 0
    .max_flat_workgroup_size: 256
    .name:           _ZL18flash_attn_ext_f16ILi192ELi128ELi4ELi8ELb0ELb0EEvPKcS1_S1_S1_S1_PKiPfP15HIP_vector_typeIfLj2EEffffjfiS5_IjLj3EEiiiiiiiiiiiliiliiiiil
    .private_segment_fixed_size: 0
    .sgpr_count:     105
    .sgpr_spill_count: 0
    .symbol:         _ZL18flash_attn_ext_f16ILi192ELi128ELi4ELi8ELb0ELb0EEvPKcS1_S1_S1_S1_PKiPfP15HIP_vector_typeIfLj2EEffffjfiS5_IjLj3EEiiiiiiiiiiiliiliiiiil.kd
    .uniform_work_group_size: 1
    .uses_dynamic_stack: false
    .vgpr_count:     288
    .vgpr_spill_count: 0
    .wavefront_size: 64
  - .agpr_count:     0
    .args:
      - .address_space:  global
        .offset:         0
        .size:           8
        .value_kind:     global_buffer
      - .address_space:  global
        .offset:         8
        .size:           8
        .value_kind:     global_buffer
      - .address_space:  global
        .offset:         16
        .size:           8
        .value_kind:     global_buffer
      - .address_space:  global
        .offset:         24
        .size:           8
        .value_kind:     global_buffer
      - .address_space:  global
        .offset:         32
        .size:           8
        .value_kind:     global_buffer
      - .address_space:  global
        .offset:         40
        .size:           8
        .value_kind:     global_buffer
      - .address_space:  global
        .offset:         48
        .size:           8
        .value_kind:     global_buffer
      - .address_space:  global
        .offset:         56
        .size:           8
        .value_kind:     global_buffer
      - .offset:         64
        .size:           4
        .value_kind:     by_value
      - .offset:         68
        .size:           4
        .value_kind:     by_value
      - .offset:         72
        .size:           4
        .value_kind:     by_value
      - .offset:         76
        .size:           4
        .value_kind:     by_value
      - .offset:         80
        .size:           4
        .value_kind:     by_value
      - .offset:         84
        .size:           4
        .value_kind:     by_value
      - .offset:         88
        .size:           4
        .value_kind:     by_value
      - .offset:         92
        .size:           12
        .value_kind:     by_value
      - .offset:         104
        .size:           4
        .value_kind:     by_value
      - .offset:         108
        .size:           4
        .value_kind:     by_value
      - .offset:         112
        .size:           4
        .value_kind:     by_value
      - .offset:         116
        .size:           4
        .value_kind:     by_value
      - .offset:         120
        .size:           4
        .value_kind:     by_value
      - .offset:         124
        .size:           4
        .value_kind:     by_value
      - .offset:         128
        .size:           4
        .value_kind:     by_value
      - .offset:         132
        .size:           4
        .value_kind:     by_value
      - .offset:         136
        .size:           4
        .value_kind:     by_value
      - .offset:         140
        .size:           4
        .value_kind:     by_value
      - .offset:         144
        .size:           4
        .value_kind:     by_value
      - .offset:         152
        .size:           8
        .value_kind:     by_value
      - .offset:         160
        .size:           4
        .value_kind:     by_value
      - .offset:         164
        .size:           4
        .value_kind:     by_value
      - .offset:         168
        .size:           8
        .value_kind:     by_value
      - .offset:         176
        .size:           4
        .value_kind:     by_value
      - .offset:         180
        .size:           4
        .value_kind:     by_value
      - .offset:         184
        .size:           4
        .value_kind:     by_value
      - .offset:         188
        .size:           4
        .value_kind:     by_value
      - .offset:         192
        .size:           4
        .value_kind:     by_value
      - .offset:         200
        .size:           8
        .value_kind:     by_value
      - .offset:         208
        .size:           4
        .value_kind:     hidden_block_count_x
      - .offset:         212
        .size:           4
        .value_kind:     hidden_block_count_y
      - .offset:         216
        .size:           4
        .value_kind:     hidden_block_count_z
      - .offset:         220
        .size:           2
        .value_kind:     hidden_group_size_x
      - .offset:         222
        .size:           2
        .value_kind:     hidden_group_size_y
      - .offset:         224
        .size:           2
        .value_kind:     hidden_group_size_z
      - .offset:         226
        .size:           2
        .value_kind:     hidden_remainder_x
      - .offset:         228
        .size:           2
        .value_kind:     hidden_remainder_y
      - .offset:         230
        .size:           2
        .value_kind:     hidden_remainder_z
      - .offset:         248
        .size:           8
        .value_kind:     hidden_global_offset_x
      - .offset:         256
        .size:           8
        .value_kind:     hidden_global_offset_y
      - .offset:         264
        .size:           8
        .value_kind:     hidden_global_offset_z
      - .offset:         272
        .size:           2
        .value_kind:     hidden_grid_dims
      - .offset:         288
        .size:           8
        .value_kind:     hidden_hostcall_buffer
    .group_segment_fixed_size: 0
    .kernarg_segment_align: 8
    .kernarg_segment_size: 464
    .language:       OpenCL C
    .language_version:
      - 2
      - 0
    .max_flat_workgroup_size: 256
    .name:           _ZL18flash_attn_ext_f16ILi192ELi128ELi4ELi8ELb1ELb0EEvPKcS1_S1_S1_S1_PKiPfP15HIP_vector_typeIfLj2EEffffjfiS5_IjLj3EEiiiiiiiiiiiliiliiiiil
    .private_segment_fixed_size: 16
    .sgpr_count:     40
    .sgpr_spill_count: 0
    .symbol:         _ZL18flash_attn_ext_f16ILi192ELi128ELi4ELi8ELb1ELb0EEvPKcS1_S1_S1_S1_PKiPfP15HIP_vector_typeIfLj2EEffffjfiS5_IjLj3EEiiiiiiiiiiiliiliiiiil.kd
    .uniform_work_group_size: 1
    .uses_dynamic_stack: false
    .vgpr_count:     52
    .vgpr_spill_count: 0
    .wavefront_size: 64
  - .agpr_count:     114
    .args:
      - .address_space:  global
        .offset:         0
        .size:           8
        .value_kind:     global_buffer
      - .address_space:  global
        .offset:         8
        .size:           8
        .value_kind:     global_buffer
      - .address_space:  global
        .offset:         16
        .size:           8
        .value_kind:     global_buffer
      - .address_space:  global
        .offset:         24
        .size:           8
        .value_kind:     global_buffer
      - .address_space:  global
        .offset:         32
        .size:           8
        .value_kind:     global_buffer
      - .address_space:  global
        .offset:         40
        .size:           8
        .value_kind:     global_buffer
      - .address_space:  global
        .offset:         48
        .size:           8
        .value_kind:     global_buffer
      - .address_space:  global
        .offset:         56
        .size:           8
        .value_kind:     global_buffer
      - .offset:         64
        .size:           4
        .value_kind:     by_value
      - .offset:         68
        .size:           4
        .value_kind:     by_value
      - .offset:         72
        .size:           4
        .value_kind:     by_value
      - .offset:         76
        .size:           4
        .value_kind:     by_value
      - .offset:         80
        .size:           4
        .value_kind:     by_value
      - .offset:         84
        .size:           4
        .value_kind:     by_value
      - .offset:         88
        .size:           4
        .value_kind:     by_value
      - .offset:         92
        .size:           12
        .value_kind:     by_value
      - .offset:         104
        .size:           4
        .value_kind:     by_value
      - .offset:         108
        .size:           4
        .value_kind:     by_value
      - .offset:         112
        .size:           4
        .value_kind:     by_value
      - .offset:         116
        .size:           4
        .value_kind:     by_value
      - .offset:         120
        .size:           4
        .value_kind:     by_value
      - .offset:         124
        .size:           4
        .value_kind:     by_value
      - .offset:         128
        .size:           4
        .value_kind:     by_value
      - .offset:         132
        .size:           4
        .value_kind:     by_value
      - .offset:         136
        .size:           4
        .value_kind:     by_value
      - .offset:         140
        .size:           4
        .value_kind:     by_value
      - .offset:         144
        .size:           4
        .value_kind:     by_value
      - .offset:         152
        .size:           8
        .value_kind:     by_value
      - .offset:         160
        .size:           4
        .value_kind:     by_value
      - .offset:         164
        .size:           4
        .value_kind:     by_value
      - .offset:         168
        .size:           8
        .value_kind:     by_value
      - .offset:         176
        .size:           4
        .value_kind:     by_value
      - .offset:         180
        .size:           4
        .value_kind:     by_value
      - .offset:         184
        .size:           4
        .value_kind:     by_value
      - .offset:         188
        .size:           4
        .value_kind:     by_value
      - .offset:         192
        .size:           4
        .value_kind:     by_value
      - .offset:         200
        .size:           8
        .value_kind:     by_value
      - .offset:         208
        .size:           4
        .value_kind:     hidden_block_count_x
      - .offset:         212
        .size:           4
        .value_kind:     hidden_block_count_y
      - .offset:         216
        .size:           4
        .value_kind:     hidden_block_count_z
      - .offset:         220
        .size:           2
        .value_kind:     hidden_group_size_x
      - .offset:         222
        .size:           2
        .value_kind:     hidden_group_size_y
      - .offset:         224
        .size:           2
        .value_kind:     hidden_group_size_z
      - .offset:         226
        .size:           2
        .value_kind:     hidden_remainder_x
      - .offset:         228
        .size:           2
        .value_kind:     hidden_remainder_y
      - .offset:         230
        .size:           2
        .value_kind:     hidden_remainder_z
      - .offset:         248
        .size:           8
        .value_kind:     hidden_global_offset_x
      - .offset:         256
        .size:           8
        .value_kind:     hidden_global_offset_y
      - .offset:         264
        .size:           8
        .value_kind:     hidden_global_offset_z
      - .offset:         272
        .size:           2
        .value_kind:     hidden_grid_dims
      - .offset:         328
        .size:           4
        .value_kind:     hidden_dynamic_lds_size
    .group_segment_fixed_size: 0
    .kernarg_segment_align: 8
    .kernarg_segment_size: 464
    .language:       OpenCL C
    .language_version:
      - 2
      - 0
    .max_flat_workgroup_size: 256
    .name:           _ZL18flash_attn_ext_f16ILi256ELi256ELi4ELi8ELb0ELb0EEvPKcS1_S1_S1_S1_PKiPfP15HIP_vector_typeIfLj2EEffffjfiS5_IjLj3EEiiiiiiiiiiiliiliiiiil
    .private_segment_fixed_size: 0
    .sgpr_count:     101
    .sgpr_spill_count: 0
    .symbol:         _ZL18flash_attn_ext_f16ILi256ELi256ELi4ELi8ELb0ELb0EEvPKcS1_S1_S1_S1_PKiPfP15HIP_vector_typeIfLj2EEffffjfiS5_IjLj3EEiiiiiiiiiiiliiliiiiil.kd
    .uniform_work_group_size: 1
    .uses_dynamic_stack: false
    .vgpr_count:     370
    .vgpr_spill_count: 0
    .wavefront_size: 64
  - .agpr_count:     116
    .args:
      - .address_space:  global
        .offset:         0
        .size:           8
        .value_kind:     global_buffer
      - .address_space:  global
        .offset:         8
        .size:           8
        .value_kind:     global_buffer
      - .address_space:  global
        .offset:         16
        .size:           8
        .value_kind:     global_buffer
      - .address_space:  global
        .offset:         24
        .size:           8
        .value_kind:     global_buffer
      - .address_space:  global
        .offset:         32
        .size:           8
        .value_kind:     global_buffer
      - .address_space:  global
        .offset:         40
        .size:           8
        .value_kind:     global_buffer
      - .address_space:  global
        .offset:         48
        .size:           8
        .value_kind:     global_buffer
      - .address_space:  global
        .offset:         56
        .size:           8
        .value_kind:     global_buffer
      - .offset:         64
        .size:           4
        .value_kind:     by_value
      - .offset:         68
        .size:           4
        .value_kind:     by_value
      - .offset:         72
        .size:           4
        .value_kind:     by_value
      - .offset:         76
        .size:           4
        .value_kind:     by_value
      - .offset:         80
        .size:           4
        .value_kind:     by_value
      - .offset:         84
        .size:           4
        .value_kind:     by_value
      - .offset:         88
        .size:           4
        .value_kind:     by_value
      - .offset:         92
        .size:           12
        .value_kind:     by_value
      - .offset:         104
        .size:           4
        .value_kind:     by_value
      - .offset:         108
        .size:           4
        .value_kind:     by_value
      - .offset:         112
        .size:           4
        .value_kind:     by_value
      - .offset:         116
        .size:           4
        .value_kind:     by_value
      - .offset:         120
        .size:           4
        .value_kind:     by_value
      - .offset:         124
        .size:           4
        .value_kind:     by_value
      - .offset:         128
        .size:           4
        .value_kind:     by_value
      - .offset:         132
        .size:           4
        .value_kind:     by_value
      - .offset:         136
        .size:           4
        .value_kind:     by_value
      - .offset:         140
        .size:           4
        .value_kind:     by_value
      - .offset:         144
        .size:           4
        .value_kind:     by_value
      - .offset:         152
        .size:           8
        .value_kind:     by_value
      - .offset:         160
        .size:           4
        .value_kind:     by_value
      - .offset:         164
        .size:           4
        .value_kind:     by_value
      - .offset:         168
        .size:           8
        .value_kind:     by_value
      - .offset:         176
        .size:           4
        .value_kind:     by_value
      - .offset:         180
        .size:           4
        .value_kind:     by_value
      - .offset:         184
        .size:           4
        .value_kind:     by_value
      - .offset:         188
        .size:           4
        .value_kind:     by_value
      - .offset:         192
        .size:           4
        .value_kind:     by_value
      - .offset:         200
        .size:           8
        .value_kind:     by_value
      - .offset:         208
        .size:           4
        .value_kind:     hidden_block_count_x
      - .offset:         212
        .size:           4
        .value_kind:     hidden_block_count_y
      - .offset:         216
        .size:           4
        .value_kind:     hidden_block_count_z
      - .offset:         220
        .size:           2
        .value_kind:     hidden_group_size_x
      - .offset:         222
        .size:           2
        .value_kind:     hidden_group_size_y
      - .offset:         224
        .size:           2
        .value_kind:     hidden_group_size_z
      - .offset:         226
        .size:           2
        .value_kind:     hidden_remainder_x
      - .offset:         228
        .size:           2
        .value_kind:     hidden_remainder_y
      - .offset:         230
        .size:           2
        .value_kind:     hidden_remainder_z
      - .offset:         248
        .size:           8
        .value_kind:     hidden_global_offset_x
      - .offset:         256
        .size:           8
        .value_kind:     hidden_global_offset_y
      - .offset:         264
        .size:           8
        .value_kind:     hidden_global_offset_z
      - .offset:         272
        .size:           2
        .value_kind:     hidden_grid_dims
      - .offset:         328
        .size:           4
        .value_kind:     hidden_dynamic_lds_size
    .group_segment_fixed_size: 0
    .kernarg_segment_align: 8
    .kernarg_segment_size: 464
    .language:       OpenCL C
    .language_version:
      - 2
      - 0
    .max_flat_workgroup_size: 256
    .name:           _ZL18flash_attn_ext_f16ILi256ELi256ELi4ELi8ELb1ELb0EEvPKcS1_S1_S1_S1_PKiPfP15HIP_vector_typeIfLj2EEffffjfiS5_IjLj3EEiiiiiiiiiiiliiliiiiil
    .private_segment_fixed_size: 0
    .sgpr_count:     104
    .sgpr_spill_count: 0
    .symbol:         _ZL18flash_attn_ext_f16ILi256ELi256ELi4ELi8ELb1ELb0EEvPKcS1_S1_S1_S1_PKiPfP15HIP_vector_typeIfLj2EEffffjfiS5_IjLj3EEiiiiiiiiiiiliiliiiiil.kd
    .uniform_work_group_size: 1
    .uses_dynamic_stack: false
    .vgpr_count:     372
    .vgpr_spill_count: 0
    .wavefront_size: 64
  - .agpr_count:     0
    .args:
      - .address_space:  global
        .offset:         0
        .size:           8
        .value_kind:     global_buffer
      - .address_space:  global
        .offset:         8
        .size:           8
        .value_kind:     global_buffer
      - .offset:         16
        .size:           4
        .value_kind:     by_value
      - .offset:         20
        .size:           4
        .value_kind:     by_value
      - .offset:         24
        .size:           4
        .value_kind:     by_value
      - .offset:         28
        .size:           4
        .value_kind:     by_value
      - .offset:         32
        .size:           4
        .value_kind:     by_value
      - .offset:         36
        .size:           4
        .value_kind:     by_value
      - .offset:         40
        .size:           12
        .value_kind:     by_value
      - .offset:         52
        .size:           12
        .value_kind:     by_value
      - .offset:         64
        .size:           12
        .value_kind:     by_value
    .group_segment_fixed_size: 0
    .kernarg_segment_align: 8
    .kernarg_segment_size: 76
    .language:       OpenCL C
    .language_version:
      - 2
      - 0
    .max_flat_workgroup_size: 256
    .name:           _ZL33flash_attn_stream_k_fixup_uniformILi256ELi4ELi8EEvPfPK15HIP_vector_typeIfLj2EEiiiiiiS1_IjLj3EES5_S5_
    .private_segment_fixed_size: 0
    .sgpr_count:     30
    .sgpr_spill_count: 0
    .symbol:         _ZL33flash_attn_stream_k_fixup_uniformILi256ELi4ELi8EEvPfPK15HIP_vector_typeIfLj2EEiiiiiiS1_IjLj3EES5_S5_.kd
    .uniform_work_group_size: 1
    .uses_dynamic_stack: false
    .vgpr_count:     17
    .vgpr_spill_count: 0
    .wavefront_size: 64
  - .agpr_count:     0
    .args:
      - .address_space:  global
        .offset:         0
        .size:           8
        .value_kind:     global_buffer
      - .address_space:  global
        .offset:         8
        .size:           8
        .value_kind:     global_buffer
      - .offset:         16
        .size:           4
        .value_kind:     by_value
      - .offset:         20
        .size:           4
        .value_kind:     by_value
      - .offset:         24
        .size:           4
        .value_kind:     by_value
      - .offset:         28
        .size:           4
        .value_kind:     by_value
      - .offset:         32
        .size:           12
        .value_kind:     by_value
      - .offset:         44
        .size:           12
        .value_kind:     by_value
      - .offset:         56
        .size:           12
        .value_kind:     by_value
      - .offset:         68
        .size:           12
        .value_kind:     by_value
      - .offset:         80
        .size:           4
        .value_kind:     hidden_block_count_x
      - .offset:         84
        .size:           4
        .value_kind:     hidden_block_count_y
      - .offset:         88
        .size:           4
        .value_kind:     hidden_block_count_z
      - .offset:         92
        .size:           2
        .value_kind:     hidden_group_size_x
      - .offset:         94
        .size:           2
        .value_kind:     hidden_group_size_y
      - .offset:         96
        .size:           2
        .value_kind:     hidden_group_size_z
      - .offset:         98
        .size:           2
        .value_kind:     hidden_remainder_x
      - .offset:         100
        .size:           2
        .value_kind:     hidden_remainder_y
      - .offset:         102
        .size:           2
        .value_kind:     hidden_remainder_z
      - .offset:         120
        .size:           8
        .value_kind:     hidden_global_offset_x
      - .offset:         128
        .size:           8
        .value_kind:     hidden_global_offset_y
      - .offset:         136
        .size:           8
        .value_kind:     hidden_global_offset_z
      - .offset:         144
        .size:           2
        .value_kind:     hidden_grid_dims
    .group_segment_fixed_size: 0
    .kernarg_segment_align: 8
    .kernarg_segment_size: 336
    .language:       OpenCL C
    .language_version:
      - 2
      - 0
    .max_flat_workgroup_size: 256
    .name:           _ZL33flash_attn_stream_k_fixup_generalILi256ELi4ELi8EEvPfPK15HIP_vector_typeIfLj2EEiiiiS1_IjLj3EES5_S5_S5_
    .private_segment_fixed_size: 0
    .sgpr_count:     42
    .sgpr_spill_count: 0
    .symbol:         _ZL33flash_attn_stream_k_fixup_generalILi256ELi4ELi8EEvPfPK15HIP_vector_typeIfLj2EEiiiiS1_IjLj3EES5_S5_S5_.kd
    .uniform_work_group_size: 1
    .uses_dynamic_stack: false
    .vgpr_count:     18
    .vgpr_spill_count: 0
    .wavefront_size: 64
  - .agpr_count:     0
    .args:
      - .address_space:  global
        .offset:         0
        .size:           8
        .value_kind:     global_buffer
      - .address_space:  global
        .offset:         8
        .size:           8
        .value_kind:     global_buffer
      - .address_space:  global
        .offset:         16
        .size:           8
        .value_kind:     global_buffer
      - .offset:         24
        .size:           4
        .value_kind:     by_value
      - .offset:         32
        .size:           4
        .value_kind:     hidden_block_count_x
      - .offset:         36
        .size:           4
        .value_kind:     hidden_block_count_y
      - .offset:         40
        .size:           4
        .value_kind:     hidden_block_count_z
      - .offset:         44
        .size:           2
        .value_kind:     hidden_group_size_x
      - .offset:         46
        .size:           2
        .value_kind:     hidden_group_size_y
      - .offset:         48
        .size:           2
        .value_kind:     hidden_group_size_z
      - .offset:         50
        .size:           2
        .value_kind:     hidden_remainder_x
      - .offset:         52
        .size:           2
        .value_kind:     hidden_remainder_y
      - .offset:         54
        .size:           2
        .value_kind:     hidden_remainder_z
      - .offset:         72
        .size:           8
        .value_kind:     hidden_global_offset_x
      - .offset:         80
        .size:           8
        .value_kind:     hidden_global_offset_y
      - .offset:         88
        .size:           8
        .value_kind:     hidden_global_offset_z
      - .offset:         96
        .size:           2
        .value_kind:     hidden_grid_dims
      - .offset:         152
        .size:           4
        .value_kind:     hidden_dynamic_lds_size
    .group_segment_fixed_size: 0
    .kernarg_segment_align: 8
    .kernarg_segment_size: 288
    .language:       OpenCL C
    .language_version:
      - 2
      - 0
    .max_flat_workgroup_size: 256
    .name:           _ZL26flash_attn_combine_resultsILi256EEvPKfPK15HIP_vector_typeIfLj2EEPfi
    .private_segment_fixed_size: 0
    .sgpr_count:     32
    .sgpr_spill_count: 0
    .symbol:         _ZL26flash_attn_combine_resultsILi256EEvPKfPK15HIP_vector_typeIfLj2EEPfi.kd
    .uniform_work_group_size: 1
    .uses_dynamic_stack: false
    .vgpr_count:     59
    .vgpr_spill_count: 0
    .wavefront_size: 64
  - .agpr_count:     0
    .args:
      - .address_space:  global
        .offset:         0
        .size:           8
        .value_kind:     global_buffer
      - .address_space:  global
        .offset:         8
        .size:           8
        .value_kind:     global_buffer
      - .address_space:  global
        .offset:         16
        .size:           8
        .value_kind:     global_buffer
      - .address_space:  global
        .offset:         24
        .size:           8
        .value_kind:     global_buffer
      - .address_space:  global
        .offset:         32
        .size:           8
        .value_kind:     global_buffer
      - .address_space:  global
        .offset:         40
        .size:           8
        .value_kind:     global_buffer
      - .address_space:  global
        .offset:         48
        .size:           8
        .value_kind:     global_buffer
      - .address_space:  global
        .offset:         56
        .size:           8
        .value_kind:     global_buffer
      - .offset:         64
        .size:           4
        .value_kind:     by_value
      - .offset:         68
        .size:           4
        .value_kind:     by_value
      - .offset:         72
        .size:           4
        .value_kind:     by_value
      - .offset:         76
        .size:           4
        .value_kind:     by_value
      - .offset:         80
        .size:           4
        .value_kind:     by_value
      - .offset:         84
        .size:           4
        .value_kind:     by_value
      - .offset:         88
        .size:           4
        .value_kind:     by_value
      - .offset:         92
        .size:           12
        .value_kind:     by_value
      - .offset:         104
        .size:           4
        .value_kind:     by_value
      - .offset:         108
        .size:           4
        .value_kind:     by_value
      - .offset:         112
        .size:           4
        .value_kind:     by_value
      - .offset:         116
        .size:           4
        .value_kind:     by_value
      - .offset:         120
        .size:           4
        .value_kind:     by_value
      - .offset:         124
        .size:           4
        .value_kind:     by_value
      - .offset:         128
        .size:           4
        .value_kind:     by_value
      - .offset:         132
        .size:           4
        .value_kind:     by_value
      - .offset:         136
        .size:           4
        .value_kind:     by_value
      - .offset:         140
        .size:           4
        .value_kind:     by_value
      - .offset:         144
        .size:           4
        .value_kind:     by_value
      - .offset:         152
        .size:           8
        .value_kind:     by_value
      - .offset:         160
        .size:           4
        .value_kind:     by_value
      - .offset:         164
        .size:           4
        .value_kind:     by_value
      - .offset:         168
        .size:           8
        .value_kind:     by_value
      - .offset:         176
        .size:           4
        .value_kind:     by_value
      - .offset:         180
        .size:           4
        .value_kind:     by_value
      - .offset:         184
        .size:           4
        .value_kind:     by_value
      - .offset:         188
        .size:           4
        .value_kind:     by_value
      - .offset:         192
        .size:           4
        .value_kind:     by_value
      - .offset:         200
        .size:           8
        .value_kind:     by_value
      - .offset:         208
        .size:           4
        .value_kind:     hidden_block_count_x
      - .offset:         212
        .size:           4
        .value_kind:     hidden_block_count_y
      - .offset:         216
        .size:           4
        .value_kind:     hidden_block_count_z
      - .offset:         220
        .size:           2
        .value_kind:     hidden_group_size_x
      - .offset:         222
        .size:           2
        .value_kind:     hidden_group_size_y
      - .offset:         224
        .size:           2
        .value_kind:     hidden_group_size_z
      - .offset:         226
        .size:           2
        .value_kind:     hidden_remainder_x
      - .offset:         228
        .size:           2
        .value_kind:     hidden_remainder_y
      - .offset:         230
        .size:           2
        .value_kind:     hidden_remainder_z
      - .offset:         248
        .size:           8
        .value_kind:     hidden_global_offset_x
      - .offset:         256
        .size:           8
        .value_kind:     hidden_global_offset_y
      - .offset:         264
        .size:           8
        .value_kind:     hidden_global_offset_z
      - .offset:         272
        .size:           2
        .value_kind:     hidden_grid_dims
      - .offset:         288
        .size:           8
        .value_kind:     hidden_hostcall_buffer
    .group_segment_fixed_size: 0
    .kernarg_segment_align: 8
    .kernarg_segment_size: 464
    .language:       OpenCL C
    .language_version:
      - 2
      - 0
    .max_flat_workgroup_size: 256
    .name:           _ZL18flash_attn_ext_f16ILi512ELi512ELi4ELi8ELb0ELb0EEvPKcS1_S1_S1_S1_PKiPfP15HIP_vector_typeIfLj2EEffffjfiS5_IjLj3EEiiiiiiiiiiiliiliiiiil
    .private_segment_fixed_size: 16
    .sgpr_count:     40
    .sgpr_spill_count: 0
    .symbol:         _ZL18flash_attn_ext_f16ILi512ELi512ELi4ELi8ELb0ELb0EEvPKcS1_S1_S1_S1_PKiPfP15HIP_vector_typeIfLj2EEffffjfiS5_IjLj3EEiiiiiiiiiiiliiliiiiil.kd
    .uniform_work_group_size: 1
    .uses_dynamic_stack: false
    .vgpr_count:     52
    .vgpr_spill_count: 0
    .wavefront_size: 64
  - .agpr_count:     0
    .args:
      - .address_space:  global
        .offset:         0
        .size:           8
        .value_kind:     global_buffer
      - .address_space:  global
        .offset:         8
        .size:           8
        .value_kind:     global_buffer
      - .address_space:  global
        .offset:         16
        .size:           8
        .value_kind:     global_buffer
      - .address_space:  global
        .offset:         24
        .size:           8
        .value_kind:     global_buffer
      - .address_space:  global
        .offset:         32
        .size:           8
        .value_kind:     global_buffer
      - .address_space:  global
        .offset:         40
        .size:           8
        .value_kind:     global_buffer
      - .address_space:  global
        .offset:         48
        .size:           8
        .value_kind:     global_buffer
      - .address_space:  global
        .offset:         56
        .size:           8
        .value_kind:     global_buffer
      - .offset:         64
        .size:           4
        .value_kind:     by_value
      - .offset:         68
        .size:           4
        .value_kind:     by_value
      - .offset:         72
        .size:           4
        .value_kind:     by_value
      - .offset:         76
        .size:           4
        .value_kind:     by_value
      - .offset:         80
        .size:           4
        .value_kind:     by_value
      - .offset:         84
        .size:           4
        .value_kind:     by_value
      - .offset:         88
        .size:           4
        .value_kind:     by_value
      - .offset:         92
        .size:           12
        .value_kind:     by_value
      - .offset:         104
        .size:           4
        .value_kind:     by_value
      - .offset:         108
        .size:           4
        .value_kind:     by_value
      - .offset:         112
        .size:           4
        .value_kind:     by_value
      - .offset:         116
        .size:           4
        .value_kind:     by_value
      - .offset:         120
        .size:           4
        .value_kind:     by_value
      - .offset:         124
        .size:           4
        .value_kind:     by_value
      - .offset:         128
        .size:           4
        .value_kind:     by_value
      - .offset:         132
        .size:           4
        .value_kind:     by_value
      - .offset:         136
        .size:           4
        .value_kind:     by_value
      - .offset:         140
        .size:           4
        .value_kind:     by_value
      - .offset:         144
        .size:           4
        .value_kind:     by_value
      - .offset:         152
        .size:           8
        .value_kind:     by_value
      - .offset:         160
        .size:           4
        .value_kind:     by_value
      - .offset:         164
        .size:           4
        .value_kind:     by_value
      - .offset:         168
        .size:           8
        .value_kind:     by_value
      - .offset:         176
        .size:           4
        .value_kind:     by_value
      - .offset:         180
        .size:           4
        .value_kind:     by_value
      - .offset:         184
        .size:           4
        .value_kind:     by_value
      - .offset:         188
        .size:           4
        .value_kind:     by_value
      - .offset:         192
        .size:           4
        .value_kind:     by_value
      - .offset:         200
        .size:           8
        .value_kind:     by_value
      - .offset:         208
        .size:           4
        .value_kind:     hidden_block_count_x
      - .offset:         212
        .size:           4
        .value_kind:     hidden_block_count_y
      - .offset:         216
        .size:           4
        .value_kind:     hidden_block_count_z
      - .offset:         220
        .size:           2
        .value_kind:     hidden_group_size_x
      - .offset:         222
        .size:           2
        .value_kind:     hidden_group_size_y
      - .offset:         224
        .size:           2
        .value_kind:     hidden_group_size_z
      - .offset:         226
        .size:           2
        .value_kind:     hidden_remainder_x
      - .offset:         228
        .size:           2
        .value_kind:     hidden_remainder_y
      - .offset:         230
        .size:           2
        .value_kind:     hidden_remainder_z
      - .offset:         248
        .size:           8
        .value_kind:     hidden_global_offset_x
      - .offset:         256
        .size:           8
        .value_kind:     hidden_global_offset_y
      - .offset:         264
        .size:           8
        .value_kind:     hidden_global_offset_z
      - .offset:         272
        .size:           2
        .value_kind:     hidden_grid_dims
      - .offset:         288
        .size:           8
        .value_kind:     hidden_hostcall_buffer
    .group_segment_fixed_size: 0
    .kernarg_segment_align: 8
    .kernarg_segment_size: 464
    .language:       OpenCL C
    .language_version:
      - 2
      - 0
    .max_flat_workgroup_size: 256
    .name:           _ZL18flash_attn_ext_f16ILi512ELi512ELi4ELi8ELb1ELb0EEvPKcS1_S1_S1_S1_PKiPfP15HIP_vector_typeIfLj2EEffffjfiS5_IjLj3EEiiiiiiiiiiiliiliiiiil
    .private_segment_fixed_size: 16
    .sgpr_count:     40
    .sgpr_spill_count: 0
    .symbol:         _ZL18flash_attn_ext_f16ILi512ELi512ELi4ELi8ELb1ELb0EEvPKcS1_S1_S1_S1_PKiPfP15HIP_vector_typeIfLj2EEffffjfiS5_IjLj3EEiiiiiiiiiiiliiliiiiil.kd
    .uniform_work_group_size: 1
    .uses_dynamic_stack: false
    .vgpr_count:     52
    .vgpr_spill_count: 0
    .wavefront_size: 64
  - .agpr_count:     0
    .args:
      - .address_space:  global
        .offset:         0
        .size:           8
        .value_kind:     global_buffer
      - .address_space:  global
        .offset:         8
        .size:           8
        .value_kind:     global_buffer
      - .offset:         16
        .size:           4
        .value_kind:     by_value
      - .offset:         20
        .size:           4
        .value_kind:     by_value
      - .offset:         24
        .size:           4
        .value_kind:     by_value
      - .offset:         28
        .size:           4
        .value_kind:     by_value
      - .offset:         32
        .size:           4
        .value_kind:     by_value
      - .offset:         36
        .size:           4
        .value_kind:     by_value
      - .offset:         40
        .size:           12
        .value_kind:     by_value
      - .offset:         52
        .size:           12
        .value_kind:     by_value
      - .offset:         64
        .size:           12
        .value_kind:     by_value
    .group_segment_fixed_size: 0
    .kernarg_segment_align: 8
    .kernarg_segment_size: 76
    .language:       OpenCL C
    .language_version:
      - 2
      - 0
    .max_flat_workgroup_size: 512
    .name:           _ZL33flash_attn_stream_k_fixup_uniformILi512ELi4ELi8EEvPfPK15HIP_vector_typeIfLj2EEiiiiiiS1_IjLj3EES5_S5_
    .private_segment_fixed_size: 0
    .sgpr_count:     30
    .sgpr_spill_count: 0
    .symbol:         _ZL33flash_attn_stream_k_fixup_uniformILi512ELi4ELi8EEvPfPK15HIP_vector_typeIfLj2EEiiiiiiS1_IjLj3EES5_S5_.kd
    .uniform_work_group_size: 1
    .uses_dynamic_stack: false
    .vgpr_count:     17
    .vgpr_spill_count: 0
    .wavefront_size: 64
  - .agpr_count:     0
    .args:
      - .address_space:  global
        .offset:         0
        .size:           8
        .value_kind:     global_buffer
      - .address_space:  global
        .offset:         8
        .size:           8
        .value_kind:     global_buffer
      - .offset:         16
        .size:           4
        .value_kind:     by_value
      - .offset:         20
        .size:           4
        .value_kind:     by_value
      - .offset:         24
        .size:           4
        .value_kind:     by_value
      - .offset:         28
        .size:           4
        .value_kind:     by_value
      - .offset:         32
        .size:           12
        .value_kind:     by_value
      - .offset:         44
        .size:           12
        .value_kind:     by_value
      - .offset:         56
        .size:           12
        .value_kind:     by_value
      - .offset:         68
        .size:           12
        .value_kind:     by_value
      - .offset:         80
        .size:           4
        .value_kind:     hidden_block_count_x
      - .offset:         84
        .size:           4
        .value_kind:     hidden_block_count_y
      - .offset:         88
        .size:           4
        .value_kind:     hidden_block_count_z
      - .offset:         92
        .size:           2
        .value_kind:     hidden_group_size_x
      - .offset:         94
        .size:           2
        .value_kind:     hidden_group_size_y
      - .offset:         96
        .size:           2
        .value_kind:     hidden_group_size_z
      - .offset:         98
        .size:           2
        .value_kind:     hidden_remainder_x
      - .offset:         100
        .size:           2
        .value_kind:     hidden_remainder_y
      - .offset:         102
        .size:           2
        .value_kind:     hidden_remainder_z
      - .offset:         120
        .size:           8
        .value_kind:     hidden_global_offset_x
      - .offset:         128
        .size:           8
        .value_kind:     hidden_global_offset_y
      - .offset:         136
        .size:           8
        .value_kind:     hidden_global_offset_z
      - .offset:         144
        .size:           2
        .value_kind:     hidden_grid_dims
    .group_segment_fixed_size: 0
    .kernarg_segment_align: 8
    .kernarg_segment_size: 336
    .language:       OpenCL C
    .language_version:
      - 2
      - 0
    .max_flat_workgroup_size: 512
    .name:           _ZL33flash_attn_stream_k_fixup_generalILi512ELi4ELi8EEvPfPK15HIP_vector_typeIfLj2EEiiiiS1_IjLj3EES5_S5_S5_
    .private_segment_fixed_size: 0
    .sgpr_count:     42
    .sgpr_spill_count: 0
    .symbol:         _ZL33flash_attn_stream_k_fixup_generalILi512ELi4ELi8EEvPfPK15HIP_vector_typeIfLj2EEiiiiS1_IjLj3EES5_S5_S5_.kd
    .uniform_work_group_size: 1
    .uses_dynamic_stack: false
    .vgpr_count:     18
    .vgpr_spill_count: 0
    .wavefront_size: 64
  - .agpr_count:     0
    .args:
      - .address_space:  global
        .offset:         0
        .size:           8
        .value_kind:     global_buffer
      - .address_space:  global
        .offset:         8
        .size:           8
        .value_kind:     global_buffer
      - .address_space:  global
        .offset:         16
        .size:           8
        .value_kind:     global_buffer
      - .offset:         24
        .size:           4
        .value_kind:     by_value
      - .offset:         32
        .size:           4
        .value_kind:     hidden_block_count_x
      - .offset:         36
        .size:           4
        .value_kind:     hidden_block_count_y
      - .offset:         40
        .size:           4
        .value_kind:     hidden_block_count_z
      - .offset:         44
        .size:           2
        .value_kind:     hidden_group_size_x
      - .offset:         46
        .size:           2
        .value_kind:     hidden_group_size_y
      - .offset:         48
        .size:           2
        .value_kind:     hidden_group_size_z
      - .offset:         50
        .size:           2
        .value_kind:     hidden_remainder_x
      - .offset:         52
        .size:           2
        .value_kind:     hidden_remainder_y
      - .offset:         54
        .size:           2
        .value_kind:     hidden_remainder_z
      - .offset:         72
        .size:           8
        .value_kind:     hidden_global_offset_x
      - .offset:         80
        .size:           8
        .value_kind:     hidden_global_offset_y
      - .offset:         88
        .size:           8
        .value_kind:     hidden_global_offset_z
      - .offset:         96
        .size:           2
        .value_kind:     hidden_grid_dims
      - .offset:         152
        .size:           4
        .value_kind:     hidden_dynamic_lds_size
    .group_segment_fixed_size: 0
    .kernarg_segment_align: 8
    .kernarg_segment_size: 288
    .language:       OpenCL C
    .language_version:
      - 2
      - 0
    .max_flat_workgroup_size: 512
    .name:           _ZL26flash_attn_combine_resultsILi512EEvPKfPK15HIP_vector_typeIfLj2EEPfi
    .private_segment_fixed_size: 0
    .sgpr_count:     32
    .sgpr_spill_count: 0
    .symbol:         _ZL26flash_attn_combine_resultsILi512EEvPKfPK15HIP_vector_typeIfLj2EEPfi.kd
    .uniform_work_group_size: 1
    .uses_dynamic_stack: false
    .vgpr_count:     59
    .vgpr_spill_count: 0
    .wavefront_size: 64
amdhsa.target:   amdgcn-amd-amdhsa--gfx950
amdhsa.version:
  - 1
  - 2
...

	.end_amdgpu_metadata
